;; amdgpu-corpus repo=ggml-org/llama.cpp kind=compiled arch=gfx1250 opt=O3
	.amdgcn_target "amdgcn-amd-amdhsa--gfx1250"
	.amdhsa_code_object_version 6
	.section	.text._ZL15flash_attn_tileILi256ELi256ELi4ELi8ELb0EEvPKcS1_S1_S1_S1_PKiPfP15HIP_vector_typeIfLj2EEffffjfiS5_IjLj3EEiiiiiiiiiiiliiliiiiil,"axG",@progbits,_ZL15flash_attn_tileILi256ELi256ELi4ELi8ELb0EEvPKcS1_S1_S1_S1_PKiPfP15HIP_vector_typeIfLj2EEffffjfiS5_IjLj3EEiiiiiiiiiiiliiliiiiil,comdat
	.globl	_ZL15flash_attn_tileILi256ELi256ELi4ELi8ELb0EEvPKcS1_S1_S1_S1_PKiPfP15HIP_vector_typeIfLj2EEffffjfiS5_IjLj3EEiiiiiiiiiiiliiliiiiil ; -- Begin function _ZL15flash_attn_tileILi256ELi256ELi4ELi8ELb0EEvPKcS1_S1_S1_S1_PKiPfP15HIP_vector_typeIfLj2EEffffjfiS5_IjLj3EEiiiiiiiiiiiliiliiiiil
	.p2align	8
	.type	_ZL15flash_attn_tileILi256ELi256ELi4ELi8ELb0EEvPKcS1_S1_S1_S1_PKiPfP15HIP_vector_typeIfLj2EEffffjfiS5_IjLj3EEiiiiiiiiiiiliiliiiiil,@function
_ZL15flash_attn_tileILi256ELi256ELi4ELi8ELb0EEvPKcS1_S1_S1_S1_PKiPfP15HIP_vector_typeIfLj2EEffffjfiS5_IjLj3EEiiiiiiiiiiiliiliiiiil: ; @_ZL15flash_attn_tileILi256ELi256ELi4ELi8ELb0EEvPKcS1_S1_S1_S1_PKiPfP15HIP_vector_typeIfLj2EEffffjfiS5_IjLj3EEiiiiiiiiiiiliiliiiiil
; %bb.0:
	s_clause 0x1
	s_load_b128 s[24:27], s[0:1], 0x5c
	s_load_b64 s[30:31], s[0:1], 0x80
	s_bfe_u32 s5, ttmp6, 0x40014
	s_lshr_b32 s4, ttmp7, 16
	s_add_co_i32 s5, s5, 1
	s_bfe_u32 s6, ttmp6, 0x40008
	s_mul_i32 s5, s4, s5
	s_getreg_b32 s7, hwreg(HW_REG_IB_STS2, 6, 4)
	s_add_co_i32 s6, s6, s5
	s_load_b64 s[36:37], s[0:1], 0xb8
	s_mov_b64 s[34:35], 0
	s_wait_kmcnt 0x0
	s_ashr_i32 s2, s27, 31
	s_delay_alu instid0(SALU_CYCLE_1) | instskip(NEXT) | instid1(SALU_CYCLE_1)
	s_lshr_b32 s2, s2, 29
	s_add_co_i32 s2, s27, s2
	s_delay_alu instid0(SALU_CYCLE_1) | instskip(NEXT) | instid1(SALU_CYCLE_1)
	s_ashr_i32 s2, s2, 3
	s_cvt_f32_u32 s3, s2
	s_sub_co_i32 s8, 0, s2
	s_delay_alu instid0(SALU_CYCLE_2) | instskip(SKIP_1) | instid1(TRANS32_DEP_1)
	v_rcp_iflag_f32_e32 v1, s3
	v_nop
	v_readfirstlane_b32 s3, v1
	s_mul_f32 s3, s3, 0x4f7ffffe
	s_delay_alu instid0(SALU_CYCLE_3) | instskip(NEXT) | instid1(SALU_CYCLE_3)
	s_cvt_u32_f32 s3, s3
	s_mul_i32 s8, s8, s3
	s_delay_alu instid0(SALU_CYCLE_1) | instskip(NEXT) | instid1(SALU_CYCLE_1)
	s_mul_hi_u32 s8, s3, s8
	s_add_co_i32 s3, s3, s8
	s_cmp_eq_u32 s7, 0
	s_cselect_b32 s4, s4, s6
	s_delay_alu instid0(SALU_CYCLE_1) | instskip(NEXT) | instid1(SALU_CYCLE_1)
	s_mul_hi_u32 s3, s4, s3
	s_mul_i32 s5, s3, s2
	s_add_co_i32 s6, s3, 1
	s_sub_co_i32 s5, s4, s5
	s_delay_alu instid0(SALU_CYCLE_1)
	s_sub_co_i32 s8, s5, s2
	s_cmp_ge_u32 s5, s2
	s_cselect_b32 s3, s6, s3
	s_cselect_b32 s5, s8, s5
	s_add_co_i32 s6, s3, 1
	s_cmp_ge_u32 s5, s2
	s_cselect_b32 s28, s6, s3
	s_abs_i32 s2, s31
	s_abs_i32 s8, s27
	s_cvt_f32_u32 s3, s2
	s_sub_co_i32 s5, 0, s2
	s_lshl_b32 s4, s4, 3
	s_mul_i32 s6, s28, s27
	v_rcp_iflag_f32_e32 v1, s3
	s_sub_co_i32 s33, s4, s6
	s_xor_b32 s4, s27, s31
	s_delay_alu instid0(SALU_CYCLE_1) | instskip(SKIP_1) | instid1(TRANS32_DEP_1)
	s_ashr_i32 s4, s4, 31
	v_nop
	v_readfirstlane_b32 s3, v1
	s_mul_f32 s3, s3, 0x4f7ffffe
	s_delay_alu instid0(SALU_CYCLE_3) | instskip(NEXT) | instid1(SALU_CYCLE_3)
	s_cvt_u32_f32 s3, s3
	s_mul_i32 s5, s5, s3
	s_delay_alu instid0(SALU_CYCLE_1) | instskip(NEXT) | instid1(SALU_CYCLE_1)
	s_mul_hi_u32 s5, s3, s5
	s_add_co_i32 s3, s3, s5
	s_delay_alu instid0(SALU_CYCLE_1) | instskip(NEXT) | instid1(SALU_CYCLE_1)
	s_mul_hi_u32 s3, s8, s3
	s_mul_i32 s5, s3, s2
	s_add_co_i32 s6, s3, 1
	s_sub_co_i32 s5, s8, s5
	s_delay_alu instid0(SALU_CYCLE_1)
	s_sub_co_i32 s8, s5, s2
	s_cmp_ge_u32 s5, s2
	s_cselect_b32 s3, s6, s3
	s_cselect_b32 s5, s8, s5
	s_add_co_i32 s6, s3, 1
	s_cmp_ge_u32 s5, s2
	s_load_b512 s[8:23], s[0:1], 0x0
	s_cselect_b32 s2, s6, s3
	s_mov_b32 s3, 0
	s_xor_b32 s2, s2, s4
	s_delay_alu instid0(SALU_CYCLE_1) | instskip(NEXT) | instid1(SALU_CYCLE_1)
	s_sub_co_i32 s29, s2, s4
	s_abs_i32 s38, s29
	s_delay_alu instid0(SALU_CYCLE_1) | instskip(NEXT) | instid1(SALU_CYCLE_3)
	s_cvt_f32_u32 s2, s38
	v_rcp_iflag_f32_e32 v1, s2
	s_wait_kmcnt 0x0
	s_cmp_eq_u64 s[14:15], 0
	v_nop
	s_delay_alu instid0(TRANS32_DEP_1)
	v_readfirstlane_b32 s2, v1
	s_cbranch_scc1 .LBB0_2
; %bb.1:
	s_abs_i32 s6, s36
	s_abs_i32 s31, s28
	s_cvt_f32_u32 s4, s6
	s_sub_co_i32 s5, 0, s6
	s_delay_alu instid0(SALU_CYCLE_2) | instskip(SKIP_1) | instid1(TRANS32_DEP_1)
	v_rcp_iflag_f32_e32 v1, s4
	v_nop
	v_readfirstlane_b32 s4, v1
	s_mul_f32 s4, s4, 0x4f7ffffe
	s_delay_alu instid0(SALU_CYCLE_3) | instskip(NEXT) | instid1(SALU_CYCLE_3)
	s_cvt_u32_f32 s4, s4
	s_mul_i32 s5, s5, s4
	s_delay_alu instid0(SALU_CYCLE_1) | instskip(NEXT) | instid1(SALU_CYCLE_1)
	s_mul_hi_u32 s5, s4, s5
	s_add_co_i32 s4, s4, s5
	s_delay_alu instid0(SALU_CYCLE_1) | instskip(SKIP_2) | instid1(SALU_CYCLE_1)
	s_mul_hi_u32 s34, s31, s4
	s_load_b64 s[4:5], s[0:1], 0xc8
	s_mul_i32 s34, s34, s6
	s_sub_co_i32 s31, s31, s34
	s_ashr_i32 s34, s28, 31
	s_sub_co_i32 s35, s31, s6
	s_cmp_ge_u32 s31, s6
	s_cselect_b32 s31, s35, s31
	s_delay_alu instid0(SALU_CYCLE_1) | instskip(SKIP_2) | instid1(SALU_CYCLE_1)
	s_sub_co_i32 s35, s31, s6
	s_cmp_ge_u32 s31, s6
	s_cselect_b32 s6, s35, s31
	s_xor_b32 s6, s6, s34
	s_delay_alu instid0(SALU_CYCLE_1) | instskip(NEXT) | instid1(SALU_CYCLE_1)
	s_sub_co_i32 s34, s6, s34
	s_ashr_i32 s35, s34, 31
	s_wait_kmcnt 0x0
	s_mul_u64 s[4:5], s[4:5], s[34:35]
	s_delay_alu instid0(SALU_CYCLE_1)
	s_add_nc_u64 s[34:35], s[14:15], s[4:5]
.LBB0_2:
	s_bfe_u32 s4, ttmp6, 0x4000c
	v_dual_lshrrev_b32 v1, 10, v0 :: v_dual_mov_b32 v3, 0
	s_add_co_i32 s4, s4, 1
	s_and_b32 s5, ttmp6, 15
	s_mul_i32 s4, ttmp9, s4
	s_delay_alu instid0(VALU_DEP_1)
	v_bfe_u32 v1, v1, 1, 9
	s_add_co_i32 s5, s5, s4
	s_cmp_eq_u32 s7, 0
	v_dual_mov_b32 v13, v3 :: v_dual_mov_b32 v11, v3
	s_cselect_b32 s31, ttmp9, s5
	s_load_b96 s[4:6], s[0:1], 0x70
	v_lshl_add_u32 v62, s31, 2, v1
	v_and_b32_e32 v63, 0x3ff, v0
	v_dual_mov_b32 v9, v3 :: v_dual_mov_b32 v29, v3
	s_delay_alu instid0(VALU_DEP_3) | instskip(NEXT) | instid1(VALU_DEP_1)
	v_mul_hi_u32 v1, s24, v62
	v_dual_lshlrev_b32 v10, 4, v63 :: v_dual_add_nc_u32 v1, v62, v1
	s_wait_kmcnt 0x0
	s_mul_i32 s14, s33, s5
	s_mov_b32 s24, s5
	s_delay_alu instid0(VALU_DEP_1)
	v_lshrrev_b32_e32 v1, s25, v1
	s_ashr_i32 s25, s5, 31
	s_ashr_i32 s5, s4, 31
	;; [unrolled: 1-line block ×3, first 2 shown]
	s_lshr_b64 s[4:5], s[4:5], 2
	v_mul_lo_u32 v1, v1, s26
	s_delay_alu instid0(VALU_DEP_1) | instskip(SKIP_1) | instid1(VALU_DEP_1)
	v_sub_nc_u32_e32 v2, v62, v1
	v_bfe_u32 v1, v0, 10, 10
	v_dual_lshlrev_b32 v64, 3, v63 :: v_dual_lshlrev_b32 v0, 11, v1
	v_lshlrev_b32_e32 v42, 2, v1
	s_delay_alu instid0(VALU_DEP_4)
	v_mul_u64_e32 v[4:5], s[4:5], v[2:3]
	s_lshr_b64 s[4:5], s[24:25], 2
	s_mul_i32 s24, s28, s6
	v_add_nc_u32_e32 v3, 0x4400, v64
	v_bitop3_b32 v12, v42, 6, 2 bitop3:0xc8
	v_and_b32_e32 v28, 4, v42
	v_bitop3_b32 v8, v42, 5, 1 bitop3:0xc8
	s_ashr_i32 s25, s24, 31
	s_cmp_eq_u64 s[18:19], 0
	v_mul_u64_e32 v[16:17], s[4:5], v[12:13]
	v_bitop3_b32 v12, v42, 7, 3 bitop3:0xc8
	v_mul_u64_e32 v[6:7], s[4:5], v[28:29]
	v_mul_u64_e32 v[8:9], s[4:5], v[8:9]
	s_add_nc_u64 s[8:9], s[8:9], s[24:25]
	v_or_b32_e32 v29, 1, v42
	v_mul_u64_e32 v[24:25], s[4:5], v[12:13]
	s_add_nc_u64 s[8:9], s[8:9], s[14:15]
	s_load_b32 s4, s[0:1], 0x40
	v_lshl_add_u64 v[4:5], v[4:5], 2, s[8:9]
	s_delay_alu instid0(VALU_DEP_1) | instskip(NEXT) | instid1(VALU_DEP_1)
	v_add_nc_u64_e32 v[26:27], v[4:5], v[10:11]
	v_lshl_add_u64 v[18:19], v[6:7], 2, v[26:27]
	v_lshl_add_u64 v[30:31], v[8:9], 2, v[26:27]
	;; [unrolled: 1-line block ×4, first 2 shown]
	s_clause 0x7
	global_load_b128 v[4:7], v[18:19], off
	global_load_b128 v[8:11], v[18:19], off offset:512
	global_load_b128 v[12:15], v[30:31], off
	global_load_b128 v[16:19], v[30:31], off offset:512
	;; [unrolled: 2-line block ×4, first 2 shown]
	s_wait_xcnt 0x0
	v_add_nc_u32_e32 v40, v3, v0
	v_lshl_add_u32 v29, v29, 9, v3
	s_wait_loadcnt 0x6
	s_wait_kmcnt 0x0
	v_fma_mixlo_f16 v8, s4, v8, 0
	v_fma_mixlo_f16 v4, s4, v4, 0
	;; [unrolled: 1-line block ×8, first 2 shown]
	s_wait_loadcnt 0x5
	v_fma_mixlo_f16 v12, s4, v12, 0
	v_fma_mixlo_f16 v13, s4, v13, 0
	s_wait_loadcnt 0x4
	v_fma_mixlo_f16 v16, s4, v16, 0
	v_fma_mixlo_f16 v17, s4, v17, 0
	;; [unrolled: 1-line block ×4, first 2 shown]
	s_wait_loadcnt 0x3
	v_fma_mixlo_f16 v20, s4, v20, 0
	v_fma_mixlo_f16 v21, s4, v21, 0
	s_wait_loadcnt 0x2
	v_fma_mixlo_f16 v24, s4, v24, 0
	v_fma_mixlo_f16 v25, s4, v25, 0
	;; [unrolled: 1-line block ×4, first 2 shown]
	s_wait_loadcnt 0x1
	v_fma_mixlo_f16 v30, s4, v30, 0
	v_fma_mixlo_f16 v31, s4, v31, 0
	s_wait_loadcnt 0x0
	v_fma_mixlo_f16 v34, s4, v34, 0
	v_fma_mixlo_f16 v35, s4, v35, 0
	v_dual_lshlrev_b32 v5, 16, v5 :: v_dual_bitop2_b32 v38, 2, v42 bitop3:0x54
	v_dual_lshlrev_b32 v7, 16, v7 :: v_dual_bitop2_b32 v39, 3, v42 bitop3:0x54
	v_and_b32_e32 v4, 0xffff, v4
	v_and_b32_e32 v6, 0xffff, v6
	v_dual_lshlrev_b32 v9, 16, v9 :: v_dual_lshlrev_b32 v11, 16, v11
	v_and_b32_e32 v8, 0xffff, v8
	v_and_b32_e32 v10, 0xffff, v10
	v_dual_lshlrev_b32 v13, 16, v13 :: v_dual_lshlrev_b32 v15, 16, v15
	v_and_b32_e32 v12, 0xffff, v12
	v_dual_lshlrev_b32 v17, 16, v17 :: v_dual_lshlrev_b32 v19, 16, v19
	v_and_b32_e32 v16, 0xffff, v16
	v_fma_mixlo_f16 v22, s4, v22, 0
	v_fma_mixlo_f16 v23, s4, v23, 0
	;; [unrolled: 1-line block ×4, first 2 shown]
	v_and_b32_e32 v14, 0xffff, v14
	s_delay_alu instid0(VALU_DEP_4) | instskip(SKIP_1) | instid1(VALU_DEP_4)
	v_dual_lshlrev_b32 v21, 16, v21 :: v_dual_lshlrev_b32 v23, 16, v23
	v_and_b32_e32 v20, 0xffff, v20
	v_dual_lshlrev_b32 v25, 16, v25 :: v_dual_lshlrev_b32 v27, 16, v27
	v_and_b32_e32 v24, 0xffff, v24
	v_fma_mixlo_f16 v32, s4, v32, 0
	v_fma_mixlo_f16 v33, s4, v33, 0
	;; [unrolled: 1-line block ×4, first 2 shown]
	v_and_b32_e32 v18, 0xffff, v18
	s_delay_alu instid0(VALU_DEP_4) | instskip(SKIP_1) | instid1(VALU_DEP_4)
	v_dual_lshlrev_b32 v31, 16, v31 :: v_dual_lshlrev_b32 v33, 16, v33
	v_and_b32_e32 v30, 0xffff, v30
	v_dual_lshlrev_b32 v35, 16, v35 :: v_dual_lshlrev_b32 v37, 16, v37
	v_and_b32_e32 v34, 0xffff, v34
	v_or_b32_e32 v4, v5, v4
	v_or3_b32 v5, v7, v6, 0
	v_or_b32_e32 v6, v9, v8
	v_or3_b32 v7, v11, v10, 0
	v_or_b32_e32 v8, v13, v12
	v_or_b32_e32 v10, v17, v16
	v_and_b32_e32 v22, 0xffff, v22
	v_and_b32_e32 v26, 0xffff, v26
	v_or3_b32 v9, v15, v14, 0
	v_or_b32_e32 v12, v21, v20
	v_or_b32_e32 v14, v25, v24
	v_and_b32_e32 v32, 0xffff, v32
	v_and_b32_e32 v36, 0xffff, v36
	v_or3_b32 v11, v19, v18, 0
	v_or_b32_e32 v16, v31, v30
	v_or_b32_e32 v18, v35, v34
	v_or3_b32 v4, 0, 0, v4
	v_or3_b32 v6, 0, 0, v6
	v_or3_b32 v8, 0, 0, v8
	v_or3_b32 v10, 0, 0, v10
	v_lshl_add_u32 v38, v38, 9, v3
	v_or3_b32 v13, v23, v22, 0
	v_or3_b32 v15, v27, v26, 0
	;; [unrolled: 1-line block ×4, first 2 shown]
	v_lshl_add_u32 v3, v39, 9, v3
	v_or3_b32 v17, v33, v32, 0
	v_or3_b32 v19, v37, v36, 0
	;; [unrolled: 1-line block ×4, first 2 shown]
	ds_store_2addr_b64 v40, v[4:5], v[6:7] offset1:32
	ds_store_2addr_b64 v29, v[8:9], v[10:11] offset1:32
	;; [unrolled: 1-line block ×4, first 2 shown]
	s_wait_dscnt 0x0
	s_barrier_signal -1
	s_barrier_wait -1
	s_cbranch_scc1 .LBB0_4
; %bb.3:
	s_load_b32 s4, s[0:1], 0xd0
	s_wait_kmcnt 0x0
	s_mul_i32 s4, s4, s28
	s_delay_alu instid0(SALU_CYCLE_1)
	s_add_co_i32 s4, s4, s31
	s_load_b32 s30, s[18:19], s4 offset:0x0 scale_offset
.LBB0_4:
	s_wait_xcnt 0x0
	s_bfe_u32 s4, ttmp6, 0x40010
	s_and_b32 s5, ttmp7, 0xffff
	s_add_co_i32 s4, s4, 1
	s_bfe_u32 s6, ttmp6, 0x40004
	s_mul_i32 s4, s5, s4
	v_lshlrev_b32_e32 v29, 2, v63
	s_add_co_i32 s6, s6, s4
	s_cmp_eq_u32 s7, 0
	v_mbcnt_lo_u32_b32 v65, -1, 0
	s_cselect_b32 s31, s5, s6
	s_mov_b32 s4, 0
	s_lshl_b32 s14, s31, 6
	s_wait_kmcnt 0x0
	s_cmp_lt_i32 s14, s30
	s_cbranch_scc1 .LBB0_7
; %bb.5:
	v_mbcnt_lo_u32_b32 v5, -1, 0
	s_delay_alu instid0(VALU_DEP_1)
	v_dual_mov_b32 v4, 32 :: v_dual_bitop2_b32 v70, 16, v5 bitop3:0x14
	v_xor_b32_e32 v69, 8, v5
	v_xor_b32_e32 v68, 4, v5
	;; [unrolled: 1-line block ×4, first 2 shown]
	s_and_not1_b32 vcc_lo, exec_lo, s4
	s_cbranch_vccz .LBB0_8
; %bb.6:
	v_dual_mov_b32 v103, 0 :: v_dual_mov_b32 v31, 0
	v_dual_mov_b32 v3, 0xfeffffff :: v_dual_mov_b32 v2, 0xfeffffff
	;; [unrolled: 1-line block ×3, first 2 shown]
	s_delay_alu instid0(VALU_DEP_3)
	v_dual_mov_b32 v30, v31 :: v_dual_mov_b32 v33, v31
	v_dual_mov_b32 v32, v31 :: v_dual_mov_b32 v106, 0
	;; [unrolled: 1-line block ×9, first 2 shown]
	s_branch .LBB0_11
.LBB0_7:
                                        ; implicit-def: $vgpr5
                                        ; implicit-def: $vgpr4
                                        ; implicit-def: $vgpr70
                                        ; implicit-def: $vgpr69
                                        ; implicit-def: $vgpr68
                                        ; implicit-def: $vgpr67
                                        ; implicit-def: $vgpr66
.LBB0_8:
	s_clause 0x1
	s_load_b64 s[8:9], s[0:1], 0x8c
	s_load_b128 s[4:7], s[0:1], 0x98
	s_mul_f32 s2, s2, 0x4f7ffffe
	s_sub_co_i32 s15, 0, s38
	s_mov_b32 s19, s3
	v_dual_lshrrev_b32 v3, 4, v63 :: v_dual_bitop2_b32 v4, 60, v29 bitop3:0x40
	s_cvt_u32_f32 s18, s2
	s_abs_i32 s2, s33
	s_ashr_i32 s24, s33, 31
	s_ashr_i32 s25, s29, 31
	s_mul_i32 s15, s15, s18
	s_ashr_i32 s29, s28, 31
	s_mul_hi_u32 s15, s18, s15
	s_xor_b32 s25, s24, s25
	s_add_co_i32 s18, s18, s15
	s_ashr_i32 s15, s37, 1
	s_mul_u64 s[18:19], s[2:3], s[18:19]
	v_lshl_add_u32 v3, v1, 1, v3
	s_mul_i32 s3, s19, s38
	s_wait_kmcnt 0x0
	s_ashr_i32 s24, s8, 2
	s_sub_co_i32 s2, s2, s3
	s_ashr_i32 s18, s6, 2
	s_add_co_i32 s3, s19, 1
	s_sub_co_i32 s6, s2, s38
	s_cmp_ge_u32 s2, s38
	v_mul_lo_u32 v34, s24, v3
	s_cselect_b32 s3, s3, s19
	s_cselect_b32 s2, s6, s2
	s_add_co_i32 s6, s3, 1
	s_cmp_ge_u32 s2, s38
	v_mul_lo_u32 v6, s18, v1
	s_cselect_b32 s2, s6, s3
	s_load_b64 s[40:41], s[0:1], 0xa8
	s_xor_b32 s2, s2, s25
	v_mad_u32 v78, v2, s15, v63
	s_sub_co_i32 s6, s2, s25
	s_mul_u64 s[2:3], s[4:5], s[28:29]
	s_mul_i32 s4, s6, s9
	s_add_nc_u64 s[2:3], s[10:11], s[2:3]
	s_lshl_b32 s10, s24, 4
	s_delay_alu instid0(SALU_CYCLE_1)
	v_dual_lshlrev_b32 v5, 2, v4 :: v_dual_add_nc_u32 v36, s10, v34
	s_ashr_i32 s5, s4, 31
	v_mov_b32_e32 v41, 0
	s_add_nc_u64 s[36:37], s[2:3], s[4:5]
	s_lshl_b32 s2, s18, 3
	v_dual_add_nc_u32 v38, s10, v36 :: v_dual_lshlrev_b32 v1, 9, v1
	v_add_nc_u32_e32 v8, s2, v6
	v_mad_u32_u24 v71, 0x110, v3, v5
	v_ashrrev_i32_e32 v7, 31, v6
	s_delay_alu instid0(VALU_DEP_4) | instskip(NEXT) | instid1(VALU_DEP_4)
	v_dual_add_nc_u32 v42, s10, v38 :: v_dual_ashrrev_i32 v39, 31, v38
	v_dual_add_nc_u32 v10, s2, v8 :: v_dual_ashrrev_i32 v9, 31, v8
	v_lshl_add_u32 v77, v29, 2, v1
	s_delay_alu instid0(VALU_DEP_3) | instskip(SKIP_1) | instid1(VALU_DEP_4)
	v_ashrrev_i32_e32 v43, 31, v42
	v_dual_mov_b32 v30, v41 :: v_dual_add_nc_u32 v79, 0x8400, v1
	v_dual_add_nc_u32 v2, s2, v10 :: v_dual_ashrrev_i32 v11, 31, v10
	v_dual_mov_b32 v32, v41 :: v_dual_add_nc_u32 v75, 0x4400, v0
	s_delay_alu instid0(VALU_DEP_2)
	v_dual_mov_b32 v0, 0xfeffffff :: v_dual_ashrrev_i32 v3, 31, v2
	v_lshlrev_b64_e32 v[44:45], 2, v[6:7]
	v_lshlrev_b64_e32 v[48:49], 2, v[8:9]
	;; [unrolled: 1-line block ×3, first 2 shown]
	s_wait_kmcnt 0x0
	s_mul_u64 s[8:9], s[40:41], s[28:29]
	v_lshlrev_b64_e32 v[52:53], 2, v[2:3]
	s_mul_i32 s6, s6, s7
	v_dual_ashrrev_i32 v35, 31, v34 :: v_dual_ashrrev_i32 v37, 31, v36
	v_dual_mov_b32 v47, v41 :: v_dual_add_nc_u32 v72, 0x1100, v71
	v_dual_mov_b32 v92, v41 :: v_dual_add_nc_u32 v73, 0x2200, v71
	;; [unrolled: 1-line block ×3, first 2 shown]
	v_mul_u32_u24_e32 v76, 0x110, v63
	v_dual_mov_b32 v93, v41 :: v_dual_add_nc_u32 v80, 0x1000, v77
	v_dual_mov_b32 v94, v41 :: v_dual_add_nc_u32 v81, 0x2000, v77
	;; [unrolled: 1-line block ×3, first 2 shown]
	v_dual_lshlrev_b32 v40, 2, v4 :: v_dual_bitop2_b32 v70, 16, v65 bitop3:0x14
	v_dual_add_nc_u32 v83, v79, v64 :: v_dual_bitop2_b32 v69, 8, v65 bitop3:0x14
	v_dual_mov_b32 v31, v41 :: v_dual_bitop2_b32 v68, 4, v65 bitop3:0x14
	v_dual_mov_b32 v95, v41 :: v_dual_bitop2_b32 v67, 2, v65 bitop3:0x14
	;; [unrolled: 1-line block ×3, first 2 shown]
	v_dual_mov_b32 v1, 0xfeffffff :: v_dual_lshlrev_b32 v46, 2, v29
	v_dual_mov_b32 v101, v41 :: v_dual_add_nc_u32 v84, 0x800, v64
	v_dual_mov_b32 v98, v41 :: v_dual_add_nc_u32 v85, 0x1000, v64
	;; [unrolled: 1-line block ×7, first 2 shown]
	v_dual_mov_b32 v2, 0xfeffffff :: v_dual_mov_b32 v3, 0xfeffffff
	v_dual_mov_b32 v102, v41 :: v_dual_mov_b32 v104, v41
	v_mov_b32_e32 v106, v41
	s_add_nc_u64 s[8:9], s[12:13], s[8:9]
	s_ashr_i32 s7, s6, 31
	s_ashr_i32 s25, s24, 31
	s_add_nc_u64 s[38:39], s[8:9], s[6:7]
	s_ashr_i32 s19, s18, 31
	s_add_nc_u64 s[40:41], s[0:1], 0xd0
.LBB0_9:                                ; =>This Inner Loop Header: Depth=1
	s_ashr_i32 s15, s14, 31
	v_dual_mov_b32 v26, 0 :: v_dual_mov_b32 v27, 0
	s_mul_u64 s[2:3], s[14:15], s[24:25]
	v_dual_mov_b32 v54, 0 :: v_dual_mov_b32 v55, 0
	s_lshl_b64 s[2:3], s[2:3], 2
	v_dual_mov_b32 v56, 0 :: v_dual_mov_b32 v57, 0
	s_add_nc_u64 s[6:7], s[36:37], s[2:3]
	v_dual_mov_b32 v58, 0 :: v_dual_mov_b32 v59, 0
	v_lshl_add_u64 v[6:7], v[34:35], 2, s[6:7]
	v_lshl_add_u64 v[10:11], v[36:37], 2, s[6:7]
	;; [unrolled: 1-line block ×4, first 2 shown]
	v_cmp_gt_i32_e32 vcc_lo, 32, v70
	v_add_nc_u64_e32 v[8:9], v[6:7], v[40:41]
	v_add_nc_u64_e32 v[10:11], v[10:11], v[40:41]
	;; [unrolled: 1-line block ×4, first 2 shown]
	s_clause 0x3
	global_load_b128 v[108:111], v[8:9], off
	global_load_b128 v[112:115], v[10:11], off
	;; [unrolled: 1-line block ×4, first 2 shown]
	v_dual_mov_b32 v16, v0 :: v_dual_mov_b32 v17, v1
	v_cndmask_b32_e32 v0, v65, v70, vcc_lo
	v_cmp_gt_i32_e32 vcc_lo, 32, v69
	v_dual_add_nc_u32 v20, s14, v78 :: v_dual_mov_b32 v18, v2
	v_mov_b32_e32 v19, v3
	s_mul_u64 s[4:5], s[14:15], s[18:19]
	v_cndmask_b32_e32 v1, v65, v69, vcc_lo
	v_cmp_gt_i32_e32 vcc_lo, 32, v68
	s_lshl_b64 s[4:5], s[4:5], 2
	s_wait_loadcnt 0x3
	ds_store_b128 v71, v[108:111]
	s_wait_loadcnt 0x2
	ds_store_b128 v72, v[112:115]
	;; [unrolled: 2-line block ×4, first 2 shown]
	s_wait_dscnt 0x0
	s_barrier_signal -1
	s_barrier_wait -1
	ds_load_b128 v[108:111], v76
	ds_load_b128 v[112:115], v75
	ds_load_b128 v[116:119], v75 offset:512
	ds_load_b128 v[120:123], v75 offset:1024
	ds_load_b128 v[124:127], v75 offset:1536
	ds_load_b128 v[128:131], v76 offset:8704
	v_cndmask_b32_e32 v2, v65, v68, vcc_lo
	v_cmp_gt_i32_e32 vcc_lo, 32, v67
	s_add_nc_u64 s[2:3], s[38:39], s[4:5]
	v_dual_lshlrev_b32 v25, 2, v0 :: v_dual_lshlrev_b32 v24, 2, v1
	v_add_nc_u64_e32 v[60:61], s[2:3], v[52:53]
	s_wait_dscnt 0x4
	;;#ASMSTART
	v_dot2_f32_f16 v26, v108, v112, v26
	;;#ASMEND
	;;#ASMSTART
	v_dot2_f32_f16 v26, v109, v113, v26
	;;#ASMEND
	;;#ASMSTART
	v_dot2_f32_f16 v26, v110, v114, v26
	;;#ASMEND
	;;#ASMSTART
	v_dot2_f32_f16 v26, v111, v115, v26
	;;#ASMEND
	s_wait_dscnt 0x3
	;;#ASMSTART
	v_dot2_f32_f16 v27, v108, v116, v27
	;;#ASMEND
	;;#ASMSTART
	v_dot2_f32_f16 v27, v109, v117, v27
	;;#ASMEND
	;;#ASMSTART
	v_dot2_f32_f16 v27, v110, v118, v27
	;;#ASMEND
	;;#ASMSTART
	v_dot2_f32_f16 v27, v111, v119, v27
	;;#ASMEND
	;; [unrolled: 13-line block ×5, first 2 shown]
	;;#ASMSTART
	v_dot2_f32_f16 v57, v128, v116, v57
	;;#ASMEND
	;;#ASMSTART
	v_dot2_f32_f16 v57, v129, v117, v57
	;;#ASMEND
	;; [unrolled: 3-line block ×12, first 2 shown]
	ds_load_b128 v[108:111], v76 offset:16
	ds_load_b128 v[112:115], v75 offset:16
	;; [unrolled: 1-line block ×6, first 2 shown]
	s_wait_dscnt 0x4
	;;#ASMSTART
	v_dot2_f32_f16 v26, v108, v112, v26
	;;#ASMEND
	;;#ASMSTART
	v_dot2_f32_f16 v26, v109, v113, v26
	;;#ASMEND
	;;#ASMSTART
	v_dot2_f32_f16 v26, v110, v114, v26
	;;#ASMEND
	;;#ASMSTART
	v_dot2_f32_f16 v26, v111, v115, v26
	;;#ASMEND
	s_wait_dscnt 0x3
	;;#ASMSTART
	v_dot2_f32_f16 v27, v108, v116, v27
	;;#ASMEND
	;;#ASMSTART
	v_dot2_f32_f16 v27, v109, v117, v27
	;;#ASMEND
	;;#ASMSTART
	v_dot2_f32_f16 v27, v110, v118, v27
	;;#ASMEND
	;;#ASMSTART
	v_dot2_f32_f16 v27, v111, v119, v27
	;;#ASMEND
	;; [unrolled: 13-line block ×5, first 2 shown]
	;;#ASMSTART
	v_dot2_f32_f16 v57, v128, v116, v57
	;;#ASMEND
	;;#ASMSTART
	v_dot2_f32_f16 v57, v129, v117, v57
	;;#ASMEND
	;; [unrolled: 3-line block ×12, first 2 shown]
	ds_load_b128 v[108:111], v76 offset:32
	ds_load_b128 v[112:115], v75 offset:32
	ds_load_b128 v[116:119], v75 offset:544
	ds_load_b128 v[120:123], v75 offset:1056
	ds_load_b128 v[124:127], v75 offset:1568
	ds_load_b128 v[128:131], v76 offset:8736
	s_wait_dscnt 0x4
	;;#ASMSTART
	v_dot2_f32_f16 v26, v108, v112, v26
	;;#ASMEND
	;;#ASMSTART
	v_dot2_f32_f16 v26, v109, v113, v26
	;;#ASMEND
	;;#ASMSTART
	v_dot2_f32_f16 v26, v110, v114, v26
	;;#ASMEND
	;;#ASMSTART
	v_dot2_f32_f16 v26, v111, v115, v26
	;;#ASMEND
	s_wait_dscnt 0x3
	;;#ASMSTART
	v_dot2_f32_f16 v27, v108, v116, v27
	;;#ASMEND
	;;#ASMSTART
	v_dot2_f32_f16 v27, v109, v117, v27
	;;#ASMEND
	;;#ASMSTART
	v_dot2_f32_f16 v27, v110, v118, v27
	;;#ASMEND
	;;#ASMSTART
	v_dot2_f32_f16 v27, v111, v119, v27
	;;#ASMEND
	s_wait_dscnt 0x2
	;;#ASMSTART
	v_dot2_f32_f16 v54, v108, v120, v54
	;;#ASMEND
	;;#ASMSTART
	v_dot2_f32_f16 v54, v109, v121, v54
	;;#ASMEND
	;;#ASMSTART
	v_dot2_f32_f16 v54, v110, v122, v54
	;;#ASMEND
	;;#ASMSTART
	v_dot2_f32_f16 v54, v111, v123, v54
	;;#ASMEND
	s_wait_dscnt 0x1
	;;#ASMSTART
	v_dot2_f32_f16 v55, v108, v124, v55
	;;#ASMEND
	;;#ASMSTART
	v_dot2_f32_f16 v55, v109, v125, v55
	;;#ASMEND
	;;#ASMSTART
	v_dot2_f32_f16 v55, v110, v126, v55
	;;#ASMEND
	;;#ASMSTART
	v_dot2_f32_f16 v55, v111, v127, v55
	;;#ASMEND
	s_wait_dscnt 0x0
	;;#ASMSTART
	v_dot2_f32_f16 v56, v128, v112, v56
	;;#ASMEND
	;;#ASMSTART
	v_dot2_f32_f16 v56, v129, v113, v56
	;;#ASMEND
	;;#ASMSTART
	v_dot2_f32_f16 v56, v130, v114, v56
	;;#ASMEND
	;;#ASMSTART
	v_dot2_f32_f16 v56, v131, v115, v56
	;;#ASMEND
	;;#ASMSTART
	v_dot2_f32_f16 v57, v128, v116, v57
	;;#ASMEND
	;;#ASMSTART
	v_dot2_f32_f16 v57, v129, v117, v57
	;;#ASMEND
	;; [unrolled: 3-line block ×12, first 2 shown]
	ds_load_b128 v[108:111], v76 offset:48
	ds_load_b128 v[112:115], v75 offset:48
	;; [unrolled: 1-line block ×6, first 2 shown]
	s_wait_dscnt 0x4
	;;#ASMSTART
	v_dot2_f32_f16 v26, v108, v112, v26
	;;#ASMEND
	;;#ASMSTART
	v_dot2_f32_f16 v26, v109, v113, v26
	;;#ASMEND
	;;#ASMSTART
	v_dot2_f32_f16 v26, v110, v114, v26
	;;#ASMEND
	;;#ASMSTART
	v_dot2_f32_f16 v26, v111, v115, v26
	;;#ASMEND
	s_wait_dscnt 0x3
	;;#ASMSTART
	v_dot2_f32_f16 v27, v108, v116, v27
	;;#ASMEND
	;;#ASMSTART
	v_dot2_f32_f16 v27, v109, v117, v27
	;;#ASMEND
	;;#ASMSTART
	v_dot2_f32_f16 v27, v110, v118, v27
	;;#ASMEND
	;;#ASMSTART
	v_dot2_f32_f16 v27, v111, v119, v27
	;;#ASMEND
	;; [unrolled: 13-line block ×5, first 2 shown]
	;;#ASMSTART
	v_dot2_f32_f16 v57, v128, v116, v57
	;;#ASMEND
	;;#ASMSTART
	v_dot2_f32_f16 v57, v129, v117, v57
	;;#ASMEND
	;; [unrolled: 3-line block ×12, first 2 shown]
	ds_load_b128 v[108:111], v76 offset:64
	ds_load_b128 v[112:115], v75 offset:64
	;; [unrolled: 1-line block ×6, first 2 shown]
	s_wait_dscnt 0x4
	;;#ASMSTART
	v_dot2_f32_f16 v26, v108, v112, v26
	;;#ASMEND
	;;#ASMSTART
	v_dot2_f32_f16 v26, v109, v113, v26
	;;#ASMEND
	;;#ASMSTART
	v_dot2_f32_f16 v26, v110, v114, v26
	;;#ASMEND
	;;#ASMSTART
	v_dot2_f32_f16 v26, v111, v115, v26
	;;#ASMEND
	s_wait_dscnt 0x3
	;;#ASMSTART
	v_dot2_f32_f16 v27, v108, v116, v27
	;;#ASMEND
	;;#ASMSTART
	v_dot2_f32_f16 v27, v109, v117, v27
	;;#ASMEND
	;;#ASMSTART
	v_dot2_f32_f16 v27, v110, v118, v27
	;;#ASMEND
	;;#ASMSTART
	v_dot2_f32_f16 v27, v111, v119, v27
	;;#ASMEND
	;; [unrolled: 13-line block ×5, first 2 shown]
	;;#ASMSTART
	v_dot2_f32_f16 v57, v128, v116, v57
	;;#ASMEND
	;;#ASMSTART
	v_dot2_f32_f16 v57, v129, v117, v57
	;;#ASMEND
	;; [unrolled: 3-line block ×12, first 2 shown]
	ds_load_b128 v[108:111], v76 offset:80
	ds_load_b128 v[112:115], v75 offset:80
	;; [unrolled: 1-line block ×6, first 2 shown]
	s_wait_dscnt 0x4
	;;#ASMSTART
	v_dot2_f32_f16 v26, v108, v112, v26
	;;#ASMEND
	;;#ASMSTART
	v_dot2_f32_f16 v26, v109, v113, v26
	;;#ASMEND
	;;#ASMSTART
	v_dot2_f32_f16 v26, v110, v114, v26
	;;#ASMEND
	;;#ASMSTART
	v_dot2_f32_f16 v26, v111, v115, v26
	;;#ASMEND
	s_wait_dscnt 0x3
	;;#ASMSTART
	v_dot2_f32_f16 v27, v108, v116, v27
	;;#ASMEND
	;;#ASMSTART
	v_dot2_f32_f16 v27, v109, v117, v27
	;;#ASMEND
	;;#ASMSTART
	v_dot2_f32_f16 v27, v110, v118, v27
	;;#ASMEND
	;;#ASMSTART
	v_dot2_f32_f16 v27, v111, v119, v27
	;;#ASMEND
	;; [unrolled: 13-line block ×5, first 2 shown]
	;;#ASMSTART
	v_dot2_f32_f16 v57, v128, v116, v57
	;;#ASMEND
	;;#ASMSTART
	v_dot2_f32_f16 v57, v129, v117, v57
	;;#ASMEND
	;; [unrolled: 3-line block ×12, first 2 shown]
	ds_load_b128 v[108:111], v76 offset:96
	ds_load_b128 v[112:115], v75 offset:96
	;; [unrolled: 1-line block ×6, first 2 shown]
	s_wait_dscnt 0x4
	;;#ASMSTART
	v_dot2_f32_f16 v26, v108, v112, v26
	;;#ASMEND
	;;#ASMSTART
	v_dot2_f32_f16 v26, v109, v113, v26
	;;#ASMEND
	;;#ASMSTART
	v_dot2_f32_f16 v26, v110, v114, v26
	;;#ASMEND
	;;#ASMSTART
	v_dot2_f32_f16 v26, v111, v115, v26
	;;#ASMEND
	s_wait_dscnt 0x3
	;;#ASMSTART
	v_dot2_f32_f16 v27, v108, v116, v27
	;;#ASMEND
	;;#ASMSTART
	v_dot2_f32_f16 v27, v109, v117, v27
	;;#ASMEND
	;;#ASMSTART
	v_dot2_f32_f16 v27, v110, v118, v27
	;;#ASMEND
	;;#ASMSTART
	v_dot2_f32_f16 v27, v111, v119, v27
	;;#ASMEND
	;; [unrolled: 13-line block ×5, first 2 shown]
	;;#ASMSTART
	v_dot2_f32_f16 v57, v128, v116, v57
	;;#ASMEND
	;;#ASMSTART
	v_dot2_f32_f16 v57, v129, v117, v57
	;;#ASMEND
	;; [unrolled: 3-line block ×12, first 2 shown]
	ds_load_b128 v[108:111], v76 offset:112
	ds_load_b128 v[112:115], v75 offset:112
	;; [unrolled: 1-line block ×6, first 2 shown]
	s_wait_dscnt 0x4
	;;#ASMSTART
	v_dot2_f32_f16 v26, v108, v112, v26
	;;#ASMEND
	;;#ASMSTART
	v_dot2_f32_f16 v26, v109, v113, v26
	;;#ASMEND
	;;#ASMSTART
	v_dot2_f32_f16 v26, v110, v114, v26
	;;#ASMEND
	;;#ASMSTART
	v_dot2_f32_f16 v26, v111, v115, v26
	;;#ASMEND
	s_wait_dscnt 0x3
	;;#ASMSTART
	v_dot2_f32_f16 v27, v108, v116, v27
	;;#ASMEND
	;;#ASMSTART
	v_dot2_f32_f16 v27, v109, v117, v27
	;;#ASMEND
	;;#ASMSTART
	v_dot2_f32_f16 v27, v110, v118, v27
	;;#ASMEND
	;;#ASMSTART
	v_dot2_f32_f16 v27, v111, v119, v27
	;;#ASMEND
	;; [unrolled: 13-line block ×5, first 2 shown]
	;;#ASMSTART
	v_dot2_f32_f16 v57, v128, v116, v57
	;;#ASMEND
	;;#ASMSTART
	v_dot2_f32_f16 v57, v129, v117, v57
	;;#ASMEND
	;;#ASMSTART
	v_dot2_f32_f16 v57, v130, v118, v57
	;;#ASMEND
	;;#ASMSTART
	v_dot2_f32_f16 v57, v131, v119, v57
	;;#ASMEND
	;;#ASMSTART
	v_dot2_f32_f16 v58, v128, v120, v58
	;;#ASMEND
	;;#ASMSTART
	v_dot2_f32_f16 v58, v129, v121, v58
	;;#ASMEND
	;;#ASMSTART
	v_dot2_f32_f16 v58, v130, v122, v58
	;;#ASMEND
	;;#ASMSTART
	v_dot2_f32_f16 v58, v131, v123, v58
	;;#ASMEND
	;;#ASMSTART
	v_dot2_f32_f16 v59, v128, v124, v59
	;;#ASMEND
	;;#ASMSTART
	v_dot2_f32_f16 v59, v129, v125, v59
	;;#ASMEND
	;;#ASMSTART
	v_dot2_f32_f16 v59, v130, v126, v59
	;;#ASMEND
	;;#ASMSTART
	v_dot2_f32_f16 v59, v131, v127, v59
	;;#ASMEND
	ds_load_b128 v[108:111], v76 offset:128
	ds_load_b128 v[112:115], v75 offset:128
	;; [unrolled: 1-line block ×6, first 2 shown]
	s_wait_dscnt 0x4
	;;#ASMSTART
	v_dot2_f32_f16 v26, v108, v112, v26
	;;#ASMEND
	;;#ASMSTART
	v_dot2_f32_f16 v26, v109, v113, v26
	;;#ASMEND
	;;#ASMSTART
	v_dot2_f32_f16 v26, v110, v114, v26
	;;#ASMEND
	;;#ASMSTART
	v_dot2_f32_f16 v26, v111, v115, v26
	;;#ASMEND
	s_wait_dscnt 0x3
	;;#ASMSTART
	v_dot2_f32_f16 v27, v108, v116, v27
	;;#ASMEND
	;;#ASMSTART
	v_dot2_f32_f16 v27, v109, v117, v27
	;;#ASMEND
	;;#ASMSTART
	v_dot2_f32_f16 v27, v110, v118, v27
	;;#ASMEND
	;;#ASMSTART
	v_dot2_f32_f16 v27, v111, v119, v27
	;;#ASMEND
	;; [unrolled: 13-line block ×5, first 2 shown]
	;;#ASMSTART
	v_dot2_f32_f16 v57, v128, v116, v57
	;;#ASMEND
	;;#ASMSTART
	v_dot2_f32_f16 v57, v129, v117, v57
	;;#ASMEND
	;; [unrolled: 3-line block ×12, first 2 shown]
	ds_load_b128 v[108:111], v76 offset:144
	ds_load_b128 v[112:115], v75 offset:144
	ds_load_b128 v[116:119], v75 offset:656
	ds_load_b128 v[120:123], v75 offset:1168
	ds_load_b128 v[124:127], v75 offset:1680
	ds_load_b128 v[128:131], v76 offset:8848
	s_wait_dscnt 0x4
	;;#ASMSTART
	v_dot2_f32_f16 v26, v108, v112, v26
	;;#ASMEND
	;;#ASMSTART
	v_dot2_f32_f16 v26, v109, v113, v26
	;;#ASMEND
	;;#ASMSTART
	v_dot2_f32_f16 v26, v110, v114, v26
	;;#ASMEND
	;;#ASMSTART
	v_dot2_f32_f16 v26, v111, v115, v26
	;;#ASMEND
	s_wait_dscnt 0x3
	;;#ASMSTART
	v_dot2_f32_f16 v27, v108, v116, v27
	;;#ASMEND
	;;#ASMSTART
	v_dot2_f32_f16 v27, v109, v117, v27
	;;#ASMEND
	;;#ASMSTART
	v_dot2_f32_f16 v27, v110, v118, v27
	;;#ASMEND
	;;#ASMSTART
	v_dot2_f32_f16 v27, v111, v119, v27
	;;#ASMEND
	;; [unrolled: 13-line block ×5, first 2 shown]
	;;#ASMSTART
	v_dot2_f32_f16 v57, v128, v116, v57
	;;#ASMEND
	;;#ASMSTART
	v_dot2_f32_f16 v57, v129, v117, v57
	;;#ASMEND
	;; [unrolled: 3-line block ×12, first 2 shown]
	ds_load_b128 v[108:111], v76 offset:160
	ds_load_b128 v[112:115], v75 offset:160
	;; [unrolled: 1-line block ×6, first 2 shown]
	s_wait_dscnt 0x4
	;;#ASMSTART
	v_dot2_f32_f16 v26, v108, v112, v26
	;;#ASMEND
	;;#ASMSTART
	v_dot2_f32_f16 v26, v109, v113, v26
	;;#ASMEND
	;;#ASMSTART
	v_dot2_f32_f16 v26, v110, v114, v26
	;;#ASMEND
	;;#ASMSTART
	v_dot2_f32_f16 v26, v111, v115, v26
	;;#ASMEND
	s_wait_dscnt 0x3
	;;#ASMSTART
	v_dot2_f32_f16 v27, v108, v116, v27
	;;#ASMEND
	;;#ASMSTART
	v_dot2_f32_f16 v27, v109, v117, v27
	;;#ASMEND
	;;#ASMSTART
	v_dot2_f32_f16 v27, v110, v118, v27
	;;#ASMEND
	;;#ASMSTART
	v_dot2_f32_f16 v27, v111, v119, v27
	;;#ASMEND
	s_wait_dscnt 0x2
	;;#ASMSTART
	v_dot2_f32_f16 v54, v108, v120, v54
	;;#ASMEND
	;;#ASMSTART
	v_dot2_f32_f16 v54, v109, v121, v54
	;;#ASMEND
	;;#ASMSTART
	v_dot2_f32_f16 v54, v110, v122, v54
	;;#ASMEND
	;;#ASMSTART
	v_dot2_f32_f16 v54, v111, v123, v54
	;;#ASMEND
	s_wait_dscnt 0x1
	;;#ASMSTART
	v_dot2_f32_f16 v55, v108, v124, v55
	;;#ASMEND
	;;#ASMSTART
	v_dot2_f32_f16 v55, v109, v125, v55
	;;#ASMEND
	;;#ASMSTART
	v_dot2_f32_f16 v55, v110, v126, v55
	;;#ASMEND
	;;#ASMSTART
	v_dot2_f32_f16 v55, v111, v127, v55
	;;#ASMEND
	s_wait_dscnt 0x0
	;;#ASMSTART
	v_dot2_f32_f16 v56, v128, v112, v56
	;;#ASMEND
	;;#ASMSTART
	v_dot2_f32_f16 v56, v129, v113, v56
	;;#ASMEND
	;;#ASMSTART
	v_dot2_f32_f16 v56, v130, v114, v56
	;;#ASMEND
	;;#ASMSTART
	v_dot2_f32_f16 v56, v131, v115, v56
	;;#ASMEND
	;;#ASMSTART
	v_dot2_f32_f16 v57, v128, v116, v57
	;;#ASMEND
	;;#ASMSTART
	v_dot2_f32_f16 v57, v129, v117, v57
	;;#ASMEND
	;; [unrolled: 3-line block ×12, first 2 shown]
	ds_load_b128 v[108:111], v76 offset:176
	ds_load_b128 v[112:115], v75 offset:176
	;; [unrolled: 1-line block ×6, first 2 shown]
	s_wait_dscnt 0x4
	;;#ASMSTART
	v_dot2_f32_f16 v26, v108, v112, v26
	;;#ASMEND
	;;#ASMSTART
	v_dot2_f32_f16 v26, v109, v113, v26
	;;#ASMEND
	;;#ASMSTART
	v_dot2_f32_f16 v26, v110, v114, v26
	;;#ASMEND
	;;#ASMSTART
	v_dot2_f32_f16 v26, v111, v115, v26
	;;#ASMEND
	s_wait_dscnt 0x3
	;;#ASMSTART
	v_dot2_f32_f16 v27, v108, v116, v27
	;;#ASMEND
	;;#ASMSTART
	v_dot2_f32_f16 v27, v109, v117, v27
	;;#ASMEND
	;;#ASMSTART
	v_dot2_f32_f16 v27, v110, v118, v27
	;;#ASMEND
	;;#ASMSTART
	v_dot2_f32_f16 v27, v111, v119, v27
	;;#ASMEND
	;; [unrolled: 13-line block ×5, first 2 shown]
	;;#ASMSTART
	v_dot2_f32_f16 v57, v128, v116, v57
	;;#ASMEND
	;;#ASMSTART
	v_dot2_f32_f16 v57, v129, v117, v57
	;;#ASMEND
	;; [unrolled: 3-line block ×12, first 2 shown]
	ds_load_b128 v[108:111], v76 offset:192
	ds_load_b128 v[112:115], v75 offset:192
	;; [unrolled: 1-line block ×6, first 2 shown]
	s_wait_dscnt 0x4
	;;#ASMSTART
	v_dot2_f32_f16 v26, v108, v112, v26
	;;#ASMEND
	;;#ASMSTART
	v_dot2_f32_f16 v26, v109, v113, v26
	;;#ASMEND
	;;#ASMSTART
	v_dot2_f32_f16 v26, v110, v114, v26
	;;#ASMEND
	;;#ASMSTART
	v_dot2_f32_f16 v26, v111, v115, v26
	;;#ASMEND
	s_wait_dscnt 0x3
	;;#ASMSTART
	v_dot2_f32_f16 v27, v108, v116, v27
	;;#ASMEND
	;;#ASMSTART
	v_dot2_f32_f16 v27, v109, v117, v27
	;;#ASMEND
	;;#ASMSTART
	v_dot2_f32_f16 v27, v110, v118, v27
	;;#ASMEND
	;;#ASMSTART
	v_dot2_f32_f16 v27, v111, v119, v27
	;;#ASMEND
	;; [unrolled: 13-line block ×5, first 2 shown]
	;;#ASMSTART
	v_dot2_f32_f16 v57, v128, v116, v57
	;;#ASMEND
	;;#ASMSTART
	v_dot2_f32_f16 v57, v129, v117, v57
	;;#ASMEND
	;; [unrolled: 3-line block ×12, first 2 shown]
	ds_load_b128 v[108:111], v76 offset:208
	ds_load_b128 v[112:115], v75 offset:208
	;; [unrolled: 1-line block ×6, first 2 shown]
	s_wait_dscnt 0x4
	;;#ASMSTART
	v_dot2_f32_f16 v26, v108, v112, v26
	;;#ASMEND
	;;#ASMSTART
	v_dot2_f32_f16 v26, v109, v113, v26
	;;#ASMEND
	;;#ASMSTART
	v_dot2_f32_f16 v26, v110, v114, v26
	;;#ASMEND
	;;#ASMSTART
	v_dot2_f32_f16 v26, v111, v115, v26
	;;#ASMEND
	s_wait_dscnt 0x3
	;;#ASMSTART
	v_dot2_f32_f16 v27, v108, v116, v27
	;;#ASMEND
	;;#ASMSTART
	v_dot2_f32_f16 v27, v109, v117, v27
	;;#ASMEND
	;;#ASMSTART
	v_dot2_f32_f16 v27, v110, v118, v27
	;;#ASMEND
	;;#ASMSTART
	v_dot2_f32_f16 v27, v111, v119, v27
	;;#ASMEND
	;; [unrolled: 13-line block ×5, first 2 shown]
	;;#ASMSTART
	v_dot2_f32_f16 v57, v128, v116, v57
	;;#ASMEND
	;;#ASMSTART
	v_dot2_f32_f16 v57, v129, v117, v57
	;;#ASMEND
	;; [unrolled: 3-line block ×12, first 2 shown]
	ds_load_b128 v[108:111], v76 offset:224
	ds_load_b128 v[112:115], v75 offset:224
	;; [unrolled: 1-line block ×6, first 2 shown]
	s_wait_dscnt 0x4
	;;#ASMSTART
	v_dot2_f32_f16 v26, v108, v112, v26
	;;#ASMEND
	;;#ASMSTART
	v_dot2_f32_f16 v26, v109, v113, v26
	;;#ASMEND
	;;#ASMSTART
	v_dot2_f32_f16 v26, v110, v114, v26
	;;#ASMEND
	;;#ASMSTART
	v_dot2_f32_f16 v26, v111, v115, v26
	;;#ASMEND
	s_wait_dscnt 0x3
	;;#ASMSTART
	v_dot2_f32_f16 v27, v108, v116, v27
	;;#ASMEND
	;;#ASMSTART
	v_dot2_f32_f16 v27, v109, v117, v27
	;;#ASMEND
	;;#ASMSTART
	v_dot2_f32_f16 v27, v110, v118, v27
	;;#ASMEND
	;;#ASMSTART
	v_dot2_f32_f16 v27, v111, v119, v27
	;;#ASMEND
	;; [unrolled: 13-line block ×5, first 2 shown]
	;;#ASMSTART
	v_dot2_f32_f16 v57, v128, v116, v57
	;;#ASMEND
	;;#ASMSTART
	v_dot2_f32_f16 v57, v129, v117, v57
	;;#ASMEND
	;; [unrolled: 3-line block ×12, first 2 shown]
	ds_load_b128 v[108:111], v76 offset:240
	ds_load_b128 v[112:115], v75 offset:240
	;; [unrolled: 1-line block ×6, first 2 shown]
	s_wait_dscnt 0x4
	;;#ASMSTART
	v_dot2_f32_f16 v26, v108, v112, v26
	;;#ASMEND
	;;#ASMSTART
	v_dot2_f32_f16 v26, v109, v113, v26
	;;#ASMEND
	;;#ASMSTART
	v_dot2_f32_f16 v26, v110, v114, v26
	;;#ASMEND
	;;#ASMSTART
	v_dot2_f32_f16 v26, v111, v115, v26
	;;#ASMEND
	s_wait_dscnt 0x3
	;;#ASMSTART
	v_dot2_f32_f16 v27, v108, v116, v27
	;;#ASMEND
	;;#ASMSTART
	v_dot2_f32_f16 v27, v109, v117, v27
	;;#ASMEND
	;;#ASMSTART
	v_dot2_f32_f16 v27, v110, v118, v27
	;;#ASMEND
	;;#ASMSTART
	v_dot2_f32_f16 v27, v111, v119, v27
	;;#ASMEND
	;; [unrolled: 13-line block ×5, first 2 shown]
	;;#ASMSTART
	v_dot2_f32_f16 v57, v128, v116, v57
	;;#ASMEND
	;;#ASMSTART
	v_dot2_f32_f16 v57, v129, v117, v57
	;;#ASMEND
	;; [unrolled: 3-line block ×12, first 2 shown]
	s_barrier_signal -1
	s_barrier_wait -1
	s_clause 0x3
	global_load_b128 v[108:111], v[8:9], off offset:256
	global_load_b128 v[112:115], v[10:11], off offset:256
	global_load_b128 v[116:119], v[12:13], off offset:256
	global_load_b128 v[120:123], v[14:15], off offset:256
	v_cndmask_b32_e32 v3, v65, v67, vcc_lo
	v_cmp_gt_i32_e32 vcc_lo, 32, v66
	v_add_nc_u64_e32 v[0:1], s[2:3], v[44:45]
	s_wait_loadcnt 0x3
	ds_store_b128 v71, v[108:111]
	s_wait_loadcnt 0x2
	ds_store_b128 v72, v[112:115]
	;; [unrolled: 2-line block ×4, first 2 shown]
	s_wait_dscnt 0x0
	s_barrier_signal -1
	s_barrier_wait -1
	ds_load_b128 v[8:11], v76
	ds_load_b128 v[12:15], v75 offset:256
	ds_load_b128 v[108:111], v75 offset:768
	;; [unrolled: 1-line block ×5, first 2 shown]
	s_wait_dscnt 0x4
	;;#ASMSTART
	v_dot2_f32_f16 v26, v8, v12, v26
	;;#ASMEND
	;;#ASMSTART
	v_dot2_f32_f16 v26, v9, v13, v26
	;;#ASMEND
	;;#ASMSTART
	v_dot2_f32_f16 v26, v10, v14, v26
	;;#ASMEND
	;;#ASMSTART
	v_dot2_f32_f16 v26, v11, v15, v26
	;;#ASMEND
	s_wait_dscnt 0x3
	;;#ASMSTART
	v_dot2_f32_f16 v27, v8, v108, v27
	;;#ASMEND
	;;#ASMSTART
	v_dot2_f32_f16 v27, v9, v109, v27
	;;#ASMEND
	;;#ASMSTART
	v_dot2_f32_f16 v27, v10, v110, v27
	;;#ASMEND
	;;#ASMSTART
	v_dot2_f32_f16 v27, v11, v111, v27
	;;#ASMEND
	;; [unrolled: 13-line block ×5, first 2 shown]
	;;#ASMSTART
	v_dot2_f32_f16 v57, v120, v108, v57
	;;#ASMEND
	;;#ASMSTART
	v_dot2_f32_f16 v57, v121, v109, v57
	;;#ASMEND
	;; [unrolled: 3-line block ×12, first 2 shown]
	ds_load_b128 v[8:11], v76 offset:16
	ds_load_b128 v[12:15], v75 offset:272
	;; [unrolled: 1-line block ×6, first 2 shown]
	s_wait_dscnt 0x4
	;;#ASMSTART
	v_dot2_f32_f16 v26, v8, v12, v26
	;;#ASMEND
	;;#ASMSTART
	v_dot2_f32_f16 v26, v9, v13, v26
	;;#ASMEND
	;;#ASMSTART
	v_dot2_f32_f16 v26, v10, v14, v26
	;;#ASMEND
	;;#ASMSTART
	v_dot2_f32_f16 v26, v11, v15, v26
	;;#ASMEND
	s_wait_dscnt 0x3
	;;#ASMSTART
	v_dot2_f32_f16 v27, v8, v108, v27
	;;#ASMEND
	;;#ASMSTART
	v_dot2_f32_f16 v27, v9, v109, v27
	;;#ASMEND
	;;#ASMSTART
	v_dot2_f32_f16 v27, v10, v110, v27
	;;#ASMEND
	;;#ASMSTART
	v_dot2_f32_f16 v27, v11, v111, v27
	;;#ASMEND
	;; [unrolled: 13-line block ×5, first 2 shown]
	;;#ASMSTART
	v_dot2_f32_f16 v57, v120, v108, v57
	;;#ASMEND
	;;#ASMSTART
	v_dot2_f32_f16 v57, v121, v109, v57
	;;#ASMEND
	;; [unrolled: 3-line block ×12, first 2 shown]
	ds_load_b128 v[8:11], v76 offset:32
	ds_load_b128 v[12:15], v75 offset:288
	;; [unrolled: 1-line block ×6, first 2 shown]
	s_wait_dscnt 0x4
	;;#ASMSTART
	v_dot2_f32_f16 v26, v8, v12, v26
	;;#ASMEND
	;;#ASMSTART
	v_dot2_f32_f16 v26, v9, v13, v26
	;;#ASMEND
	;;#ASMSTART
	v_dot2_f32_f16 v26, v10, v14, v26
	;;#ASMEND
	;;#ASMSTART
	v_dot2_f32_f16 v26, v11, v15, v26
	;;#ASMEND
	s_wait_dscnt 0x3
	;;#ASMSTART
	v_dot2_f32_f16 v27, v8, v108, v27
	;;#ASMEND
	;;#ASMSTART
	v_dot2_f32_f16 v27, v9, v109, v27
	;;#ASMEND
	;;#ASMSTART
	v_dot2_f32_f16 v27, v10, v110, v27
	;;#ASMEND
	;;#ASMSTART
	v_dot2_f32_f16 v27, v11, v111, v27
	;;#ASMEND
	;; [unrolled: 13-line block ×5, first 2 shown]
	;;#ASMSTART
	v_dot2_f32_f16 v57, v120, v108, v57
	;;#ASMEND
	;;#ASMSTART
	v_dot2_f32_f16 v57, v121, v109, v57
	;;#ASMEND
	;; [unrolled: 3-line block ×12, first 2 shown]
	ds_load_b128 v[8:11], v76 offset:48
	ds_load_b128 v[12:15], v75 offset:304
	ds_load_b128 v[108:111], v75 offset:816
	ds_load_b128 v[112:115], v75 offset:1328
	ds_load_b128 v[116:119], v75 offset:1840
	ds_load_b128 v[120:123], v76 offset:8752
	s_wait_dscnt 0x4
	;;#ASMSTART
	v_dot2_f32_f16 v26, v8, v12, v26
	;;#ASMEND
	;;#ASMSTART
	v_dot2_f32_f16 v26, v9, v13, v26
	;;#ASMEND
	;;#ASMSTART
	v_dot2_f32_f16 v26, v10, v14, v26
	;;#ASMEND
	;;#ASMSTART
	v_dot2_f32_f16 v26, v11, v15, v26
	;;#ASMEND
	s_wait_dscnt 0x3
	;;#ASMSTART
	v_dot2_f32_f16 v27, v8, v108, v27
	;;#ASMEND
	;;#ASMSTART
	v_dot2_f32_f16 v27, v9, v109, v27
	;;#ASMEND
	;;#ASMSTART
	v_dot2_f32_f16 v27, v10, v110, v27
	;;#ASMEND
	;;#ASMSTART
	v_dot2_f32_f16 v27, v11, v111, v27
	;;#ASMEND
	;; [unrolled: 13-line block ×5, first 2 shown]
	;;#ASMSTART
	v_dot2_f32_f16 v57, v120, v108, v57
	;;#ASMEND
	;;#ASMSTART
	v_dot2_f32_f16 v57, v121, v109, v57
	;;#ASMEND
	;; [unrolled: 3-line block ×12, first 2 shown]
	ds_load_b128 v[8:11], v76 offset:64
	ds_load_b128 v[12:15], v75 offset:320
	;; [unrolled: 1-line block ×6, first 2 shown]
	s_wait_dscnt 0x4
	;;#ASMSTART
	v_dot2_f32_f16 v26, v8, v12, v26
	;;#ASMEND
	;;#ASMSTART
	v_dot2_f32_f16 v26, v9, v13, v26
	;;#ASMEND
	;;#ASMSTART
	v_dot2_f32_f16 v26, v10, v14, v26
	;;#ASMEND
	;;#ASMSTART
	v_dot2_f32_f16 v26, v11, v15, v26
	;;#ASMEND
	s_wait_dscnt 0x3
	;;#ASMSTART
	v_dot2_f32_f16 v27, v8, v108, v27
	;;#ASMEND
	;;#ASMSTART
	v_dot2_f32_f16 v27, v9, v109, v27
	;;#ASMEND
	;;#ASMSTART
	v_dot2_f32_f16 v27, v10, v110, v27
	;;#ASMEND
	;;#ASMSTART
	v_dot2_f32_f16 v27, v11, v111, v27
	;;#ASMEND
	;; [unrolled: 13-line block ×5, first 2 shown]
	;;#ASMSTART
	v_dot2_f32_f16 v57, v120, v108, v57
	;;#ASMEND
	;;#ASMSTART
	v_dot2_f32_f16 v57, v121, v109, v57
	;;#ASMEND
	;; [unrolled: 3-line block ×12, first 2 shown]
	ds_load_b128 v[8:11], v76 offset:80
	ds_load_b128 v[12:15], v75 offset:336
	;; [unrolled: 1-line block ×6, first 2 shown]
	s_wait_dscnt 0x4
	;;#ASMSTART
	v_dot2_f32_f16 v26, v8, v12, v26
	;;#ASMEND
	;;#ASMSTART
	v_dot2_f32_f16 v26, v9, v13, v26
	;;#ASMEND
	;;#ASMSTART
	v_dot2_f32_f16 v26, v10, v14, v26
	;;#ASMEND
	;;#ASMSTART
	v_dot2_f32_f16 v26, v11, v15, v26
	;;#ASMEND
	s_wait_dscnt 0x3
	;;#ASMSTART
	v_dot2_f32_f16 v27, v8, v108, v27
	;;#ASMEND
	;;#ASMSTART
	v_dot2_f32_f16 v27, v9, v109, v27
	;;#ASMEND
	;;#ASMSTART
	v_dot2_f32_f16 v27, v10, v110, v27
	;;#ASMEND
	;;#ASMSTART
	v_dot2_f32_f16 v27, v11, v111, v27
	;;#ASMEND
	;; [unrolled: 13-line block ×5, first 2 shown]
	;;#ASMSTART
	v_dot2_f32_f16 v57, v120, v108, v57
	;;#ASMEND
	;;#ASMSTART
	v_dot2_f32_f16 v57, v121, v109, v57
	;;#ASMEND
	;;#ASMSTART
	v_dot2_f32_f16 v57, v122, v110, v57
	;;#ASMEND
	;;#ASMSTART
	v_dot2_f32_f16 v57, v123, v111, v57
	;;#ASMEND
	;;#ASMSTART
	v_dot2_f32_f16 v58, v120, v112, v58
	;;#ASMEND
	;;#ASMSTART
	v_dot2_f32_f16 v58, v121, v113, v58
	;;#ASMEND
	;;#ASMSTART
	v_dot2_f32_f16 v58, v122, v114, v58
	;;#ASMEND
	;;#ASMSTART
	v_dot2_f32_f16 v58, v123, v115, v58
	;;#ASMEND
	;;#ASMSTART
	v_dot2_f32_f16 v59, v120, v116, v59
	;;#ASMEND
	;;#ASMSTART
	v_dot2_f32_f16 v59, v121, v117, v59
	;;#ASMEND
	;;#ASMSTART
	v_dot2_f32_f16 v59, v122, v118, v59
	;;#ASMEND
	;;#ASMSTART
	v_dot2_f32_f16 v59, v123, v119, v59
	;;#ASMEND
	ds_load_b128 v[8:11], v76 offset:96
	ds_load_b128 v[12:15], v75 offset:352
	;; [unrolled: 1-line block ×6, first 2 shown]
	s_wait_dscnt 0x4
	;;#ASMSTART
	v_dot2_f32_f16 v26, v8, v12, v26
	;;#ASMEND
	;;#ASMSTART
	v_dot2_f32_f16 v26, v9, v13, v26
	;;#ASMEND
	;;#ASMSTART
	v_dot2_f32_f16 v26, v10, v14, v26
	;;#ASMEND
	;;#ASMSTART
	v_dot2_f32_f16 v26, v11, v15, v26
	;;#ASMEND
	s_wait_dscnt 0x3
	;;#ASMSTART
	v_dot2_f32_f16 v27, v8, v108, v27
	;;#ASMEND
	;;#ASMSTART
	v_dot2_f32_f16 v27, v9, v109, v27
	;;#ASMEND
	;;#ASMSTART
	v_dot2_f32_f16 v27, v10, v110, v27
	;;#ASMEND
	;;#ASMSTART
	v_dot2_f32_f16 v27, v11, v111, v27
	;;#ASMEND
	;; [unrolled: 13-line block ×5, first 2 shown]
	;;#ASMSTART
	v_dot2_f32_f16 v57, v120, v108, v57
	;;#ASMEND
	;;#ASMSTART
	v_dot2_f32_f16 v57, v121, v109, v57
	;;#ASMEND
	;; [unrolled: 3-line block ×12, first 2 shown]
	ds_load_b128 v[8:11], v76 offset:112
	ds_load_b128 v[12:15], v75 offset:368
	ds_load_b128 v[108:111], v75 offset:880
	ds_load_b128 v[112:115], v75 offset:1392
	ds_load_b128 v[116:119], v75 offset:1904
	ds_load_b128 v[120:123], v76 offset:8816
	s_wait_dscnt 0x4
	;;#ASMSTART
	v_dot2_f32_f16 v26, v8, v12, v26
	;;#ASMEND
	;;#ASMSTART
	v_dot2_f32_f16 v26, v9, v13, v26
	;;#ASMEND
	;;#ASMSTART
	v_dot2_f32_f16 v26, v10, v14, v26
	;;#ASMEND
	;;#ASMSTART
	v_dot2_f32_f16 v26, v11, v15, v26
	;;#ASMEND
	s_wait_dscnt 0x3
	;;#ASMSTART
	v_dot2_f32_f16 v27, v8, v108, v27
	;;#ASMEND
	;;#ASMSTART
	v_dot2_f32_f16 v27, v9, v109, v27
	;;#ASMEND
	;;#ASMSTART
	v_dot2_f32_f16 v27, v10, v110, v27
	;;#ASMEND
	;;#ASMSTART
	v_dot2_f32_f16 v27, v11, v111, v27
	;;#ASMEND
	;; [unrolled: 13-line block ×5, first 2 shown]
	;;#ASMSTART
	v_dot2_f32_f16 v57, v120, v108, v57
	;;#ASMEND
	;;#ASMSTART
	v_dot2_f32_f16 v57, v121, v109, v57
	;;#ASMEND
	;; [unrolled: 3-line block ×12, first 2 shown]
	ds_load_b128 v[8:11], v76 offset:128
	ds_load_b128 v[12:15], v75 offset:384
	ds_load_b128 v[108:111], v75 offset:896
	ds_load_b128 v[112:115], v75 offset:1408
	ds_load_b128 v[116:119], v75 offset:1920
	ds_load_b128 v[120:123], v76 offset:8832
	s_wait_dscnt 0x4
	;;#ASMSTART
	v_dot2_f32_f16 v26, v8, v12, v26
	;;#ASMEND
	;;#ASMSTART
	v_dot2_f32_f16 v26, v9, v13, v26
	;;#ASMEND
	;;#ASMSTART
	v_dot2_f32_f16 v26, v10, v14, v26
	;;#ASMEND
	;;#ASMSTART
	v_dot2_f32_f16 v26, v11, v15, v26
	;;#ASMEND
	s_wait_dscnt 0x3
	;;#ASMSTART
	v_dot2_f32_f16 v27, v8, v108, v27
	;;#ASMEND
	;;#ASMSTART
	v_dot2_f32_f16 v27, v9, v109, v27
	;;#ASMEND
	;;#ASMSTART
	v_dot2_f32_f16 v27, v10, v110, v27
	;;#ASMEND
	;;#ASMSTART
	v_dot2_f32_f16 v27, v11, v111, v27
	;;#ASMEND
	;; [unrolled: 13-line block ×5, first 2 shown]
	;;#ASMSTART
	v_dot2_f32_f16 v57, v120, v108, v57
	;;#ASMEND
	;;#ASMSTART
	v_dot2_f32_f16 v57, v121, v109, v57
	;;#ASMEND
	;; [unrolled: 3-line block ×12, first 2 shown]
	ds_load_b128 v[8:11], v76 offset:144
	ds_load_b128 v[12:15], v75 offset:400
	;; [unrolled: 1-line block ×6, first 2 shown]
	s_wait_dscnt 0x4
	;;#ASMSTART
	v_dot2_f32_f16 v26, v8, v12, v26
	;;#ASMEND
	;;#ASMSTART
	v_dot2_f32_f16 v26, v9, v13, v26
	;;#ASMEND
	;;#ASMSTART
	v_dot2_f32_f16 v26, v10, v14, v26
	;;#ASMEND
	;;#ASMSTART
	v_dot2_f32_f16 v26, v11, v15, v26
	;;#ASMEND
	s_wait_dscnt 0x3
	;;#ASMSTART
	v_dot2_f32_f16 v27, v8, v108, v27
	;;#ASMEND
	;;#ASMSTART
	v_dot2_f32_f16 v27, v9, v109, v27
	;;#ASMEND
	;;#ASMSTART
	v_dot2_f32_f16 v27, v10, v110, v27
	;;#ASMEND
	;;#ASMSTART
	v_dot2_f32_f16 v27, v11, v111, v27
	;;#ASMEND
	;; [unrolled: 13-line block ×5, first 2 shown]
	;;#ASMSTART
	v_dot2_f32_f16 v57, v120, v108, v57
	;;#ASMEND
	;;#ASMSTART
	v_dot2_f32_f16 v57, v121, v109, v57
	;;#ASMEND
	;; [unrolled: 3-line block ×12, first 2 shown]
	ds_load_b128 v[8:11], v76 offset:160
	ds_load_b128 v[12:15], v75 offset:416
	;; [unrolled: 1-line block ×6, first 2 shown]
	s_wait_dscnt 0x4
	;;#ASMSTART
	v_dot2_f32_f16 v26, v8, v12, v26
	;;#ASMEND
	;;#ASMSTART
	v_dot2_f32_f16 v26, v9, v13, v26
	;;#ASMEND
	;;#ASMSTART
	v_dot2_f32_f16 v26, v10, v14, v26
	;;#ASMEND
	;;#ASMSTART
	v_dot2_f32_f16 v26, v11, v15, v26
	;;#ASMEND
	s_wait_dscnt 0x3
	;;#ASMSTART
	v_dot2_f32_f16 v27, v8, v108, v27
	;;#ASMEND
	;;#ASMSTART
	v_dot2_f32_f16 v27, v9, v109, v27
	;;#ASMEND
	;;#ASMSTART
	v_dot2_f32_f16 v27, v10, v110, v27
	;;#ASMEND
	;;#ASMSTART
	v_dot2_f32_f16 v27, v11, v111, v27
	;;#ASMEND
	;; [unrolled: 13-line block ×5, first 2 shown]
	;;#ASMSTART
	v_dot2_f32_f16 v57, v120, v108, v57
	;;#ASMEND
	;;#ASMSTART
	v_dot2_f32_f16 v57, v121, v109, v57
	;;#ASMEND
	;;#ASMSTART
	v_dot2_f32_f16 v57, v122, v110, v57
	;;#ASMEND
	;;#ASMSTART
	v_dot2_f32_f16 v57, v123, v111, v57
	;;#ASMEND
	;;#ASMSTART
	v_dot2_f32_f16 v58, v120, v112, v58
	;;#ASMEND
	;;#ASMSTART
	v_dot2_f32_f16 v58, v121, v113, v58
	;;#ASMEND
	;;#ASMSTART
	v_dot2_f32_f16 v58, v122, v114, v58
	;;#ASMEND
	;;#ASMSTART
	v_dot2_f32_f16 v58, v123, v115, v58
	;;#ASMEND
	;;#ASMSTART
	v_dot2_f32_f16 v59, v120, v116, v59
	;;#ASMEND
	;;#ASMSTART
	v_dot2_f32_f16 v59, v121, v117, v59
	;;#ASMEND
	;;#ASMSTART
	v_dot2_f32_f16 v59, v122, v118, v59
	;;#ASMEND
	;;#ASMSTART
	v_dot2_f32_f16 v59, v123, v119, v59
	;;#ASMEND
	ds_load_b128 v[8:11], v76 offset:176
	ds_load_b128 v[12:15], v75 offset:432
	;; [unrolled: 1-line block ×6, first 2 shown]
	s_wait_dscnt 0x4
	;;#ASMSTART
	v_dot2_f32_f16 v26, v8, v12, v26
	;;#ASMEND
	;;#ASMSTART
	v_dot2_f32_f16 v26, v9, v13, v26
	;;#ASMEND
	;;#ASMSTART
	v_dot2_f32_f16 v26, v10, v14, v26
	;;#ASMEND
	;;#ASMSTART
	v_dot2_f32_f16 v26, v11, v15, v26
	;;#ASMEND
	s_wait_dscnt 0x3
	;;#ASMSTART
	v_dot2_f32_f16 v27, v8, v108, v27
	;;#ASMEND
	;;#ASMSTART
	v_dot2_f32_f16 v27, v9, v109, v27
	;;#ASMEND
	;;#ASMSTART
	v_dot2_f32_f16 v27, v10, v110, v27
	;;#ASMEND
	;;#ASMSTART
	v_dot2_f32_f16 v27, v11, v111, v27
	;;#ASMEND
	;; [unrolled: 13-line block ×5, first 2 shown]
	;;#ASMSTART
	v_dot2_f32_f16 v57, v120, v108, v57
	;;#ASMEND
	;;#ASMSTART
	v_dot2_f32_f16 v57, v121, v109, v57
	;;#ASMEND
	;; [unrolled: 3-line block ×12, first 2 shown]
	ds_load_b128 v[8:11], v76 offset:192
	ds_load_b128 v[12:15], v75 offset:448
	;; [unrolled: 1-line block ×6, first 2 shown]
	s_wait_dscnt 0x4
	;;#ASMSTART
	v_dot2_f32_f16 v26, v8, v12, v26
	;;#ASMEND
	;;#ASMSTART
	v_dot2_f32_f16 v26, v9, v13, v26
	;;#ASMEND
	;;#ASMSTART
	v_dot2_f32_f16 v26, v10, v14, v26
	;;#ASMEND
	;;#ASMSTART
	v_dot2_f32_f16 v26, v11, v15, v26
	;;#ASMEND
	s_wait_dscnt 0x3
	;;#ASMSTART
	v_dot2_f32_f16 v27, v8, v108, v27
	;;#ASMEND
	;;#ASMSTART
	v_dot2_f32_f16 v27, v9, v109, v27
	;;#ASMEND
	;;#ASMSTART
	v_dot2_f32_f16 v27, v10, v110, v27
	;;#ASMEND
	;;#ASMSTART
	v_dot2_f32_f16 v27, v11, v111, v27
	;;#ASMEND
	;; [unrolled: 13-line block ×5, first 2 shown]
	;;#ASMSTART
	v_dot2_f32_f16 v57, v120, v108, v57
	;;#ASMEND
	;;#ASMSTART
	v_dot2_f32_f16 v57, v121, v109, v57
	;;#ASMEND
	;;#ASMSTART
	v_dot2_f32_f16 v57, v122, v110, v57
	;;#ASMEND
	;;#ASMSTART
	v_dot2_f32_f16 v57, v123, v111, v57
	;;#ASMEND
	;;#ASMSTART
	v_dot2_f32_f16 v58, v120, v112, v58
	;;#ASMEND
	;;#ASMSTART
	v_dot2_f32_f16 v58, v121, v113, v58
	;;#ASMEND
	;;#ASMSTART
	v_dot2_f32_f16 v58, v122, v114, v58
	;;#ASMEND
	;;#ASMSTART
	v_dot2_f32_f16 v58, v123, v115, v58
	;;#ASMEND
	;;#ASMSTART
	v_dot2_f32_f16 v59, v120, v116, v59
	;;#ASMEND
	;;#ASMSTART
	v_dot2_f32_f16 v59, v121, v117, v59
	;;#ASMEND
	;;#ASMSTART
	v_dot2_f32_f16 v59, v122, v118, v59
	;;#ASMEND
	;;#ASMSTART
	v_dot2_f32_f16 v59, v123, v119, v59
	;;#ASMEND
	ds_load_b128 v[8:11], v76 offset:208
	ds_load_b128 v[12:15], v75 offset:464
	ds_load_b128 v[108:111], v75 offset:976
	ds_load_b128 v[112:115], v75 offset:1488
	ds_load_b128 v[116:119], v75 offset:2000
	ds_load_b128 v[120:123], v76 offset:8912
	s_wait_dscnt 0x4
	;;#ASMSTART
	v_dot2_f32_f16 v26, v8, v12, v26
	;;#ASMEND
	;;#ASMSTART
	v_dot2_f32_f16 v26, v9, v13, v26
	;;#ASMEND
	;;#ASMSTART
	v_dot2_f32_f16 v26, v10, v14, v26
	;;#ASMEND
	;;#ASMSTART
	v_dot2_f32_f16 v26, v11, v15, v26
	;;#ASMEND
	s_wait_dscnt 0x3
	;;#ASMSTART
	v_dot2_f32_f16 v27, v8, v108, v27
	;;#ASMEND
	;;#ASMSTART
	v_dot2_f32_f16 v27, v9, v109, v27
	;;#ASMEND
	;;#ASMSTART
	v_dot2_f32_f16 v27, v10, v110, v27
	;;#ASMEND
	;;#ASMSTART
	v_dot2_f32_f16 v27, v11, v111, v27
	;;#ASMEND
	s_wait_dscnt 0x2
	;;#ASMSTART
	v_dot2_f32_f16 v54, v8, v112, v54
	;;#ASMEND
	;;#ASMSTART
	v_dot2_f32_f16 v54, v9, v113, v54
	;;#ASMEND
	;;#ASMSTART
	v_dot2_f32_f16 v54, v10, v114, v54
	;;#ASMEND
	;;#ASMSTART
	v_dot2_f32_f16 v54, v11, v115, v54
	;;#ASMEND
	s_wait_dscnt 0x1
	;;#ASMSTART
	v_dot2_f32_f16 v55, v8, v116, v55
	;;#ASMEND
	;;#ASMSTART
	v_dot2_f32_f16 v55, v9, v117, v55
	;;#ASMEND
	;;#ASMSTART
	v_dot2_f32_f16 v55, v10, v118, v55
	;;#ASMEND
	;;#ASMSTART
	v_dot2_f32_f16 v55, v11, v119, v55
	;;#ASMEND
	s_wait_dscnt 0x0
	;;#ASMSTART
	v_dot2_f32_f16 v56, v120, v12, v56
	;;#ASMEND
	;;#ASMSTART
	v_dot2_f32_f16 v56, v121, v13, v56
	;;#ASMEND
	;;#ASMSTART
	v_dot2_f32_f16 v56, v122, v14, v56
	;;#ASMEND
	;;#ASMSTART
	v_dot2_f32_f16 v56, v123, v15, v56
	;;#ASMEND
	;;#ASMSTART
	v_dot2_f32_f16 v57, v120, v108, v57
	;;#ASMEND
	;;#ASMSTART
	v_dot2_f32_f16 v57, v121, v109, v57
	;;#ASMEND
	;; [unrolled: 3-line block ×12, first 2 shown]
	ds_load_b128 v[8:11], v76 offset:224
	ds_load_b128 v[12:15], v75 offset:480
	;; [unrolled: 1-line block ×6, first 2 shown]
	s_wait_dscnt 0x4
	;;#ASMSTART
	v_dot2_f32_f16 v26, v8, v12, v26
	;;#ASMEND
	;;#ASMSTART
	v_dot2_f32_f16 v26, v9, v13, v26
	;;#ASMEND
	;;#ASMSTART
	v_dot2_f32_f16 v26, v10, v14, v26
	;;#ASMEND
	;;#ASMSTART
	v_dot2_f32_f16 v26, v11, v15, v26
	;;#ASMEND
	s_wait_dscnt 0x3
	;;#ASMSTART
	v_dot2_f32_f16 v27, v8, v108, v27
	;;#ASMEND
	;;#ASMSTART
	v_dot2_f32_f16 v27, v9, v109, v27
	;;#ASMEND
	;;#ASMSTART
	v_dot2_f32_f16 v27, v10, v110, v27
	;;#ASMEND
	;;#ASMSTART
	v_dot2_f32_f16 v27, v11, v111, v27
	;;#ASMEND
	;; [unrolled: 13-line block ×5, first 2 shown]
	;;#ASMSTART
	v_dot2_f32_f16 v57, v120, v108, v57
	;;#ASMEND
	;;#ASMSTART
	v_dot2_f32_f16 v57, v121, v109, v57
	;;#ASMEND
	;;#ASMSTART
	v_dot2_f32_f16 v57, v122, v110, v57
	;;#ASMEND
	;;#ASMSTART
	v_dot2_f32_f16 v57, v123, v111, v57
	;;#ASMEND
	;;#ASMSTART
	v_dot2_f32_f16 v58, v120, v112, v58
	;;#ASMEND
	;;#ASMSTART
	v_dot2_f32_f16 v58, v121, v113, v58
	;;#ASMEND
	;;#ASMSTART
	v_dot2_f32_f16 v58, v122, v114, v58
	;;#ASMEND
	;;#ASMSTART
	v_dot2_f32_f16 v58, v123, v115, v58
	;;#ASMEND
	;;#ASMSTART
	v_dot2_f32_f16 v59, v120, v116, v59
	;;#ASMEND
	;;#ASMSTART
	v_dot2_f32_f16 v59, v121, v117, v59
	;;#ASMEND
	;;#ASMSTART
	v_dot2_f32_f16 v59, v122, v118, v59
	;;#ASMEND
	;;#ASMSTART
	v_dot2_f32_f16 v59, v123, v119, v59
	;;#ASMEND
	ds_load_b128 v[8:11], v76 offset:240
	ds_load_b128 v[12:15], v75 offset:496
	;; [unrolled: 1-line block ×6, first 2 shown]
	s_wait_dscnt 0x4
	;;#ASMSTART
	v_dot2_f32_f16 v26, v8, v12, v26
	;;#ASMEND
	;;#ASMSTART
	v_dot2_f32_f16 v26, v9, v13, v26
	;;#ASMEND
	;;#ASMSTART
	v_dot2_f32_f16 v26, v10, v14, v26
	;;#ASMEND
	;;#ASMSTART
	v_dot2_f32_f16 v26, v11, v15, v26
	;;#ASMEND
	s_wait_dscnt 0x3
	;;#ASMSTART
	v_dot2_f32_f16 v27, v8, v108, v27
	;;#ASMEND
	;;#ASMSTART
	v_dot2_f32_f16 v27, v9, v109, v27
	;;#ASMEND
	;;#ASMSTART
	v_dot2_f32_f16 v27, v10, v110, v27
	;;#ASMEND
	;;#ASMSTART
	v_dot2_f32_f16 v27, v11, v111, v27
	;;#ASMEND
	;; [unrolled: 13-line block ×3, first 2 shown]
	s_wait_dscnt 0x1
	;;#ASMSTART
	v_dot2_f32_f16 v55, v8, v116, v55
	;;#ASMEND
	;;#ASMSTART
	v_dot2_f32_f16 v55, v9, v117, v55
	;;#ASMEND
	;; [unrolled: 3-line block ×3, first 2 shown]
	v_cndmask_b32_e32 v4, v65, v66, vcc_lo
	;;#ASMSTART
	v_dot2_f32_f16 v55, v11, v119, v55
	;;#ASMEND
	s_wait_dscnt 0x0
	;;#ASMSTART
	v_dot2_f32_f16 v56, v120, v12, v56
	;;#ASMEND
	;;#ASMSTART
	v_dot2_f32_f16 v56, v121, v13, v56
	;;#ASMEND
	;; [unrolled: 3-line block ×6, first 2 shown]
	v_lshlrev_b32_e32 v21, 2, v4
	v_add_nc_u64_e32 v[4:5], s[2:3], v[50:51]
	;;#ASMSTART
	v_dot2_f32_f16 v57, v122, v110, v57
	;;#ASMEND
	;;#ASMSTART
	v_dot2_f32_f16 v57, v123, v111, v57
	;;#ASMEND
	;; [unrolled: 3-line block ×9, first 2 shown]
	v_dual_lshlrev_b32 v23, 2, v2 :: v_dual_lshlrev_b32 v22, 2, v3
	v_add_nc_u64_e32 v[2:3], s[2:3], v[48:49]
	v_add_nc_u64_e32 v[6:7], v[4:5], v[46:47]
	;; [unrolled: 1-line block ×3, first 2 shown]
	;;#ASMSTART
	v_dot2_f32_f16 v59, v123, v119, v59
	;;#ASMEND
	s_clause 0x1
	global_load_u16 v60, v20, s[34:35] scale_offset
	global_load_u16 v61, v20, s[34:35] offset:64 scale_offset
	v_add_nc_u64_e32 v[0:1], v[0:1], v[46:47]
	s_wait_loadcnt 0x0
	v_add_nc_u64_e32 v[2:3], v[2:3], v[46:47]
	s_barrier_signal -1
	s_barrier_wait -1
	s_clause 0x3
	global_load_b128 v[8:11], v[0:1], off
	global_load_b128 v[12:15], v[2:3], off
	;; [unrolled: 1-line block ×4, first 2 shown]
	s_wait_xcnt 0x3
	v_cvt_f32_f16_e32 v0, v60
	v_cvt_f32_f16_e32 v1, v61
	s_wait_xcnt 0x0
	s_delay_alu instid0(VALU_DEP_2) | instskip(NEXT) | instid1(VALU_DEP_2)
	v_dual_add_f32 v4, v26, v0 :: v_dual_add_f32 v6, v27, v0
	v_add_f32_e32 v5, v56, v1
	s_wait_loadcnt 0x3
	ds_store_b128 v77, v[8:11]
	v_dual_add_f32 v7, v57, v1 :: v_dual_add_f32 v8, v54, v0
	v_dual_add_f32 v9, v58, v1 :: v_dual_add_f32 v10, v55, v0
	;; [unrolled: 1-line block ×4, first 2 shown]
	s_wait_loadcnt 0x2
	ds_store_b128 v80, v[12:15]
	s_wait_loadcnt 0x1
	ds_store_b128 v81, v[108:111]
	;; [unrolled: 2-line block ×3, first 2 shown]
	v_dual_add_f32 v3, 0x40051340, v7 :: v_dual_add_f32 v12, 0x40051340, v8
	v_dual_add_f32 v13, 0x40051340, v9 :: v_dual_add_f32 v14, 0x40051340, v10
	v_max3_num_f32 v0, v16, v0, v1
	s_delay_alu instid0(VALU_DEP_3) | instskip(NEXT) | instid1(VALU_DEP_3)
	v_max3_num_f32 v1, v17, v2, v3
	v_max3_num_f32 v2, v18, v12, v13
	ds_bpermute_b32 v12, v25, v0
	v_add_f32_e32 v15, 0x40051340, v11
	ds_bpermute_b32 v13, v25, v1
	s_wait_dscnt 0x1
	v_max_num_f32_e32 v12, v12, v12
	v_max3_num_f32 v3, v19, v14, v15
	ds_bpermute_b32 v14, v25, v2
	s_wait_dscnt 0x1
	v_dual_max_num_f32 v13, v13, v13 :: v_dual_max_num_f32 v0, v0, v12
	ds_bpermute_b32 v15, v25, v3
	ds_bpermute_b32 v12, v24, v0
	s_wait_dscnt 0x2
	v_dual_max_num_f32 v14, v14, v14 :: v_dual_max_num_f32 v1, v1, v13
	s_wait_dscnt 0x1
	s_delay_alu instid0(VALU_DEP_1)
	v_dual_max_num_f32 v15, v15, v15 :: v_dual_max_num_f32 v2, v2, v14
	ds_bpermute_b32 v13, v24, v1
	s_wait_dscnt 0x1
	v_dual_max_num_f32 v12, v12, v12 :: v_dual_max_num_f32 v3, v3, v15
	ds_bpermute_b32 v14, v24, v2
	v_max_num_f32_e32 v0, v0, v12
	ds_bpermute_b32 v15, v24, v3
	ds_bpermute_b32 v12, v23, v0
	s_wait_dscnt 0x2
	v_dual_max_num_f32 v13, v13, v13 :: v_dual_max_num_f32 v14, v14, v14
	s_wait_dscnt 0x1
	s_delay_alu instid0(VALU_DEP_1) | instskip(NEXT) | instid1(VALU_DEP_2)
	v_dual_max_num_f32 v1, v1, v13 :: v_dual_max_num_f32 v15, v15, v15
	v_max_num_f32_e32 v2, v2, v14
	ds_bpermute_b32 v13, v23, v1
	s_wait_dscnt 0x1
	v_dual_max_num_f32 v12, v12, v12 :: v_dual_max_num_f32 v3, v3, v15
	ds_bpermute_b32 v14, v23, v2
	v_max_num_f32_e32 v0, v0, v12
	ds_bpermute_b32 v15, v23, v3
	ds_bpermute_b32 v12, v22, v0
	s_wait_dscnt 0x2
	v_dual_max_num_f32 v13, v13, v13 :: v_dual_max_num_f32 v14, v14, v14
	s_wait_dscnt 0x1
	s_delay_alu instid0(VALU_DEP_1) | instskip(NEXT) | instid1(VALU_DEP_2)
	v_dual_max_num_f32 v1, v1, v13 :: v_dual_max_num_f32 v15, v15, v15
	v_max_num_f32_e32 v2, v2, v14
	;; [unrolled: 13-line block ×3, first 2 shown]
	ds_bpermute_b32 v13, v21, v1
	s_wait_dscnt 0x1
	v_dual_max_num_f32 v12, v12, v12 :: v_dual_max_num_f32 v3, v3, v15
	ds_bpermute_b32 v14, v21, v2
	v_max_num_f32_e32 v0, v0, v12
	ds_bpermute_b32 v15, v21, v3
	v_sub_f32_e32 v4, v4, v0
	v_sub_f32_e32 v12, v16, v0
	s_delay_alu instid0(VALU_DEP_2) | instskip(NEXT) | instid1(VALU_DEP_2)
	v_mul_f32_e32 v16, 0x3fb8aa3b, v4
	v_mul_f32_e32 v24, 0x3fb8aa3b, v12
	v_cmp_ngt_f32_e64 s7, 0xc2ce8ed0, v4
	s_wait_dscnt 0x2
	v_max_num_f32_e32 v13, v13, v13
	v_cmp_ngt_f32_e64 s11, 0xc2ce8ed0, v12
	v_fma_f32 v54, 0x3fb8aa3b, v4, -v16
	v_rndne_f32_e32 v111, v16
	s_wait_dscnt 0x1
	v_dual_max_num_f32 v14, v14, v14 :: v_dual_max_num_f32 v1, v1, v13
	v_fma_f32 v107, 0x3fb8aa3b, v12, -v24
	v_rndne_f32_e32 v119, v24
	s_wait_dscnt 0x0
	s_delay_alu instid0(VALU_DEP_3) | instskip(SKIP_1) | instid1(VALU_DEP_2)
	v_dual_max_num_f32 v15, v15, v15 :: v_dual_max_num_f32 v2, v2, v14
	v_dual_sub_f32 v5, v5, v0 :: v_dual_sub_f32 v6, v6, v1
	v_dual_sub_f32 v13, v17, v1 :: v_dual_max_num_f32 v3, v3, v15
	s_delay_alu instid0(VALU_DEP_2) | instskip(NEXT) | instid1(VALU_DEP_3)
	v_dual_sub_f32 v14, v18, v2 :: v_dual_mul_f32 v17, 0x3fb8aa3b, v5
	v_dual_mul_f32 v18, 0x3fb8aa3b, v6 :: v_dual_sub_f32 v7, v7, v1
	s_delay_alu instid0(VALU_DEP_3)
	v_dual_sub_f32 v8, v8, v2 :: v_dual_sub_f32 v11, v11, v3
	v_dual_sub_f32 v15, v19, v3 :: v_dual_sub_f32 v9, v9, v2
	v_sub_f32_e32 v10, v10, v3
	v_fma_f32 v55, 0x3fb8aa3b, v5, -v17
	v_rndne_f32_e32 v112, v17
	v_rndne_f32_e32 v113, v18
	v_mul_f32_e32 v27, 0x3fb8aa3b, v15
	v_dual_mul_f32 v19, 0x3fb8aa3b, v7 :: v_dual_mul_f32 v20, 0x3fb8aa3b, v8
	v_dual_mul_f32 v21, 0x3fb8aa3b, v9 :: v_dual_mul_f32 v22, 0x3fb8aa3b, v10
	v_mul_f32_e32 v23, 0x3fb8aa3b, v11
	v_fma_f32 v56, 0x3fb8aa3b, v6, -v18
	v_dual_fmac_f32 v54, 0x32a5705f, v4 :: v_dual_fmac_f32 v55, 0x32a5705f, v5
	v_dual_sub_f32 v16, v16, v111 :: v_dual_sub_f32 v17, v17, v112
	v_sub_f32_e32 v18, v18, v113
	v_rndne_f32_e32 v122, v27
	v_dual_mul_f32 v25, 0x3fb8aa3b, v13 :: v_dual_mul_f32 v26, 0x3fb8aa3b, v14
	v_fma_f32 v57, 0x3fb8aa3b, v7, -v19
	v_fma_f32 v58, 0x3fb8aa3b, v8, -v20
	;; [unrolled: 1-line block ×5, first 2 shown]
	v_rndne_f32_e32 v114, v19
	v_rndne_f32_e32 v115, v20
	;; [unrolled: 1-line block ×5, first 2 shown]
	v_fma_f32 v110, 0x3fb8aa3b, v15, -v27
	v_dual_sub_f32 v27, v27, v122 :: v_dual_add_f32 v17, v17, v55
	v_fma_f32 v108, 0x3fb8aa3b, v13, -v25
	v_fma_f32 v109, 0x3fb8aa3b, v14, -v26
	v_rndne_f32_e32 v120, v25
	v_rndne_f32_e32 v121, v26
	v_dual_fmac_f32 v56, 0x32a5705f, v6 :: v_dual_fmac_f32 v57, 0x32a5705f, v7
	v_dual_fmac_f32 v58, 0x32a5705f, v8 :: v_dual_fmac_f32 v59, 0x32a5705f, v9
	;; [unrolled: 1-line block ×4, first 2 shown]
	v_dual_sub_f32 v19, v19, v114 :: v_dual_sub_f32 v20, v20, v115
	v_dual_sub_f32 v21, v21, v116 :: v_dual_sub_f32 v22, v22, v117
	;; [unrolled: 1-line block ×3, first 2 shown]
	v_exp_f32_e32 v17, v17
	v_dual_fmac_f32 v109, 0x32a5705f, v14 :: v_dual_fmac_f32 v110, 0x32a5705f, v15
	v_dual_sub_f32 v25, v25, v120 :: v_dual_sub_f32 v26, v26, v121
	v_cvt_i32_f32_e32 v112, v112
	v_dual_add_f32 v16, v16, v54 :: v_dual_add_f32 v18, v18, v56
	v_dual_add_f32 v19, v19, v57 :: v_dual_add_f32 v20, v20, v58
	;; [unrolled: 1-line block ×5, first 2 shown]
	v_exp_f32_e32 v16, v16
	v_exp_f32_e32 v18, v18
	;; [unrolled: 1-line block ×8, first 2 shown]
	v_ldexp_f32 v17, v17, v112
	v_cmp_ngt_f32_e64 s12, 0xc2ce8ed0, v5
	v_add_f32_e32 v27, v27, v110
	v_cvt_i32_f32_e32 v111, v111
	v_cvt_i32_f32_e32 v113, v113
	;; [unrolled: 1-line block ×8, first 2 shown]
	v_exp_f32_e32 v25, v25
	v_exp_f32_e32 v26, v26
	v_cndmask_b32_e64 v17, 0, v17, s12
	v_exp_f32_e32 v27, v27
	v_cvt_i32_f32_e32 v120, v120
	v_cvt_i32_f32_e32 v121, v121
	;; [unrolled: 1-line block ×3, first 2 shown]
	v_ldexp_f32 v18, v18, v113
	v_cmp_ngt_f32_e32 vcc_lo, 0xc2ce8ed0, v6
	v_ldexp_f32 v19, v19, v114
	v_cmp_ngt_f32_e64 s2, 0xc2ce8ed0, v7
	v_ldexp_f32 v20, v20, v115
	v_cmp_ngt_f32_e64 s3, 0xc2ce8ed0, v8
	;; [unrolled: 2-line block ×5, first 2 shown]
	v_ldexp_f32 v16, v16, v111
	v_ldexp_f32 v24, v24, v119
	;; [unrolled: 1-line block ×3, first 2 shown]
	v_cmp_ngt_f32_e64 s8, 0xc2ce8ed0, v13
	v_ldexp_f32 v26, v26, v121
	v_cmp_ngt_f32_e64 s9, 0xc2ce8ed0, v14
	v_ldexp_f32 v27, v27, v122
	v_cmp_ngt_f32_e64 s10, 0xc2ce8ed0, v15
	v_cmp_nlt_f32_e64 s12, 0x42b17218, v5
	v_dual_cndmask_b32 v5, 0, v18, vcc_lo :: v_dual_cndmask_b32 v18, 0, v19, s2
	v_cmp_nlt_f32_e32 vcc_lo, 0x42b17218, v6
	v_cmp_nlt_f32_e64 s2, 0x42b17218, v7
	v_cndmask_b32_e64 v6, 0, v20, s3
	v_cmp_nlt_f32_e64 s3, 0x42b17218, v8
	v_cndmask_b32_e64 v8, 0, v21, s4
	v_cmp_nlt_f32_e64 s4, 0x42b17218, v9
	v_dual_cndmask_b32 v7, 0, v22, s5 :: v_dual_cndmask_b32 v9, 0, v23, s6
	v_cmp_nlt_f32_e64 s5, 0x42b17218, v10
	v_cmp_nlt_f32_e64 s6, 0x42b17218, v11
	v_cndmask_b32_e64 v10, 0, v16, s7
	v_cmp_nlt_f32_e64 s7, 0x42b17218, v15
	v_cndmask_b32_e64 v15, 0, v24, s11
	;; [unrolled: 2-line block ×6, first 2 shown]
	v_cndmask_b32_e32 v5, 0x7f800000, v5, vcc_lo
	v_cndmask_b32_e64 v6, 0x7f800000, v6, s3
	v_cndmask_b32_e64 v7, 0x7f800000, v7, s5
	;; [unrolled: 1-line block ×9, first 2 shown]
	v_cvt_pk_f16_f32 v13, v6, v7
	v_cvt_pk_f16_f32 v12, v4, v5
	;; [unrolled: 1-line block ×4, first 2 shown]
	v_pk_add_f32 v[60:61], v[6:7], v[8:9]
	v_pk_add_f32 v[58:59], v[4:5], v[10:11]
	v_cvt_f16_f32_e32 v16, v57
	v_cndmask_b32_e64 v55, 0x7f800000, v19, s8
	ds_store_2addr_b64 v83, v[12:13], v[14:15] offset1:32
	s_wait_dscnt 0x0
	s_barrier_signal -1
	s_barrier_wait -1
	ds_load_b128 v[4:7], v79
	ds_load_b128 v[8:11], v79 offset:16
	v_and_b32_e32 v110, 0xffff, v16
	ds_load_b128 v[12:15], v79 offset:32
	ds_load_b128 v[16:19], v79 offset:48
	;; [unrolled: 1-line block ×4, first 2 shown]
	v_cvt_f16_f32_e32 v107, v54
	v_cvt_f16_f32_e32 v108, v55
	;; [unrolled: 1-line block ×3, first 2 shown]
	v_pk_fma_f32 v[30:31], v[30:31], v[56:57], v[60:61]
	v_pk_fma_f32 v[32:33], v[32:33], v[54:55], v[58:59]
	s_or_b32 s2, s14, 32
	s_delay_alu instid0(SALU_CYCLE_1) | instskip(NEXT) | instid1(SALU_CYCLE_1)
	s_ashr_i32 s3, s2, 31
	s_mul_u64 s[2:3], s[2:3], s[18:19]
	s_delay_alu instid0(SALU_CYCLE_1) | instskip(NEXT) | instid1(SALU_CYCLE_1)
	s_lshl_b64 s[2:3], s[2:3], 2
	s_add_nc_u64 s[2:3], s[38:39], s[2:3]
	s_wait_dscnt 0x5
	v_lshrrev_b32_e32 v54, 16, v5
	v_and_b32_e32 v55, 0xffff, v4
	v_lshrrev_b32_e32 v56, 16, v4
	v_and_b32_e32 v57, 0xffff, v5
	v_dual_lshrrev_b32 v58, 16, v6 :: v_dual_lshrrev_b32 v59, 16, v7
	v_and_b32_e32 v60, 0xffff, v6
	v_and_b32_e32 v61, 0xffff, v7
	ds_load_2addr_b64 v[4:7], v64 offset1:32
	s_wait_dscnt 0x5
	v_dual_lshrrev_b32 v111, 16, v9 :: v_dual_lshrrev_b32 v113, 16, v8
	v_and_b32_e32 v112, 0xffff, v8
	v_and_b32_e32 v114, 0xffff, v9
	v_dual_lshrrev_b32 v115, 16, v11 :: v_dual_lshrrev_b32 v116, 16, v10
	v_and_b32_e32 v117, 0xffff, v10
	v_and_b32_e32 v118, 0xffff, v11
	;; [unrolled: 1-line block ×5, first 2 shown]
	v_mul_u32_u24_e32 v11, 0x10001, v110
	s_wait_dscnt 0x4
	v_dual_lshrrev_b32 v119, 16, v13 :: v_dual_lshrrev_b32 v121, 16, v12
	v_and_b32_e32 v120, 0xffff, v12
	v_and_b32_e32 v122, 0xffff, v13
	v_dual_lshrrev_b32 v123, 16, v15 :: v_dual_lshrrev_b32 v124, 16, v14
	v_and_b32_e32 v125, 0xffff, v14
	v_mul_u32_u24_e32 v8, 0x10001, v8
	v_mul_u32_u24_e32 v9, 0x10001, v9
	;; [unrolled: 1-line block ×3, first 2 shown]
	v_pk_mul_f16 v12, v94, v11
	v_pk_mul_f16 v13, v93, v11
	;; [unrolled: 1-line block ×4, first 2 shown]
	v_mul_u32_u24_e32 v54, 0x10001, v54
	v_and_b32_e32 v126, 0xffff, v15
	v_pk_mul_f16 v15, v106, v8
	v_pk_mul_f16 v91, v105, v8
	;; [unrolled: 1-line block ×9, first 2 shown]
	s_wait_dscnt 0x0
	v_pk_fma_f16 v12, v4, v54, v12
	v_pk_fma_f16 v13, v5, v54, v13
	;; [unrolled: 1-line block ×4, first 2 shown]
	v_mul_u32_u24_e32 v11, 0x10001, v55
	v_mul_u32_u24_e32 v55, 0x10001, v56
	;; [unrolled: 1-line block ×5, first 2 shown]
	v_pk_fma_f16 v15, v5, v11, v15
	v_pk_fma_f16 v57, v6, v11, v91
	v_pk_fma_f16 v91, v7, v11, v92
	v_pk_mul_f16 v11, v4, v11
	v_pk_fma_f16 v92, v5, v55, v93
	v_pk_fma_f16 v93, v6, v55, v94
	v_pk_fma_f16 v94, v7, v55, v100
	v_pk_mul_f16 v55, v4, v55
	;; [unrolled: 4-line block ×3, first 2 shown]
	ds_load_2addr_b64 v[4:7], v64 offset0:64 offset1:96
	v_pk_fma_f16 v55, v99, v9, v55
	v_pk_fma_f16 v103, v103, v8, v11
	v_mul_u32_u24_e32 v60, 0x10001, v60
	v_pk_fma_f16 v56, v96, v10, v56
	ds_load_b128 v[8:11], v79 offset:96
	v_lshrrev_b32_e32 v127, 16, v17
	v_and_b32_e32 v128, 0xffff, v16
	v_lshrrev_b32_e32 v16, 16, v16
	v_and_b32_e32 v17, 0xffff, v17
	v_dual_lshrrev_b32 v129, 16, v19 :: v_dual_lshrrev_b32 v130, 16, v18
	v_and_b32_e32 v18, 0xffff, v18
	s_delay_alu instid0(VALU_DEP_4) | instskip(NEXT) | instid1(VALU_DEP_4)
	v_mul_u32_u24_e32 v16, 0x10001, v16
	v_mul_u32_u24_e32 v17, 0x10001, v17
	v_and_b32_e32 v19, 0xffff, v19
	v_lshrrev_b32_e32 v131, 16, v21
	v_mul_u32_u24_e32 v18, 0x10001, v18
	v_and_b32_e32 v132, 0xffff, v20
	v_lshrrev_b32_e32 v20, 16, v20
	s_wait_dscnt 0x1
	v_pk_fma_f16 v92, v5, v58, v92
	v_pk_fma_f16 v93, v6, v58, v93
	;; [unrolled: 1-line block ×4, first 2 shown]
	v_mul_u32_u24_e32 v58, 0x10001, v61
	v_pk_fma_f16 v96, v4, v59, v12
	v_pk_fma_f16 v99, v5, v59, v13
	;; [unrolled: 1-line block ×12, first 2 shown]
	ds_load_2addr_b64 v[4:7], v64 offset0:128 offset1:160
	ds_load_b128 v[12:15], v79 offset:112
	s_wait_dscnt 0x2
	v_dual_lshrrev_b32 v58, 16, v9 :: v_dual_lshrrev_b32 v103, 16, v8
	v_and_b32_e32 v98, 0xffff, v8
	v_mul_u32_u24_e32 v8, 0x10001, v111
	v_and_b32_e32 v106, 0xffff, v9
	v_dual_lshrrev_b32 v107, 16, v11 :: v_dual_lshrrev_b32 v108, 16, v10
	v_and_b32_e32 v109, 0xffff, v10
	v_and_b32_e32 v110, 0xffff, v11
	v_mul_u32_u24_e32 v19, 0x10001, v19
	v_and_b32_e32 v21, 0xffff, v21
	v_dual_lshrrev_b32 v133, 16, v23 :: v_dual_lshrrev_b32 v134, 16, v22
	v_and_b32_e32 v22, 0xffff, v22
	v_and_b32_e32 v23, 0xffff, v23
	s_delay_alu instid0(VALU_DEP_4)
	v_mul_u32_u24_e32 v21, 0x10001, v21
	v_lshrrev_b32_e32 v101, 16, v25
	v_and_b32_e32 v102, 0xffff, v24
	s_wait_dscnt 0x1
	v_pk_fma_f16 v9, v4, v8, v96
	v_pk_fma_f16 v10, v5, v8, v99
	;; [unrolled: 1-line block ×4, first 2 shown]
	v_mul_u32_u24_e32 v54, 0x10001, v112
	s_wait_dscnt 0x0
	v_lshrrev_b32_e32 v99, 16, v12
	v_and_b32_e32 v105, 0xffff, v13
	v_dual_lshrrev_b32 v111, 16, v15 :: v_dual_lshrrev_b32 v112, 16, v14
	v_pk_fma_f16 v59, v5, v54, v59
	v_pk_fma_f16 v57, v6, v54, v57
	;; [unrolled: 1-line block ×4, first 2 shown]
	v_mul_u32_u24_e32 v60, 0x10001, v113
	v_and_b32_e32 v113, 0xffff, v14
	v_mul_u32_u24_e32 v22, 0x10001, v22
	v_lshrrev_b32_e32 v24, 16, v24
	v_and_b32_e32 v25, 0xffff, v25
	v_pk_fma_f16 v92, v5, v60, v92
	v_pk_fma_f16 v93, v6, v60, v93
	;; [unrolled: 1-line block ×4, first 2 shown]
	v_mul_u32_u24_e32 v60, 0x10001, v114
	v_and_b32_e32 v114, 0xffff, v15
	v_mul_u32_u24_e32 v24, 0x10001, v24
	v_dual_lshrrev_b32 v100, 16, v27 :: v_dual_lshrrev_b32 v104, 16, v26
	s_delay_alu instid0(VALU_DEP_4)
	v_pk_fma_f16 v61, v5, v60, v61
	v_pk_fma_f16 v96, v6, v60, v97
	v_pk_fma_f16 v95, v7, v60, v95
	v_pk_fma_f16 v56, v4, v60, v56
	ds_load_2addr_b64 v[4:7], v64 offset0:192 offset1:224
	v_lshrrev_b32_e32 v60, 16, v13
	v_and_b32_e32 v97, 0xffff, v12
	v_mul_u32_u24_e32 v12, 0x10001, v115
	v_and_b32_e32 v26, 0xffff, v26
	v_and_b32_e32 v27, 0xffff, v27
	s_wait_dscnt 0x0
	s_delay_alu instid0(VALU_DEP_3)
	v_pk_fma_f16 v9, v4, v12, v9
	v_pk_fma_f16 v10, v5, v12, v10
	;; [unrolled: 1-line block ×4, first 2 shown]
	v_mul_u32_u24_e32 v12, 0x10001, v117
	v_mul_u32_u24_e32 v117, 0x10001, v124
	s_delay_alu instid0(VALU_DEP_2) | instskip(SKIP_4) | instid1(VALU_DEP_1)
	v_pk_fma_f16 v13, v5, v12, v59
	v_pk_fma_f16 v14, v6, v12, v57
	;; [unrolled: 1-line block ×4, first 2 shown]
	v_mul_u32_u24_e32 v54, 0x10001, v116
	v_pk_fma_f16 v57, v5, v54, v92
	v_pk_fma_f16 v59, v6, v54, v93
	;; [unrolled: 1-line block ×4, first 2 shown]
	v_mul_u32_u24_e32 v55, 0x10001, v118
	v_mul_u32_u24_e32 v94, 0x10001, v120
	s_delay_alu instid0(VALU_DEP_2)
	v_pk_fma_f16 v61, v5, v55, v61
	v_pk_fma_f16 v92, v6, v55, v96
	;; [unrolled: 1-line block ×4, first 2 shown]
	ds_load_2addr_b64 v[4:7], v84 offset1:32
	v_mul_u32_u24_e32 v56, 0x10001, v119
	v_mul_u32_u24_e32 v95, 0x10001, v121
	s_wait_dscnt 0x0
	s_delay_alu instid0(VALU_DEP_2)
	v_pk_fma_f16 v96, v4, v56, v9
	v_pk_fma_f16 v115, v5, v56, v10
	v_pk_fma_f16 v116, v6, v56, v11
	v_pk_fma_f16 v56, v7, v56, v8
	v_pk_fma_f16 v13, v5, v94, v13
	v_pk_fma_f16 v14, v6, v94, v14
	v_pk_fma_f16 v15, v7, v94, v15
	v_pk_fma_f16 v12, v4, v94, v12
	ds_load_2addr_b64 v[8:11], v84 offset0:64 offset1:96
	v_mul_u32_u24_e32 v94, 0x10001, v122
	v_pk_fma_f16 v57, v5, v95, v57
	v_pk_fma_f16 v59, v6, v95, v59
	;; [unrolled: 1-line block ×8, first 2 shown]
	ds_load_b128 v[4:7], v79 offset:128
	v_mul_u32_u24_e32 v94, 0x10001, v123
	v_mul_u32_u24_e32 v95, 0x10001, v125
	;; [unrolled: 1-line block ×3, first 2 shown]
	s_wait_dscnt 0x1
	v_pk_fma_f16 v57, v9, v117, v57
	v_pk_fma_f16 v59, v10, v117, v59
	;; [unrolled: 1-line block ×4, first 2 shown]
	v_mul_u32_u24_e32 v117, 0x10001, v126
	v_pk_fma_f16 v96, v8, v94, v96
	v_pk_fma_f16 v115, v9, v94, v115
	;; [unrolled: 1-line block ×8, first 2 shown]
	ds_load_b128 v[12:15], v79 offset:144
	v_pk_fma_f16 v9, v9, v117, v61
	v_pk_fma_f16 v10, v10, v117, v92
	;; [unrolled: 1-line block ×4, first 2 shown]
	s_wait_dscnt 0x1
	v_dual_lshrrev_b32 v55, 16, v5 :: v_dual_lshrrev_b32 v92, 16, v4
	v_and_b32_e32 v61, 0xffff, v4
	v_and_b32_e32 v93, 0xffff, v5
	v_dual_lshrrev_b32 v117, 16, v7 :: v_dual_lshrrev_b32 v120, 16, v6
	v_and_b32_e32 v121, 0xffff, v6
	v_and_b32_e32 v122, 0xffff, v7
	ds_load_2addr_b64 v[4:7], v84 offset0:128 offset1:160
	s_wait_dscnt 0x1
	v_and_b32_e32 v124, 0xffff, v13
	v_dual_lshrrev_b32 v125, 16, v15 :: v_dual_lshrrev_b32 v126, 16, v14
	v_and_b32_e32 v127, 0xffff, v14
	s_wait_dscnt 0x0
	v_pk_fma_f16 v96, v4, v123, v96
	v_pk_fma_f16 v115, v5, v123, v115
	;; [unrolled: 1-line block ×4, first 2 shown]
	v_mul_u32_u24_e32 v123, 0x10001, v128
	v_pk_fma_f16 v57, v5, v16, v57
	v_pk_fma_f16 v59, v6, v16, v59
	;; [unrolled: 1-line block ×12, first 2 shown]
	ds_load_2addr_b64 v[4:7], v84 offset0:192 offset1:224
	v_dual_lshrrev_b32 v17, 16, v13 :: v_dual_lshrrev_b32 v123, 16, v12
	v_and_b32_e32 v54, 0xffff, v12
	v_mul_u32_u24_e32 v12, 0x10001, v129
	v_and_b32_e32 v128, 0xffff, v15
	s_delay_alu instid0(VALU_DEP_4) | instskip(NEXT) | instid1(VALU_DEP_4)
	v_mul_u32_u24_e32 v17, 0x10001, v17
	v_mul_u32_u24_e32 v54, 0x10001, v54
	s_wait_dscnt 0x0
	v_pk_fma_f16 v13, v4, v12, v96
	v_pk_fma_f16 v14, v5, v12, v115
	v_pk_fma_f16 v15, v6, v12, v116
	v_pk_fma_f16 v12, v7, v12, v56
	v_pk_fma_f16 v56, v5, v18, v94
	v_pk_fma_f16 v94, v6, v18, v118
	v_pk_fma_f16 v96, v7, v18, v119
	v_pk_fma_f16 v18, v4, v18, v95
	v_mul_u32_u24_e32 v95, 0x10001, v130
	v_pk_fma_f16 v115, v6, v19, v10
	v_pk_fma_f16 v116, v7, v19, v11
	v_mul_u32_u24_e32 v10, 0x10001, v20
	s_delay_alu instid0(VALU_DEP_4)
	v_pk_fma_f16 v57, v5, v95, v57
	v_pk_fma_f16 v59, v6, v95, v59
	;; [unrolled: 1-line block ×6, first 2 shown]
	ds_load_2addr_b64 v[4:7], v85 offset1:32
	v_mul_u32_u24_e32 v8, 0x10001, v131
	v_mul_u32_u24_e32 v9, 0x10001, v132
	s_wait_dscnt 0x0
	s_delay_alu instid0(VALU_DEP_2)
	v_pk_fma_f16 v13, v4, v8, v13
	v_pk_fma_f16 v14, v5, v8, v14
	;; [unrolled: 1-line block ×12, first 2 shown]
	ds_load_2addr_b64 v[8:11], v85 offset0:64 offset1:96
	v_pk_fma_f16 v95, v5, v21, v95
	v_pk_fma_f16 v96, v6, v21, v115
	;; [unrolled: 1-line block ×4, first 2 shown]
	ds_load_b128 v[4:7], v79 offset:160
	v_mul_u32_u24_e32 v21, 0x10001, v133
	v_mul_u32_u24_e32 v116, 0x10001, v134
	s_wait_dscnt 0x1
	v_pk_fma_f16 v20, v9, v22, v20
	v_pk_fma_f16 v56, v10, v22, v56
	;; [unrolled: 1-line block ×4, first 2 shown]
	v_mul_u32_u24_e32 v22, 0x10001, v23
	v_pk_fma_f16 v118, v8, v21, v13
	v_pk_fma_f16 v119, v9, v21, v14
	;; [unrolled: 1-line block ×8, first 2 shown]
	ds_load_b128 v[12:15], v79 offset:176
	v_pk_fma_f16 v9, v9, v22, v95
	v_pk_fma_f16 v10, v10, v22, v96
	;; [unrolled: 1-line block ×4, first 2 shown]
	s_wait_dscnt 0x1
	v_dual_lshrrev_b32 v19, 16, v5 :: v_dual_lshrrev_b32 v23, 16, v4
	v_and_b32_e32 v22, 0xffff, v4
	v_and_b32_e32 v115, 0xffff, v5
	v_dual_lshrrev_b32 v116, 16, v7 :: v_dual_lshrrev_b32 v130, 16, v6
	v_and_b32_e32 v131, 0xffff, v6
	v_and_b32_e32 v132, 0xffff, v7
	ds_load_2addr_b64 v[4:7], v85 offset0:128 offset1:160
	v_mul_u32_u24_e32 v95, 0x10001, v101
	s_wait_dscnt 0x1
	v_lshrrev_b32_e32 v133, 16, v14
	v_and_b32_e32 v134, 0xffff, v14
	v_and_b32_e32 v135, 0xffff, v15
	s_wait_dscnt 0x0
	v_pk_fma_f16 v96, v4, v95, v118
	v_pk_fma_f16 v101, v5, v95, v119
	;; [unrolled: 1-line block ×4, first 2 shown]
	v_mul_u32_u24_e32 v95, 0x10001, v102
	v_pk_fma_f16 v57, v5, v24, v57
	v_pk_fma_f16 v59, v6, v24, v59
	;; [unrolled: 1-line block ×4, first 2 shown]
	v_mul_u32_u24_e32 v24, 0x10001, v25
	v_pk_fma_f16 v20, v5, v95, v20
	v_pk_fma_f16 v56, v6, v95, v56
	;; [unrolled: 1-line block ×8, first 2 shown]
	ds_load_2addr_b64 v[4:7], v85 offset0:192 offset1:224
	v_dual_lshrrev_b32 v24, 16, v13 :: v_dual_lshrrev_b32 v102, 16, v12
	v_and_b32_e32 v25, 0xffff, v12
	v_mul_u32_u24_e32 v12, 0x10001, v100
	v_and_b32_e32 v119, 0xffff, v13
	v_lshrrev_b32_e32 v129, 16, v15
	s_wait_dscnt 0x0
	s_delay_alu instid0(VALU_DEP_3)
	v_pk_fma_f16 v13, v4, v12, v96
	v_pk_fma_f16 v14, v5, v12, v101
	;; [unrolled: 1-line block ×4, first 2 shown]
	v_mul_u32_u24_e32 v21, 0x10001, v26
	v_mul_u32_u24_e32 v96, 0x10001, v109
	s_delay_alu instid0(VALU_DEP_2) | instskip(SKIP_4) | instid1(VALU_DEP_1)
	v_pk_fma_f16 v20, v5, v21, v20
	v_pk_fma_f16 v26, v6, v21, v56
	;; [unrolled: 1-line block ×4, first 2 shown]
	v_mul_u32_u24_e32 v21, 0x10001, v104
	v_pk_fma_f16 v57, v5, v21, v57
	v_pk_fma_f16 v59, v6, v21, v59
	;; [unrolled: 1-line block ×4, first 2 shown]
	v_mul_u32_u24_e32 v21, 0x10001, v27
	s_delay_alu instid0(VALU_DEP_1)
	v_pk_fma_f16 v27, v5, v21, v9
	v_pk_fma_f16 v94, v6, v21, v10
	;; [unrolled: 1-line block ×4, first 2 shown]
	ds_load_2addr_b64 v[4:7], v86 offset1:32
	v_mul_u32_u24_e32 v8, 0x10001, v58
	v_mul_u32_u24_e32 v9, 0x10001, v98
	v_mul_u32_u24_e32 v10, 0x10001, v103
	v_mul_u32_u24_e32 v98, 0x10001, v108
	s_wait_dscnt 0x0
	v_pk_fma_f16 v13, v4, v8, v13
	v_pk_fma_f16 v14, v5, v8, v14
	;; [unrolled: 1-line block ×12, first 2 shown]
	ds_load_2addr_b64 v[8:11], v86 offset0:64 offset1:96
	v_mul_u32_u24_e32 v91, 0x10001, v106
	s_delay_alu instid0(VALU_DEP_1)
	v_pk_fma_f16 v27, v5, v91, v27
	v_pk_fma_f16 v94, v6, v91, v94
	;; [unrolled: 1-line block ×4, first 2 shown]
	ds_load_b128 v[4:7], v79 offset:192
	v_mul_u32_u24_e32 v91, 0x10001, v107
	s_wait_dscnt 0x1
	v_pk_fma_f16 v20, v9, v96, v20
	v_pk_fma_f16 v26, v10, v96, v26
	;; [unrolled: 1-line block ×4, first 2 shown]
	v_mul_u32_u24_e32 v96, 0x10001, v110
	v_pk_fma_f16 v100, v8, v91, v13
	v_pk_fma_f16 v101, v9, v91, v14
	;; [unrolled: 1-line block ×8, first 2 shown]
	ds_load_b128 v[12:15], v79 offset:208
	v_pk_fma_f16 v9, v9, v96, v27
	s_wait_dscnt 0x1
	v_dual_lshrrev_b32 v27, 16, v5 :: v_dual_lshrrev_b32 v104, 16, v4
	v_and_b32_e32 v98, 0xffff, v4
	v_and_b32_e32 v106, 0xffff, v5
	v_dual_lshrrev_b32 v107, 16, v7 :: v_dual_lshrrev_b32 v108, 16, v6
	v_and_b32_e32 v109, 0xffff, v6
	v_and_b32_e32 v110, 0xffff, v7
	ds_load_2addr_b64 v[4:7], v86 offset0:128 offset1:160
	v_pk_fma_f16 v8, v8, v96, v21
	v_mul_u32_u24_e32 v21, 0x10001, v60
	v_pk_fma_f16 v10, v10, v96, v94
	v_pk_fma_f16 v11, v11, v96, v95
	v_mul_u32_u24_e32 v98, 0x10001, v98
	v_mul_u32_u24_e32 v104, 0x10001, v104
	;; [unrolled: 1-line block ×4, first 2 shown]
	s_wait_dscnt 0x1
	v_and_b32_e32 v118, 0xffff, v14
	v_and_b32_e32 v136, 0xffff, v15
	s_wait_dscnt 0x0
	v_pk_fma_f16 v60, v4, v21, v100
	v_pk_fma_f16 v94, v5, v21, v101
	;; [unrolled: 1-line block ×4, first 2 shown]
	v_mul_u32_u24_e32 v91, 0x10001, v97
	v_lshrrev_b32_e32 v100, 16, v12
	v_and_b32_e32 v101, 0xffff, v13
	v_lshrrev_b32_e32 v103, 16, v15
	s_delay_alu instid0(VALU_DEP_4)
	v_pk_fma_f16 v20, v5, v91, v20
	v_pk_fma_f16 v26, v6, v91, v26
	;; [unrolled: 1-line block ×4, first 2 shown]
	v_mul_u32_u24_e32 v91, 0x10001, v99
	v_and_b32_e32 v99, 0xffff, v12
	v_mul_u32_u24_e32 v12, 0x10001, v111
	v_mul_u32_u24_e32 v100, 0x10001, v100
	;; [unrolled: 1-line block ×3, first 2 shown]
	v_pk_fma_f16 v57, v5, v91, v57
	v_pk_fma_f16 v58, v6, v91, v58
	;; [unrolled: 1-line block ×4, first 2 shown]
	v_mul_u32_u24_e32 v91, 0x10001, v105
	v_lshrrev_b32_e32 v105, 16, v14
	v_mul_u32_u24_e32 v99, 0x10001, v99
	s_delay_alu instid0(VALU_DEP_3)
	v_pk_fma_f16 v9, v5, v91, v9
	v_pk_fma_f16 v10, v6, v91, v10
	;; [unrolled: 1-line block ×4, first 2 shown]
	ds_load_2addr_b64 v[4:7], v86 offset0:192 offset1:224
	v_lshrrev_b32_e32 v91, 16, v13
	s_wait_dscnt 0x0
	v_pk_fma_f16 v13, v4, v12, v60
	v_pk_fma_f16 v14, v5, v12, v94
	;; [unrolled: 1-line block ×4, first 2 shown]
	v_mul_u32_u24_e32 v21, 0x10001, v113
	s_delay_alu instid0(VALU_DEP_1) | instskip(SKIP_4) | instid1(VALU_DEP_1)
	v_pk_fma_f16 v20, v5, v21, v20
	v_pk_fma_f16 v26, v6, v21, v26
	;; [unrolled: 1-line block ×4, first 2 shown]
	v_mul_u32_u24_e32 v21, 0x10001, v112
	v_pk_fma_f16 v57, v5, v21, v57
	v_pk_fma_f16 v58, v6, v21, v58
	;; [unrolled: 1-line block ×4, first 2 shown]
	v_mul_u32_u24_e32 v21, 0x10001, v114
	s_delay_alu instid0(VALU_DEP_1)
	v_pk_fma_f16 v60, v5, v21, v9
	v_pk_fma_f16 v94, v6, v21, v10
	;; [unrolled: 1-line block ×4, first 2 shown]
	ds_load_2addr_b64 v[4:7], v87 offset1:32
	v_mul_u32_u24_e32 v9, 0x10001, v61
	v_mul_u32_u24_e32 v10, 0x10001, v92
	;; [unrolled: 1-line block ×3, first 2 shown]
	s_wait_dscnt 0x0
	s_delay_alu instid0(VALU_DEP_3) | instskip(NEXT) | instid1(VALU_DEP_3)
	v_pk_fma_f16 v55, v7, v9, v56
	v_pk_fma_f16 v56, v5, v10, v57
	;; [unrolled: 1-line block ×4, first 2 shown]
	v_mul_u32_u24_e32 v59, 0x10001, v93
	v_pk_fma_f16 v13, v4, v8, v13
	v_pk_fma_f16 v14, v5, v8, v14
	;; [unrolled: 1-line block ×8, first 2 shown]
	ds_load_2addr_b64 v[8:11], v87 offset0:64 offset1:96
	v_pk_fma_f16 v60, v5, v59, v60
	v_pk_fma_f16 v61, v6, v59, v94
	;; [unrolled: 1-line block ×4, first 2 shown]
	ds_load_b128 v[4:7], v79 offset:224
	v_mul_u32_u24_e32 v59, 0x10001, v117
	v_mul_u32_u24_e32 v93, 0x10001, v121
	;; [unrolled: 1-line block ×3, first 2 shown]
	s_wait_dscnt 0x1
	s_delay_alu instid0(VALU_DEP_3)
	v_pk_fma_f16 v95, v8, v59, v13
	v_pk_fma_f16 v96, v9, v59, v14
	v_pk_fma_f16 v97, v10, v59, v15
	v_pk_fma_f16 v59, v11, v59, v12
	v_pk_fma_f16 v20, v9, v93, v20
	v_pk_fma_f16 v26, v10, v93, v26
	v_pk_fma_f16 v55, v11, v93, v55
	v_pk_fma_f16 v18, v8, v93, v18
	ds_load_b128 v[12:15], v79 offset:240
	v_mul_u32_u24_e32 v93, 0x10001, v122
	s_wait_dscnt 0x1
	v_dual_lshrrev_b32 v111, 16, v5 :: v_dual_lshrrev_b32 v113, 16, v4
	v_and_b32_e32 v112, 0xffff, v4
	v_and_b32_e32 v114, 0xffff, v5
	v_dual_lshrrev_b32 v117, 16, v7 :: v_dual_lshrrev_b32 v120, 16, v6
	v_and_b32_e32 v121, 0xffff, v6
	v_and_b32_e32 v122, 0xffff, v7
	ds_load_2addr_b64 v[4:7], v87 offset0:128 offset1:160
	v_pk_fma_f16 v56, v9, v94, v56
	v_pk_fma_f16 v57, v10, v94, v57
	;; [unrolled: 1-line block ×8, first 2 shown]
	v_mul_u32_u24_e32 v120, 0x10001, v120
	s_wait_dscnt 0x0
	v_pk_fma_f16 v20, v5, v54, v20
	v_pk_fma_f16 v26, v6, v54, v26
	;; [unrolled: 1-line block ×4, first 2 shown]
	v_mul_u32_u24_e32 v54, 0x10001, v123
	v_pk_fma_f16 v21, v4, v17, v95
	v_pk_fma_f16 v60, v5, v17, v96
	;; [unrolled: 1-line block ×8, first 2 shown]
	v_mul_u32_u24_e32 v54, 0x10001, v124
	s_delay_alu instid0(VALU_DEP_1)
	v_pk_fma_f16 v59, v5, v54, v9
	v_pk_fma_f16 v92, v6, v54, v10
	;; [unrolled: 1-line block ×4, first 2 shown]
	ds_load_2addr_b64 v[4:7], v87 offset0:192 offset1:224
	v_mul_u32_u24_e32 v11, 0x10001, v126
	v_mul_u32_u24_e32 v8, 0x10001, v125
	;; [unrolled: 1-line block ×3, first 2 shown]
	s_wait_dscnt 0x0
	s_delay_alu instid0(VALU_DEP_3)
	v_pk_fma_f16 v94, v4, v11, v16
	v_mul_u32_u24_e32 v16, 0x10001, v128
	v_pk_fma_f16 v21, v4, v8, v21
	v_pk_fma_f16 v60, v5, v8, v60
	;; [unrolled: 1-line block ×15, first 2 shown]
	ds_load_2addr_b64 v[4:7], v88 offset1:32
	v_add_nc_u64_e32 v[8:9], s[2:3], v[44:45]
	v_mul_u32_u24_e32 v16, 0x10001, v19
	v_mul_u32_u24_e32 v19, 0x10001, v22
	;; [unrolled: 1-line block ×3, first 2 shown]
	v_add_nc_u64_e32 v[10:11], s[2:3], v[48:49]
	s_delay_alu instid0(VALU_DEP_1)
	v_add_nc_u64_e32 v[92:93], v[10:11], v[46:47]
	v_mul_u32_u24_e32 v10, 0x10001, v130
	v_and_b32_e32 v130, 0xffff, v14
	s_wait_dscnt 0x0
	v_pk_fma_f16 v21, v4, v16, v21
	v_pk_fma_f16 v60, v5, v16, v60
	v_pk_fma_f16 v61, v6, v16, v61
	v_pk_fma_f16 v126, v7, v16, v17
	v_add_nc_u64_e32 v[16:17], s[2:3], v[50:51]
	v_pk_fma_f16 v20, v5, v19, v20
	v_pk_fma_f16 v23, v6, v19, v26
	;; [unrolled: 1-line block ×4, first 2 shown]
	v_add_nc_u64_e32 v[18:19], s[2:3], v[52:53]
	v_pk_fma_f16 v55, v5, v22, v56
	v_pk_fma_f16 v56, v6, v22, v57
	v_pk_fma_f16 v57, v7, v22, v58
	v_add_nc_u64_e32 v[58:59], v[8:9], v[46:47]
	v_mul_u32_u24_e32 v8, 0x10001, v115
	v_pk_fma_f16 v22, v4, v22, v94
	v_add_nc_u64_e32 v[94:95], v[16:17], v[46:47]
	v_add_nc_u64_e32 v[96:97], v[18:19], v[46:47]
	v_mul_u32_u24_e32 v9, 0x10001, v131
	v_pk_fma_f16 v16, v5, v8, v123
	v_pk_fma_f16 v17, v6, v8, v124
	;; [unrolled: 1-line block ×4, first 2 shown]
	ds_load_2addr_b64 v[4:7], v88 offset0:64 offset1:96
	v_mul_u32_u24_e32 v8, 0x10001, v116
	v_mul_u32_u24_e32 v116, 0x10001, v132
	v_and_b32_e32 v131, 0xffff, v15
	s_wait_dscnt 0x0
	s_delay_alu instid0(VALU_DEP_3)
	v_pk_fma_f16 v21, v4, v8, v21
	v_pk_fma_f16 v54, v5, v8, v60
	;; [unrolled: 1-line block ×12, first 2 shown]
	ds_load_2addr_b64 v[8:11], v88 offset0:128 offset1:160
	v_pk_fma_f16 v123, v5, v116, v16
	v_pk_fma_f16 v124, v6, v116, v17
	v_pk_fma_f16 v125, v7, v116, v18
	v_pk_fma_f16 v116, v4, v116, v19
	ds_load_2addr_b64 v[4:7], v88 offset0:192 offset1:224
	v_mul_u32_u24_e32 v16, 0x10001, v24
	v_mul_u32_u24_e32 v17, 0x10001, v25
	;; [unrolled: 1-line block ×3, first 2 shown]
	s_wait_dscnt 0x1
	s_delay_alu instid0(VALU_DEP_3)
	v_pk_fma_f16 v21, v8, v16, v21
	v_pk_fma_f16 v24, v9, v16, v54
	;; [unrolled: 1-line block ×12, first 2 shown]
	ds_load_2addr_b64 v[16:19], v89 offset1:32
	v_mul_u32_u24_e32 v61, 0x10001, v119
	s_delay_alu instid0(VALU_DEP_1)
	v_pk_fma_f16 v102, v9, v61, v123
	v_pk_fma_f16 v115, v10, v61, v124
	;; [unrolled: 1-line block ×4, first 2 shown]
	ds_load_2addr_b64 v[8:11], v89 offset0:64 offset1:96
	v_mul_u32_u24_e32 v116, 0x10001, v129
	v_mul_u32_u24_e32 v123, 0x10001, v134
	v_mul_u32_u24_e32 v124, 0x10001, v133
	v_lshrrev_b32_e32 v129, 16, v14
	s_wait_dscnt 0x2
	v_pk_fma_f16 v125, v4, v116, v21
	v_pk_fma_f16 v24, v5, v116, v24
	;; [unrolled: 1-line block ×12, first 2 shown]
	v_mul_u32_u24_e32 v124, 0x10001, v135
	ds_load_2addr_b64 v[20:23], v89 offset0:128 offset1:160
	s_wait_dscnt 0x2
	v_pk_fma_f16 v116, v17, v98, v116
	v_pk_fma_f16 v126, v18, v98, v126
	;; [unrolled: 1-line block ×12, first 2 shown]
	v_mul_u32_u24_e32 v104, 0x10001, v106
	ds_load_2addr_b64 v[4:7], v89 offset0:192 offset1:224
	v_pk_fma_f16 v124, v16, v27, v125
	v_pk_fma_f16 v125, v17, v27, v24
	v_pk_fma_f16 v127, v18, v27, v25
	v_pk_fma_f16 v102, v17, v104, v102
	v_pk_fma_f16 v106, v18, v104, v115
	v_pk_fma_f16 v115, v19, v104, v119
	v_pk_fma_f16 v61, v16, v104, v61
	v_mul_u32_u24_e32 v104, 0x10001, v107
	v_mul_u32_u24_e32 v107, 0x10001, v109
	v_pk_fma_f16 v54, v19, v27, v54
	s_wait_dscnt 0x2
	v_pk_fma_f16 v98, v8, v108, v98
	ds_load_2addr_b64 v[24:27], v90 offset1:32
	v_pk_fma_f16 v109, v8, v104, v124
	v_pk_fma_f16 v119, v9, v104, v125
	;; [unrolled: 1-line block ×6, first 2 shown]
	v_mul_u32_u24_e32 v60, 0x10001, v110
	v_pk_fma_f16 v123, v10, v104, v127
	v_pk_fma_f16 v104, v11, v104, v54
	;; [unrolled: 1-line block ×9, first 2 shown]
	v_mul_u32_u24_e32 v60, 0x10001, v91
	s_wait_dscnt 0x2
	v_pk_fma_f16 v116, v21, v99, v116
	v_pk_fma_f16 v98, v20, v100, v98
	;; [unrolled: 1-line block ×13, first 2 shown]
	v_mul_u32_u24_e32 v20, 0x10001, v103
	ds_load_2addr_b64 v[16:19], v90 offset0:64 offset1:96
	ds_load_2addr_b64 v[54:57], v90 offset0:128 offset1:160
	;; [unrolled: 1-line block ×3, first 2 shown]
	s_wait_dscnt 0x0
	s_barrier_signal -1
	s_barrier_wait -1
	global_load_b128 v[58:61], v[58:59], off
	v_dual_lshrrev_b32 v107, 16, v13 :: v_dual_lshrrev_b32 v110, 16, v12
	v_pk_fma_f16 v124, v21, v100, v126
	v_pk_fma_f16 v125, v22, v100, v127
	;; [unrolled: 1-line block ×3, first 2 shown]
	v_and_b32_e32 v100, 0xffff, v12
	v_and_b32_e32 v127, 0xffff, v13
	v_lshrrev_b32_e32 v128, 16, v15
	global_load_b128 v[12:15], v[92:93], off
	s_wait_xcnt 0x0
	v_mul_u32_u24_e32 v92, 0x10001, v118
	v_mul_u32_u24_e32 v93, 0x10001, v105
	v_pk_fma_f16 v91, v4, v20, v91
	v_pk_fma_f16 v103, v5, v20, v109
	v_pk_fma_f16 v109, v6, v20, v115
	v_pk_fma_f16 v104, v7, v20, v104
	global_load_b128 v[20:23], v[94:95], off
	v_pk_fma_f16 v105, v5, v92, v116
	v_pk_fma_f16 v115, v6, v92, v119
	;; [unrolled: 1-line block ×8, first 2 shown]
	global_load_b128 v[92:95], v[96:97], off
	s_wait_xcnt 0x0
	v_mul_u32_u24_e32 v96, 0x10001, v136
	v_mul_u32_u24_e32 v97, 0x10001, v111
	;; [unrolled: 1-line block ×5, first 2 shown]
	v_pk_fma_f16 v5, v5, v96, v102
	v_pk_fma_f16 v6, v6, v96, v106
	;; [unrolled: 1-line block ×4, first 2 shown]
	v_mul_u32_u24_e32 v114, 0x10001, v117
	v_mul_u32_u24_e32 v117, 0x10001, v121
	;; [unrolled: 1-line block ×3, first 2 shown]
	v_pk_fma_f16 v91, v24, v97, v91
	v_pk_fma_f16 v96, v25, v97, v103
	;; [unrolled: 1-line block ×16, first 2 shown]
	v_mul_u32_u24_e32 v107, 0x10001, v107
	v_mul_u32_u24_e32 v100, 0x10001, v100
	;; [unrolled: 1-line block ×4, first 2 shown]
	v_pk_fma_f16 v24, v16, v114, v91
	v_pk_fma_f16 v27, v17, v114, v96
	;; [unrolled: 1-line block ×16, first 2 shown]
	v_mul_u32_u24_e32 v124, 0x10001, v128
	v_mul_u32_u24_e32 v125, 0x10001, v130
	;; [unrolled: 1-line block ×4, first 2 shown]
	v_pk_fma_f16 v16, v54, v107, v24
	v_pk_fma_f16 v19, v55, v107, v27
	;; [unrolled: 1-line block ×32, first 2 shown]
	s_wait_loadcnt 0x3
	ds_store_b128 v77, v[58:61]
	s_wait_loadcnt 0x2
	ds_store_b128 v80, v[12:15]
	;; [unrolled: 2-line block ×4, first 2 shown]
	s_wait_dscnt 0x0
	s_barrier_signal -1
	s_barrier_wait -1
	ds_load_b128 v[4:7], v79 offset:256
	ds_load_b128 v[8:11], v79 offset:272
	;; [unrolled: 1-line block ×6, first 2 shown]
	s_wait_dscnt 0x5
	v_and_b32_e32 v58, 0xffff, v4
	v_dual_lshrrev_b32 v59, 16, v4 :: v_dual_lshrrev_b32 v61, 16, v5
	v_and_b32_e32 v60, 0xffff, v5
	v_and_b32_e32 v92, 0xffff, v6
	v_dual_lshrrev_b32 v93, 16, v6 :: v_dual_lshrrev_b32 v94, 16, v7
	v_and_b32_e32 v95, 0xffff, v7
	ds_load_2addr_b64 v[4:7], v64 offset1:32
	s_wait_dscnt 0x5
	v_and_b32_e32 v107, 0xffff, v8
	v_dual_lshrrev_b32 v108, 16, v8 :: v_dual_lshrrev_b32 v110, 16, v9
	v_and_b32_e32 v109, 0xffff, v9
	v_and_b32_e32 v111, 0xffff, v10
	v_dual_lshrrev_b32 v112, 16, v10 :: v_dual_lshrrev_b32 v113, 16, v11
	v_mul_u32_u24_e32 v8, 0x10001, v58
	v_mul_u32_u24_e32 v9, 0x10001, v59
	;; [unrolled: 1-line block ×4, first 2 shown]
	v_and_b32_e32 v114, 0xffff, v11
	s_wait_dscnt 0x4
	v_and_b32_e32 v115, 0xffff, v12
	v_dual_lshrrev_b32 v116, 16, v12 :: v_dual_lshrrev_b32 v118, 16, v13
	v_and_b32_e32 v117, 0xffff, v13
	v_and_b32_e32 v119, 0xffff, v14
	v_dual_lshrrev_b32 v120, 16, v14 :: v_dual_lshrrev_b32 v121, 16, v15
	v_and_b32_e32 v122, 0xffff, v15
	s_wait_dscnt 0x0
	v_pk_fma_f16 v12, v4, v8, v104
	v_pk_fma_f16 v13, v5, v8, v99
	;; [unrolled: 1-line block ×12, first 2 shown]
	ds_load_2addr_b64 v[8:11], v64 offset0:64 offset1:96
	v_pk_fma_f16 v54, v4, v61, v54
	v_pk_fma_f16 v55, v5, v61, v55
	;; [unrolled: 1-line block ×4, first 2 shown]
	ds_load_b128 v[4:7], v79 offset:352
	v_mul_u32_u24_e32 v61, 0x10001, v92
	v_mul_u32_u24_e32 v92, 0x10001, v93
	;; [unrolled: 1-line block ×5, first 2 shown]
	v_and_b32_e32 v123, 0xffff, v16
	v_lshrrev_b32_e32 v16, 16, v16
	v_and_b32_e32 v124, 0xffff, v17
	v_lshrrev_b32_e32 v17, 16, v17
	v_and_b32_e32 v125, 0xffff, v18
	v_dual_lshrrev_b32 v18, 16, v18 :: v_dual_lshrrev_b32 v126, 16, v19
	v_mul_u32_u24_e32 v16, 0x10001, v16
	s_delay_alu instid0(VALU_DEP_4)
	v_mul_u32_u24_e32 v17, 0x10001, v17
	s_wait_dscnt 0x1
	v_pk_fma_f16 v95, v8, v61, v12
	v_pk_fma_f16 v100, v9, v61, v13
	;; [unrolled: 1-line block ×12, first 2 shown]
	ds_load_b128 v[12:15], v79 offset:368
	v_pk_fma_f16 v8, v8, v94, v54
	v_pk_fma_f16 v9, v9, v94, v55
	;; [unrolled: 1-line block ×4, first 2 shown]
	s_wait_dscnt 0x1
	v_and_b32_e32 v54, 0xffff, v4
	v_dual_lshrrev_b32 v55, 16, v4 :: v_dual_lshrrev_b32 v57, 16, v5
	v_and_b32_e32 v56, 0xffff, v5
	v_and_b32_e32 v94, 0xffff, v6
	v_dual_lshrrev_b32 v98, 16, v6 :: v_dual_lshrrev_b32 v99, 16, v7
	v_and_b32_e32 v102, 0xffff, v7
	ds_load_2addr_b64 v[4:7], v64 offset0:128 offset1:160
	v_and_b32_e32 v19, 0xffff, v19
	v_mul_u32_u24_e32 v18, 0x10001, v18
	v_and_b32_e32 v127, 0xffff, v20
	v_lshrrev_b32_e32 v20, 16, v20
	v_and_b32_e32 v128, 0xffff, v21
	s_wait_dscnt 0x1
	v_dual_lshrrev_b32 v21, 16, v21 :: v_dual_lshrrev_b32 v104, 16, v12
	v_lshrrev_b32_e32 v106, 16, v13
	v_and_b32_e32 v105, 0xffff, v13
	v_and_b32_e32 v107, 0xffff, v14
	s_delay_alu instid0(VALU_DEP_4)
	v_mul_u32_u24_e32 v21, 0x10001, v21
	v_and_b32_e32 v129, 0xffff, v22
	v_dual_lshrrev_b32 v22, 16, v22 :: v_dual_lshrrev_b32 v130, 16, v23
	v_and_b32_e32 v23, 0xffff, v23
	v_and_b32_e32 v131, 0xffff, v24
	v_lshrrev_b32_e32 v24, 16, v24
	s_delay_alu instid0(VALU_DEP_4)
	v_mul_u32_u24_e32 v22, 0x10001, v22
	v_and_b32_e32 v132, 0xffff, v25
	s_wait_dscnt 0x0
	v_pk_fma_f16 v95, v4, v103, v95
	v_pk_fma_f16 v100, v5, v103, v100
	;; [unrolled: 1-line block ×4, first 2 shown]
	v_mul_u32_u24_e32 v103, 0x10001, v108
	v_lshrrev_b32_e32 v108, 16, v14
	v_mul_u32_u24_e32 v23, 0x10001, v23
	v_lshrrev_b32_e32 v25, 16, v25
	v_mul_u32_u24_e32 v24, 0x10001, v24
	v_pk_fma_f16 v58, v4, v103, v58
	v_pk_fma_f16 v59, v5, v103, v59
	;; [unrolled: 1-line block ×4, first 2 shown]
	v_mul_u32_u24_e32 v103, 0x10001, v109
	v_lshrrev_b32_e32 v109, 16, v15
	v_and_b32_e32 v133, 0xffff, v26
	v_dual_lshrrev_b32 v26, 16, v26 :: v_dual_lshrrev_b32 v134, 16, v27
	s_delay_alu instid0(VALU_DEP_4)
	v_pk_fma_f16 v92, v4, v103, v92
	v_pk_fma_f16 v96, v5, v103, v96
	v_pk_fma_f16 v97, v6, v103, v97
	v_pk_fma_f16 v93, v7, v103, v93
	v_mul_u32_u24_e32 v103, 0x10001, v110
	v_and_b32_e32 v110, 0xffff, v15
	v_and_b32_e32 v27, 0xffff, v27
	v_mul_u32_u24_e32 v26, 0x10001, v26
	s_delay_alu instid0(VALU_DEP_4)
	v_pk_fma_f16 v8, v4, v103, v8
	v_pk_fma_f16 v9, v5, v103, v9
	;; [unrolled: 1-line block ×4, first 2 shown]
	ds_load_2addr_b64 v[4:7], v64 offset0:192 offset1:224
	v_and_b32_e32 v103, 0xffff, v12
	v_mul_u32_u24_e32 v12, 0x10001, v111
	v_mul_u32_u24_e32 v111, 0x10001, v118
	s_delay_alu instid0(VALU_DEP_3) | instskip(SKIP_1) | instid1(VALU_DEP_3)
	v_mul_u32_u24_e32 v103, 0x10001, v103
	s_wait_dscnt 0x0
	v_pk_fma_f16 v13, v4, v12, v95
	v_pk_fma_f16 v14, v5, v12, v100
	;; [unrolled: 1-line block ×4, first 2 shown]
	v_mul_u32_u24_e32 v61, 0x10001, v112
	v_mul_u32_u24_e32 v112, 0x10001, v120
	s_delay_alu instid0(VALU_DEP_2) | instskip(SKIP_4) | instid1(VALU_DEP_1)
	v_pk_fma_f16 v58, v4, v61, v58
	v_pk_fma_f16 v59, v5, v61, v59
	;; [unrolled: 1-line block ×4, first 2 shown]
	v_mul_u32_u24_e32 v91, 0x10001, v114
	v_pk_fma_f16 v92, v4, v91, v92
	v_pk_fma_f16 v95, v5, v91, v96
	;; [unrolled: 1-line block ×4, first 2 shown]
	v_mul_u32_u24_e32 v93, 0x10001, v113
	v_mul_u32_u24_e32 v113, 0x10001, v122
	s_delay_alu instid0(VALU_DEP_2)
	v_pk_fma_f16 v97, v4, v93, v8
	v_pk_fma_f16 v100, v5, v93, v9
	;; [unrolled: 1-line block ×4, first 2 shown]
	ds_load_2addr_b64 v[4:7], v84 offset1:32
	v_mul_u32_u24_e32 v8, 0x10001, v115
	v_mul_u32_u24_e32 v9, 0x10001, v116
	;; [unrolled: 1-line block ×3, first 2 shown]
	s_wait_dscnt 0x0
	s_delay_alu instid0(VALU_DEP_3)
	v_pk_fma_f16 v13, v4, v8, v13
	v_pk_fma_f16 v14, v5, v8, v14
	;; [unrolled: 1-line block ×12, first 2 shown]
	ds_load_2addr_b64 v[8:11], v84 offset0:64 offset1:96
	v_pk_fma_f16 v97, v4, v111, v97
	v_pk_fma_f16 v100, v5, v111, v100
	;; [unrolled: 1-line block ×4, first 2 shown]
	ds_load_b128 v[4:7], v79 offset:384
	v_mul_u32_u24_e32 v111, 0x10001, v119
	v_mul_u32_u24_e32 v119, 0x10001, v123
	s_wait_dscnt 0x1
	v_pk_fma_f16 v58, v8, v112, v58
	v_pk_fma_f16 v59, v9, v112, v59
	;; [unrolled: 1-line block ×4, first 2 shown]
	v_mul_u32_u24_e32 v112, 0x10001, v121
	v_pk_fma_f16 v114, v8, v111, v13
	v_pk_fma_f16 v115, v9, v111, v14
	;; [unrolled: 1-line block ×8, first 2 shown]
	ds_load_b128 v[12:15], v79 offset:400
	v_pk_fma_f16 v8, v8, v112, v97
	v_pk_fma_f16 v9, v9, v112, v100
	;; [unrolled: 1-line block ×4, first 2 shown]
	s_wait_dscnt 0x1
	v_and_b32_e32 v93, 0xffff, v4
	v_dual_lshrrev_b32 v97, 16, v4 :: v_dual_lshrrev_b32 v101, 16, v5
	v_and_b32_e32 v100, 0xffff, v5
	v_and_b32_e32 v112, 0xffff, v6
	v_dual_lshrrev_b32 v113, 16, v6 :: v_dual_lshrrev_b32 v117, 16, v7
	v_and_b32_e32 v118, 0xffff, v7
	ds_load_2addr_b64 v[4:7], v84 offset0:128 offset1:160
	s_wait_dscnt 0x1
	v_lshrrev_b32_e32 v120, 16, v13
	v_and_b32_e32 v121, 0xffff, v14
	v_dual_lshrrev_b32 v122, 16, v14 :: v_dual_lshrrev_b32 v123, 16, v15
	s_wait_dscnt 0x0
	v_pk_fma_f16 v58, v4, v16, v58
	v_pk_fma_f16 v59, v5, v16, v59
	;; [unrolled: 1-line block ×4, first 2 shown]
	v_mul_u32_u24_e32 v61, 0x10001, v124
	v_pk_fma_f16 v114, v4, v119, v114
	v_pk_fma_f16 v115, v5, v119, v115
	;; [unrolled: 1-line block ×12, first 2 shown]
	ds_load_2addr_b64 v[4:7], v84 offset0:192 offset1:224
	v_and_b32_e32 v17, 0xffff, v12
	v_lshrrev_b32_e32 v91, 16, v12
	v_mul_u32_u24_e32 v12, 0x10001, v125
	v_and_b32_e32 v119, 0xffff, v13
	v_and_b32_e32 v124, 0xffff, v15
	v_mul_u32_u24_e32 v17, 0x10001, v17
	v_mul_u32_u24_e32 v91, 0x10001, v91
	s_wait_dscnt 0x0
	v_pk_fma_f16 v58, v4, v18, v58
	v_pk_fma_f16 v59, v5, v18, v59
	;; [unrolled: 1-line block ×4, first 2 shown]
	v_mul_u32_u24_e32 v18, 0x10001, v19
	v_pk_fma_f16 v13, v4, v12, v114
	v_pk_fma_f16 v14, v5, v12, v115
	;; [unrolled: 1-line block ×8, first 2 shown]
	v_mul_u32_u24_e32 v61, 0x10001, v126
	s_delay_alu instid0(VALU_DEP_1)
	v_pk_fma_f16 v96, v4, v61, v8
	v_pk_fma_f16 v111, v5, v61, v9
	;; [unrolled: 1-line block ×4, first 2 shown]
	ds_load_2addr_b64 v[4:7], v85 offset1:32
	v_mul_u32_u24_e32 v8, 0x10001, v127
	v_mul_u32_u24_e32 v9, 0x10001, v20
	;; [unrolled: 1-line block ×4, first 2 shown]
	s_wait_dscnt 0x0
	v_pk_fma_f16 v13, v4, v8, v13
	v_pk_fma_f16 v14, v5, v8, v14
	v_pk_fma_f16 v15, v6, v8, v15
	v_pk_fma_f16 v12, v7, v8, v12
	v_pk_fma_f16 v20, v4, v9, v58
	v_pk_fma_f16 v58, v5, v9, v59
	v_pk_fma_f16 v59, v6, v9, v60
	v_pk_fma_f16 v16, v7, v9, v16
	v_pk_fma_f16 v19, v4, v10, v19
	v_pk_fma_f16 v60, v5, v10, v92
	v_pk_fma_f16 v92, v6, v10, v95
	v_pk_fma_f16 v18, v7, v10, v18
	ds_load_2addr_b64 v[8:11], v85 offset0:64 offset1:96
	v_pk_fma_f16 v95, v4, v21, v96
	v_pk_fma_f16 v96, v5, v21, v111
	;; [unrolled: 1-line block ×4, first 2 shown]
	ds_load_b128 v[4:7], v79 offset:416
	v_mul_u32_u24_e32 v61, 0x10001, v129
	s_wait_dscnt 0x1
	v_pk_fma_f16 v20, v8, v22, v20
	v_pk_fma_f16 v58, v9, v22, v58
	;; [unrolled: 1-line block ×8, first 2 shown]
	v_mul_u32_u24_e32 v23, 0x10001, v130
	v_pk_fma_f16 v114, v8, v61, v13
	v_pk_fma_f16 v115, v9, v61, v14
	;; [unrolled: 1-line block ×4, first 2 shown]
	ds_load_b128 v[12:15], v79 offset:432
	v_pk_fma_f16 v8, v8, v23, v95
	v_pk_fma_f16 v9, v9, v23, v96
	;; [unrolled: 1-line block ×4, first 2 shown]
	s_wait_dscnt 0x1
	v_and_b32_e32 v21, 0xffff, v4
	v_dual_lshrrev_b32 v23, 16, v4 :: v_dual_lshrrev_b32 v95, 16, v5
	v_and_b32_e32 v92, 0xffff, v5
	v_and_b32_e32 v96, 0xffff, v6
	v_dual_lshrrev_b32 v111, 16, v6 :: v_dual_lshrrev_b32 v125, 16, v7
	v_and_b32_e32 v126, 0xffff, v7
	ds_load_2addr_b64 v[4:7], v85 offset0:128 offset1:160
	s_wait_dscnt 0x1
	v_lshrrev_b32_e32 v128, 16, v13
	v_and_b32_e32 v129, 0xffff, v14
	v_dual_lshrrev_b32 v130, 16, v14 :: v_dual_lshrrev_b32 v131, 16, v15
	s_wait_dscnt 0x0
	v_pk_fma_f16 v20, v4, v24, v20
	v_pk_fma_f16 v58, v5, v24, v58
	;; [unrolled: 1-line block ×4, first 2 shown]
	v_mul_u32_u24_e32 v24, 0x10001, v132
	v_pk_fma_f16 v114, v4, v127, v114
	v_pk_fma_f16 v115, v5, v127, v115
	;; [unrolled: 1-line block ×8, first 2 shown]
	v_mul_u32_u24_e32 v24, 0x10001, v25
	v_lshrrev_b32_e32 v25, 16, v12
	v_and_b32_e32 v127, 0xffff, v13
	v_and_b32_e32 v132, 0xffff, v15
	s_delay_alu instid0(VALU_DEP_4)
	v_pk_fma_f16 v8, v4, v24, v8
	v_pk_fma_f16 v9, v5, v24, v9
	;; [unrolled: 1-line block ×4, first 2 shown]
	ds_load_2addr_b64 v[4:7], v85 offset0:192 offset1:224
	v_and_b32_e32 v24, 0xffff, v12
	v_mul_u32_u24_e32 v12, 0x10001, v133
	s_wait_dscnt 0x0
	v_pk_fma_f16 v20, v4, v26, v20
	v_pk_fma_f16 v58, v5, v26, v58
	;; [unrolled: 1-line block ×4, first 2 shown]
	v_mul_u32_u24_e32 v26, 0x10001, v27
	v_pk_fma_f16 v13, v4, v12, v114
	v_pk_fma_f16 v14, v5, v12, v115
	;; [unrolled: 1-line block ×8, first 2 shown]
	v_mul_u32_u24_e32 v26, 0x10001, v134
	s_delay_alu instid0(VALU_DEP_1)
	v_pk_fma_f16 v60, v4, v26, v8
	v_pk_fma_f16 v61, v5, v26, v9
	v_pk_fma_f16 v114, v6, v26, v10
	v_pk_fma_f16 v26, v7, v26, v11
	ds_load_2addr_b64 v[4:7], v86 offset1:32
	v_mul_u32_u24_e32 v8, 0x10001, v54
	v_mul_u32_u24_e32 v9, 0x10001, v55
	;; [unrolled: 1-line block ×4, first 2 shown]
	s_wait_dscnt 0x0
	v_pk_fma_f16 v13, v4, v8, v13
	v_pk_fma_f16 v14, v5, v8, v14
	;; [unrolled: 1-line block ×12, first 2 shown]
	ds_load_2addr_b64 v[8:11], v86 offset0:64 offset1:96
	v_pk_fma_f16 v57, v4, v56, v60
	v_pk_fma_f16 v58, v5, v56, v61
	;; [unrolled: 1-line block ×4, first 2 shown]
	ds_load_b128 v[4:7], v79 offset:448
	v_mul_u32_u24_e32 v60, 0x10001, v98
	v_mul_u32_u24_e32 v56, 0x10001, v94
	;; [unrolled: 1-line block ×3, first 2 shown]
	s_wait_dscnt 0x1
	s_delay_alu instid0(VALU_DEP_3)
	v_pk_fma_f16 v20, v8, v60, v20
	v_pk_fma_f16 v54, v9, v60, v54
	v_pk_fma_f16 v55, v10, v60, v55
	v_pk_fma_f16 v16, v11, v60, v16
	v_mul_u32_u24_e32 v60, 0x10001, v99
	v_pk_fma_f16 v94, v8, v56, v13
	v_pk_fma_f16 v98, v9, v56, v14
	;; [unrolled: 1-line block ×8, first 2 shown]
	ds_load_b128 v[12:15], v79 offset:464
	v_pk_fma_f16 v8, v8, v60, v57
	v_pk_fma_f16 v9, v9, v60, v58
	;; [unrolled: 1-line block ×4, first 2 shown]
	s_wait_dscnt 0x1
	v_and_b32_e32 v26, 0xffff, v4
	v_dual_lshrrev_b32 v57, 16, v4 :: v_dual_lshrrev_b32 v59, 16, v5
	v_and_b32_e32 v58, 0xffff, v5
	v_and_b32_e32 v60, 0xffff, v6
	v_dual_lshrrev_b32 v61, 16, v6 :: v_dual_lshrrev_b32 v99, 16, v7
	v_and_b32_e32 v114, 0xffff, v7
	ds_load_2addr_b64 v[4:7], v86 offset0:128 offset1:160
	v_mul_u32_u24_e32 v26, 0x10001, v26
	v_mul_u32_u24_e32 v57, 0x10001, v57
	;; [unrolled: 1-line block ×4, first 2 shown]
	s_wait_dscnt 0x1
	v_and_b32_e32 v115, 0xffff, v14
	v_dual_lshrrev_b32 v116, 16, v14 :: v_dual_lshrrev_b32 v133, 16, v15
	v_and_b32_e32 v134, 0xffff, v15
	s_wait_dscnt 0x0
	v_pk_fma_f16 v94, v4, v103, v94
	v_pk_fma_f16 v98, v5, v103, v98
	;; [unrolled: 1-line block ×4, first 2 shown]
	v_mul_u32_u24_e32 v103, 0x10001, v104
	v_lshrrev_b32_e32 v104, 16, v12
	s_delay_alu instid0(VALU_DEP_2)
	v_pk_fma_f16 v20, v4, v103, v20
	v_pk_fma_f16 v54, v5, v103, v54
	;; [unrolled: 1-line block ×4, first 2 shown]
	v_mul_u32_u24_e32 v103, 0x10001, v105
	v_and_b32_e32 v105, 0xffff, v13
	s_delay_alu instid0(VALU_DEP_2)
	v_pk_fma_f16 v19, v4, v103, v19
	v_pk_fma_f16 v22, v5, v103, v22
	;; [unrolled: 1-line block ×4, first 2 shown]
	v_mul_u32_u24_e32 v103, 0x10001, v106
	v_lshrrev_b32_e32 v106, 16, v13
	s_delay_alu instid0(VALU_DEP_2)
	v_pk_fma_f16 v8, v4, v103, v8
	v_pk_fma_f16 v9, v5, v103, v9
	;; [unrolled: 1-line block ×4, first 2 shown]
	ds_load_2addr_b64 v[4:7], v86 offset0:192 offset1:224
	v_and_b32_e32 v103, 0xffff, v12
	v_mul_u32_u24_e32 v12, 0x10001, v107
	s_wait_dscnt 0x0
	s_delay_alu instid0(VALU_DEP_1) | instskip(SKIP_4) | instid1(VALU_DEP_1)
	v_pk_fma_f16 v13, v4, v12, v94
	v_pk_fma_f16 v14, v5, v12, v98
	;; [unrolled: 1-line block ×4, first 2 shown]
	v_mul_u32_u24_e32 v56, 0x10001, v108
	v_pk_fma_f16 v20, v4, v56, v20
	v_pk_fma_f16 v54, v5, v56, v54
	;; [unrolled: 1-line block ×4, first 2 shown]
	v_mul_u32_u24_e32 v56, 0x10001, v110
	s_delay_alu instid0(VALU_DEP_1) | instskip(SKIP_4) | instid1(VALU_DEP_1)
	v_pk_fma_f16 v19, v4, v56, v19
	v_pk_fma_f16 v22, v5, v56, v22
	;; [unrolled: 1-line block ×4, first 2 shown]
	v_mul_u32_u24_e32 v56, 0x10001, v109
	v_pk_fma_f16 v94, v4, v56, v8
	v_pk_fma_f16 v98, v5, v56, v9
	;; [unrolled: 1-line block ×4, first 2 shown]
	ds_load_2addr_b64 v[4:7], v87 offset1:32
	v_mul_u32_u24_e32 v8, 0x10001, v93
	v_mul_u32_u24_e32 v9, 0x10001, v97
	v_mul_u32_u24_e32 v10, 0x10001, v100
	v_mul_u32_u24_e32 v93, 0x10001, v101
	v_mul_u32_u24_e32 v100, 0x10001, v113
	v_mul_u32_u24_e32 v101, 0x10001, v118
	s_wait_dscnt 0x0
	v_pk_fma_f16 v13, v4, v8, v13
	v_pk_fma_f16 v14, v5, v8, v14
	;; [unrolled: 1-line block ×12, first 2 shown]
	ds_load_2addr_b64 v[8:11], v87 offset0:64 offset1:96
	v_pk_fma_f16 v94, v4, v93, v94
	v_pk_fma_f16 v97, v5, v93, v98
	;; [unrolled: 1-line block ×4, first 2 shown]
	ds_load_b128 v[4:7], v79 offset:480
	v_mul_u32_u24_e32 v93, 0x10001, v112
	s_wait_dscnt 0x1
	v_pk_fma_f16 v20, v8, v100, v20
	v_pk_fma_f16 v54, v9, v100, v54
	;; [unrolled: 1-line block ×4, first 2 shown]
	v_mul_u32_u24_e32 v100, 0x10001, v117
	v_pk_fma_f16 v102, v8, v93, v13
	v_pk_fma_f16 v107, v9, v93, v14
	;; [unrolled: 1-line block ×8, first 2 shown]
	ds_load_b128 v[12:15], v79 offset:496
	v_pk_fma_f16 v8, v8, v100, v94
	v_pk_fma_f16 v9, v9, v100, v97
	;; [unrolled: 1-line block ×4, first 2 shown]
	s_wait_dscnt 0x1
	v_and_b32_e32 v94, 0xffff, v4
	v_dual_lshrrev_b32 v97, 16, v4 :: v_dual_lshrrev_b32 v100, 16, v5
	v_and_b32_e32 v98, 0xffff, v5
	v_and_b32_e32 v101, 0xffff, v6
	v_dual_lshrrev_b32 v109, 16, v6 :: v_dual_lshrrev_b32 v110, 16, v7
	v_and_b32_e32 v112, 0xffff, v7
	ds_load_2addr_b64 v[4:7], v87 offset0:128 offset1:160
	v_mul_u32_u24_e32 v94, 0x10001, v94
	v_mul_u32_u24_e32 v97, 0x10001, v97
	;; [unrolled: 1-line block ×6, first 2 shown]
	s_wait_dscnt 0x1
	v_lshrrev_b32_e32 v113, 16, v13
	v_and_b32_e32 v117, 0xffff, v14
	v_lshrrev_b32_e32 v118, 16, v14
	v_mul_u32_u24_e32 v112, 0x10001, v112
	v_mul_u32_u24_e32 v110, 0x10001, v110
	;; [unrolled: 1-line block ×4, first 2 shown]
	s_wait_dscnt 0x0
	v_pk_fma_f16 v20, v4, v91, v20
	v_pk_fma_f16 v54, v5, v91, v54
	;; [unrolled: 1-line block ×4, first 2 shown]
	v_mul_u32_u24_e32 v91, 0x10001, v119
	v_pk_fma_f16 v56, v4, v17, v102
	v_pk_fma_f16 v102, v5, v17, v107
	;; [unrolled: 1-line block ×8, first 2 shown]
	v_mul_u32_u24_e32 v91, 0x10001, v120
	v_lshrrev_b32_e32 v93, 16, v12
	v_and_b32_e32 v108, 0xffff, v13
	v_lshrrev_b32_e32 v119, 16, v15
	v_and_b32_e32 v120, 0xffff, v15
	v_pk_fma_f16 v8, v4, v91, v8
	v_pk_fma_f16 v9, v5, v91, v9
	;; [unrolled: 1-line block ×4, first 2 shown]
	ds_load_2addr_b64 v[4:7], v87 offset0:192 offset1:224
	v_and_b32_e32 v91, 0xffff, v12
	v_mul_u32_u24_e32 v12, 0x10001, v121
	v_mul_u32_u24_e32 v121, 0x10001, v128
	;; [unrolled: 1-line block ×8, first 2 shown]
	s_wait_dscnt 0x0
	v_pk_fma_f16 v13, v4, v12, v56
	v_pk_fma_f16 v14, v5, v12, v102
	;; [unrolled: 1-line block ×4, first 2 shown]
	v_mul_u32_u24_e32 v17, 0x10001, v122
	v_mul_u32_u24_e32 v122, 0x10001, v130
	s_delay_alu instid0(VALU_DEP_2) | instskip(SKIP_4) | instid1(VALU_DEP_1)
	v_pk_fma_f16 v20, v4, v17, v20
	v_pk_fma_f16 v54, v5, v17, v54
	;; [unrolled: 1-line block ×4, first 2 shown]
	v_mul_u32_u24_e32 v17, 0x10001, v124
	v_pk_fma_f16 v19, v4, v17, v19
	v_pk_fma_f16 v22, v5, v17, v22
	;; [unrolled: 1-line block ×4, first 2 shown]
	v_mul_u32_u24_e32 v18, 0x10001, v123
	v_mul_u32_u24_e32 v123, 0x10001, v132
	s_delay_alu instid0(VALU_DEP_2)
	v_pk_fma_f16 v56, v4, v18, v8
	v_pk_fma_f16 v102, v5, v18, v9
	;; [unrolled: 1-line block ×4, first 2 shown]
	ds_load_2addr_b64 v[4:7], v88 offset1:32
	v_mul_u32_u24_e32 v8, 0x10001, v21
	v_mul_u32_u24_e32 v9, 0x10001, v23
	;; [unrolled: 1-line block ×3, first 2 shown]
	s_wait_dscnt 0x0
	s_delay_alu instid0(VALU_DEP_3)
	v_pk_fma_f16 v13, v4, v8, v13
	v_pk_fma_f16 v14, v5, v8, v14
	;; [unrolled: 1-line block ×12, first 2 shown]
	ds_load_2addr_b64 v[8:11], v88 offset0:64 offset1:96
	v_mul_u32_u24_e32 v54, 0x10001, v95
	v_mul_u32_u24_e32 v95, 0x10001, v111
	s_delay_alu instid0(VALU_DEP_2)
	v_pk_fma_f16 v55, v4, v54, v56
	v_pk_fma_f16 v56, v5, v54, v102
	;; [unrolled: 1-line block ×4, first 2 shown]
	ds_load_2addr_b64 v[4:7], v88 offset0:128 offset1:160
	v_mul_u32_u24_e32 v54, 0x10001, v96
	v_mul_u32_u24_e32 v96, 0x10001, v126
	s_wait_dscnt 0x1
	s_delay_alu instid0(VALU_DEP_2)
	v_pk_fma_f16 v102, v8, v54, v13
	v_pk_fma_f16 v107, v9, v54, v14
	;; [unrolled: 1-line block ×4, first 2 shown]
	ds_load_2addr_b64 v[12:15], v88 offset0:192 offset1:224
	v_pk_fma_f16 v20, v8, v95, v20
	v_pk_fma_f16 v21, v9, v95, v21
	;; [unrolled: 1-line block ×4, first 2 shown]
	v_mul_u32_u24_e32 v95, 0x10001, v125
	v_pk_fma_f16 v19, v8, v96, v19
	v_pk_fma_f16 v22, v9, v96, v22
	;; [unrolled: 1-line block ×8, first 2 shown]
	ds_load_2addr_b64 v[8:11], v89 offset1:32
	v_mul_u32_u24_e32 v18, 0x10001, v24
	v_mul_u32_u24_e32 v24, 0x10001, v25
	;; [unrolled: 1-line block ×3, first 2 shown]
	s_wait_dscnt 0x2
	v_pk_fma_f16 v55, v4, v121, v55
	v_pk_fma_f16 v56, v5, v121, v56
	;; [unrolled: 1-line block ×14, first 2 shown]
	ds_load_2addr_b64 v[16:19], v89 offset0:64 offset1:96
	v_pk_fma_f16 v92, v6, v121, v92
	v_pk_fma_f16 v95, v7, v121, v95
	v_mul_u32_u24_e32 v121, 0x10001, v129
	s_wait_dscnt 0x2
	v_pk_fma_f16 v124, v13, v122, v21
	v_pk_fma_f16 v125, v14, v122, v23
	;; [unrolled: 1-line block ×12, first 2 shown]
	v_mul_u32_u24_e32 v123, 0x10001, v131
	ds_load_2addr_b64 v[4:7], v89 offset0:128 offset1:160
	ds_load_2addr_b64 v[20:23], v89 offset0:192 offset1:224
	s_wait_dscnt 0x3
	v_pk_fma_f16 v96, v8, v26, v96
	v_pk_fma_f16 v107, v10, v26, v107
	;; [unrolled: 1-line block ×15, first 2 shown]
	v_mul_u32_u24_e32 v55, 0x10001, v60
	v_mul_u32_u24_e32 v56, 0x10001, v61
	;; [unrolled: 1-line block ×3, first 2 shown]
	ds_load_2addr_b64 v[12:15], v90 offset1:32
	v_pk_fma_f16 v102, v9, v26, v102
	v_pk_fma_f16 v54, v11, v26, v54
	;; [unrolled: 1-line block ×5, first 2 shown]
	s_wait_dscnt 0x3
	v_pk_fma_f16 v61, v16, v55, v96
	v_pk_fma_f16 v96, v18, v55, v107
	;; [unrolled: 1-line block ×8, first 2 shown]
	v_mul_u32_u24_e32 v60, 0x10001, v99
	ds_load_2addr_b64 v[24:27], v90 offset0:64 offset1:96
	v_pk_fma_f16 v95, v17, v55, v102
	v_pk_fma_f16 v102, v19, v55, v54
	;; [unrolled: 1-line block ×4, first 2 shown]
	v_mul_u32_u24_e32 v99, 0x10001, v103
	v_mul_u32_u24_e32 v103, 0x10001, v104
	;; [unrolled: 1-line block ×4, first 2 shown]
	v_pk_fma_f16 v16, v16, v60, v126
	v_pk_fma_f16 v17, v17, v60, v127
	;; [unrolled: 1-line block ×4, first 2 shown]
	ds_load_2addr_b64 v[8:11], v90 offset0:128 offset1:160
	v_mul_u32_u24_e32 v106, 0x10001, v115
	v_mul_u32_u24_e32 v115, 0x10001, v116
	;; [unrolled: 1-line block ×4, first 2 shown]
	s_wait_dscnt 0x4
	v_pk_fma_f16 v59, v4, v99, v61
	v_pk_fma_f16 v60, v5, v99, v95
	;; [unrolled: 1-line block ×16, first 2 shown]
	ds_load_2addr_b64 v[54:57], v90 offset0:192 offset1:224
	s_wait_dscnt 0x0
	s_barrier_signal -1
	s_barrier_wait -1
	s_load_b32 s2, s[40:41], 0x4
	v_pk_fma_f16 v16, v20, v106, v59
	v_pk_fma_f16 v17, v21, v106, v60
	;; [unrolled: 1-line block ×64, first 2 shown]
	s_wait_kmcnt 0x0
	s_lshl_b32 s2, s2, 6
	v_pk_fma_f16 v103, v54, v117, v12
	v_pk_fma_f16 v106, v55, v117, v13
	;; [unrolled: 1-line block ×16, first 2 shown]
	s_add_co_i32 s14, s2, s14
	s_delay_alu instid0(SALU_CYCLE_1)
	s_cmp_ge_i32 s14, s30
	s_cbranch_scc0 .LBB0_9
; %bb.10:
	v_dual_mov_b32 v4, 32 :: v_dual_mov_b32 v5, v65
.LBB0_11:
	s_delay_alu instid0(VALU_DEP_1)
	v_cmp_lt_i32_e32 vcc_lo, v70, v4
	s_cmp_lg_u64 s[16:17], 0
	s_cselect_b32 s2, -1, 0
	s_cmp_eq_u32 s31, 0
	v_cndmask_b32_e32 v6, v5, v70, vcc_lo
	v_cmp_lt_i32_e32 vcc_lo, v69, v4
	s_cselect_b32 s3, -1, 0
	s_delay_alu instid0(SALU_CYCLE_1)
	s_and_b32 s2, s3, s2
	v_cndmask_b32_e32 v10, v5, v69, vcc_lo
	v_cmp_lt_i32_e32 vcc_lo, v68, v4
	v_dual_cndmask_b32 v14, v5, v68 :: v_dual_lshlrev_b32 v9, 2, v6
	ds_bpermute_b32 v6, v9, v32
	ds_bpermute_b32 v7, v9, v33
	;; [unrolled: 1-line block ×4, first 2 shown]
	v_cmp_lt_i32_e32 vcc_lo, v67, v4
	v_lshlrev_b32_e32 v13, 2, v10
	v_lshlrev_b32_e32 v14, 2, v14
	s_wait_dscnt 0x2
	v_pk_add_f32 v[6:7], v[32:33], v[6:7]
	s_wait_dscnt 0x0
	v_pk_add_f32 v[8:9], v[30:31], v[8:9]
	ds_bpermute_b32 v10, v13, v6
	ds_bpermute_b32 v11, v13, v7
	;; [unrolled: 1-line block ×4, first 2 shown]
	s_wait_dscnt 0x2
	v_pk_add_f32 v[6:7], v[6:7], v[10:11]
	s_wait_dscnt 0x0
	v_pk_add_f32 v[8:9], v[8:9], v[12:13]
	ds_bpermute_b32 v10, v14, v6
	ds_bpermute_b32 v11, v14, v7
	;; [unrolled: 1-line block ×4, first 2 shown]
	v_cndmask_b32_e32 v14, v5, v67, vcc_lo
	v_cmp_lt_i32_e32 vcc_lo, v66, v4
	s_delay_alu instid0(VALU_DEP_2)
	v_lshlrev_b32_e32 v14, 2, v14
	v_cndmask_b32_e32 v4, v5, v66, vcc_lo
	s_and_b32 vcc_lo, exec_lo, s2
	s_wait_dscnt 0x2
	v_pk_add_f32 v[6:7], v[6:7], v[10:11]
	s_wait_dscnt 0x0
	v_pk_add_f32 v[8:9], v[8:9], v[12:13]
	ds_bpermute_b32 v10, v14, v6
	ds_bpermute_b32 v11, v14, v7
	;; [unrolled: 1-line block ×4, first 2 shown]
	v_lshlrev_b32_e32 v14, 2, v4
	s_wait_dscnt 0x2
	v_pk_add_f32 v[4:5], v[6:7], v[10:11]
	s_wait_dscnt 0x0
	v_pk_add_f32 v[8:9], v[8:9], v[12:13]
	ds_bpermute_b32 v6, v14, v4
	ds_bpermute_b32 v7, v14, v5
	;; [unrolled: 1-line block ×4, first 2 shown]
	s_wait_dscnt 0x2
	v_pk_add_f32 v[6:7], v[4:5], v[6:7]
	s_wait_dscnt 0x0
	v_pk_add_f32 v[4:5], v[8:9], v[10:11]
	v_add_nc_u32_e32 v8, s33, v28
	s_cbranch_vccz .LBB0_13
; %bb.12:
	s_delay_alu instid0(VALU_DEP_1) | instskip(SKIP_1) | instid1(VALU_DEP_2)
	v_dual_ashrrev_i32 v9, 31, v8 :: v_dual_max_num_f32 v15, v1, v1
	v_dual_max_num_f32 v16, v2, v2 :: v_dual_max_num_f32 v17, v3, v3
	v_lshl_add_u64 v[10:11], v[8:9], 2, s[16:17]
	v_max_num_f32_e32 v9, v0, v0
	global_load_b128 v[10:13], v[10:11], off
	s_wait_loadcnt 0x0
	v_dual_max_num_f32 v14, v10, v10 :: v_dual_max_num_f32 v18, v11, v11
	v_dual_max_num_f32 v19, v12, v12 :: v_dual_max_num_f32 v20, v13, v13
	s_delay_alu instid0(VALU_DEP_2) | instskip(NEXT) | instid1(VALU_DEP_2)
	v_max_num_f32_e32 v14, v9, v14
	v_dual_max_num_f32 v15, v15, v18 :: v_dual_max_num_f32 v16, v16, v19
	s_delay_alu instid0(VALU_DEP_2) | instskip(NEXT) | instid1(VALU_DEP_2)
	v_dual_max_num_f32 v17, v17, v20 :: v_dual_sub_f32 v0, v0, v14
	v_dual_sub_f32 v9, v10, v14 :: v_dual_sub_f32 v1, v1, v15
	s_delay_alu instid0(VALU_DEP_3) | instskip(NEXT) | instid1(VALU_DEP_3)
	v_dual_sub_f32 v10, v11, v15 :: v_dual_sub_f32 v11, v2, v16
	v_dual_sub_f32 v13, v13, v17 :: v_dual_mul_f32 v2, 0x3fb8aa3b, v0
	v_dual_sub_f32 v12, v12, v16 :: v_dual_sub_f32 v18, v3, v17
	s_delay_alu instid0(VALU_DEP_3) | instskip(NEXT) | instid1(VALU_DEP_3)
	v_dual_mul_f32 v3, 0x3fb8aa3b, v9 :: v_dual_mul_f32 v20, 0x3fb8aa3b, v10
	v_fma_f32 v25, 0x3fb8aa3b, v0, -v2
	v_rndne_f32_e32 v26, v2
	s_delay_alu instid0(VALU_DEP_4)
	v_dual_mul_f32 v19, 0x3fb8aa3b, v1 :: v_dual_mul_f32 v22, 0x3fb8aa3b, v12
	v_dual_mul_f32 v21, 0x3fb8aa3b, v11 :: v_dual_mul_f32 v24, 0x3fb8aa3b, v13
	v_fma_f32 v27, 0x3fb8aa3b, v9, -v3
	v_rndne_f32_e32 v28, v3
	v_fma_f32 v32, 0x3fb8aa3b, v10, -v20
	v_rndne_f32_e32 v33, v20
	v_dual_fmac_f32 v25, 0x32a5705f, v0 :: v_dual_sub_f32 v2, v2, v26
	v_mul_f32_e32 v23, 0x3fb8aa3b, v18
	v_fma_f32 v30, 0x3fb8aa3b, v1, -v19
	v_rndne_f32_e32 v31, v19
	v_fma_f32 v40, 0x3fb8aa3b, v13, -v24
	v_dual_fmac_f32 v27, 0x32a5705f, v9 :: v_dual_fmac_f32 v32, 0x32a5705f, v10
	s_delay_alu instid0(VALU_DEP_4)
	v_dual_sub_f32 v3, v3, v28 :: v_dual_fmac_f32 v30, 0x32a5705f, v1
	v_sub_f32_e32 v20, v20, v33
	v_add_f32_e32 v2, v2, v25
	v_fma_f32 v34, 0x3fb8aa3b, v11, -v21
	v_rndne_f32_e32 v35, v21
	v_fma_f32 v36, 0x3fb8aa3b, v12, -v22
	v_dual_sub_f32 v19, v19, v31 :: v_dual_fmac_f32 v40, 0x32a5705f, v13
	v_dual_add_f32 v3, v3, v27 :: v_dual_add_f32 v20, v20, v32
	v_exp_f32_e32 v2, v2
	v_rndne_f32_e32 v37, v22
	v_rndne_f32_e32 v41, v24
	v_cvt_i32_f32_e32 v26, v26
	v_dual_sub_f32 v21, v21, v35 :: v_dual_fmac_f32 v36, 0x32a5705f, v12
	v_dual_fmac_f32 v34, 0x32a5705f, v11 :: v_dual_add_f32 v19, v19, v30
	v_exp_f32_e32 v3, v3
	v_cvt_i32_f32_e32 v28, v28
	v_sub_f32_e32 v22, v22, v37
	s_delay_alu instid0(VALU_DEP_3)
	v_dual_sub_f32 v24, v24, v41 :: v_dual_add_f32 v21, v21, v34
	v_ldexp_f32 v2, v2, v26
	v_cmp_ngt_f32_e32 vcc_lo, 0xc2ce8ed0, v0
	v_exp_f32_e32 v19, v19
	v_exp_f32_e32 v20, v20
	v_cvt_i32_f32_e32 v31, v31
	v_cvt_i32_f32_e32 v33, v33
	v_dual_add_f32 v24, v24, v40 :: v_dual_cndmask_b32 v2, 0, v2, vcc_lo
	v_ldexp_f32 v3, v3, v28
	v_cmp_ngt_f32_e32 vcc_lo, 0xc2ce8ed0, v9
	v_fma_f32 v38, 0x3fb8aa3b, v18, -v23
	v_rndne_f32_e32 v39, v23
	v_exp_f32_e32 v21, v21
	v_cvt_i32_f32_e32 v35, v35
	v_ldexp_f32 v19, v19, v31
	v_ldexp_f32 v20, v20, v33
	v_cndmask_b32_e32 v3, 0, v3, vcc_lo
	v_cmp_ngt_f32_e32 vcc_lo, 0xc2ce8ed0, v1
	v_dual_fmac_f32 v38, 0x32a5705f, v18 :: v_dual_sub_f32 v23, v23, v39
	v_add_f32_e32 v22, v22, v36
	v_ldexp_f32 v21, v21, v35
	v_cndmask_b32_e32 v19, 0, v19, vcc_lo
	v_cmp_ngt_f32_e32 vcc_lo, 0xc2ce8ed0, v10
	v_add_f32_e32 v23, v23, v38
	v_exp_f32_e32 v22, v22
	v_cvt_i32_f32_e32 v37, v37
	v_cvt_i32_f32_e32 v39, v39
	v_cndmask_b32_e32 v20, 0, v20, vcc_lo
	v_cmp_ngt_f32_e32 vcc_lo, 0xc2ce8ed0, v11
	v_exp_f32_e32 v23, v23
	v_exp_f32_e32 v24, v24
	v_ldexp_f32 v22, v22, v37
	v_cvt_i32_f32_e32 v41, v41
	v_cndmask_b32_e32 v21, 0, v21, vcc_lo
	v_cmp_ngt_f32_e32 vcc_lo, 0xc2ce8ed0, v12
	s_delay_alu instid0(TRANS32_DEP_2)
	v_ldexp_f32 v23, v23, v39
	s_delay_alu instid0(TRANS32_DEP_1) | instid1(VALU_DEP_4)
	v_ldexp_f32 v24, v24, v41
	v_cndmask_b32_e32 v22, 0, v22, vcc_lo
	v_cmp_ngt_f32_e32 vcc_lo, 0xc2ce8ed0, v18
	s_delay_alu instid0(VALU_DEP_4)
	v_cndmask_b32_e32 v23, 0, v23, vcc_lo
	v_cmp_ngt_f32_e32 vcc_lo, 0xc2ce8ed0, v13
	v_cndmask_b32_e32 v24, 0, v24, vcc_lo
	v_cmp_nlt_f32_e32 vcc_lo, 0x42b17218, v0
	v_cndmask_b32_e32 v0, 0x7f800000, v2, vcc_lo
	v_cmp_nlt_f32_e32 vcc_lo, 0x42b17218, v9
	s_delay_alu instid0(VALU_DEP_2) | instskip(SKIP_2) | instid1(VALU_DEP_3)
	v_cvt_f16_f32_e32 v9, v0
	v_cndmask_b32_e32 v2, 0x7f800000, v3, vcc_lo
	v_cmp_nlt_f32_e32 vcc_lo, 0x42b17218, v1
	v_and_b32_e32 v9, 0xffff, v9
	v_cndmask_b32_e32 v1, 0x7f800000, v19, vcc_lo
	v_cmp_nlt_f32_e32 vcc_lo, 0x42b17218, v10
	v_cndmask_b32_e32 v3, 0x7f800000, v20, vcc_lo
	v_cmp_nlt_f32_e32 vcc_lo, 0x42b17218, v11
	s_delay_alu instid0(VALU_DEP_2) | instskip(SKIP_3) | instid1(VALU_DEP_3)
	v_pk_fma_f32 v[6:7], v[6:7], v[0:1], v[2:3]
	v_cndmask_b32_e32 v10, 0x7f800000, v21, vcc_lo
	v_cmp_nlt_f32_e32 vcc_lo, 0x42b17218, v12
	v_mul_u32_u24_e32 v3, 0x10001, v9
	v_cvt_f16_f32_e32 v19, v10
	v_cndmask_b32_e32 v12, 0x7f800000, v22, vcc_lo
	v_cmp_nlt_f32_e32 vcc_lo, 0x42b17218, v18
	v_cvt_f16_f32_e32 v18, v1
	v_pk_mul_f16 v103, v103, v3
	v_and_b32_e32 v1, 0xffff, v19
	v_pk_mul_f16 v106, v106, v3
	v_cndmask_b32_e32 v11, 0x7f800000, v23, vcc_lo
	v_and_b32_e32 v0, 0xffff, v18
	v_cmp_nlt_f32_e32 vcc_lo, 0x42b17218, v13
	v_mul_u32_u24_e32 v1, 0x10001, v1
	v_pk_mul_f16 v105, v105, v3
	v_cvt_f16_f32_e32 v20, v11
	v_mul_u32_u24_e32 v0, 0x10001, v0
	v_cndmask_b32_e32 v13, 0x7f800000, v24, vcc_lo
	v_pk_mul_f16 v104, v104, v3
	v_pk_mul_f16 v96, v96, v1
	v_and_b32_e32 v2, 0xffff, v20
	v_pk_mul_f16 v99, v99, v0
	v_pk_mul_f16 v102, v102, v0
	;; [unrolled: 1-line block ×4, first 2 shown]
	v_mul_u32_u24_e32 v2, 0x10001, v2
	v_pk_mul_f16 v98, v98, v1
	v_pk_mul_f16 v97, v97, v1
	;; [unrolled: 1-line block ×3, first 2 shown]
	v_pk_fma_f32 v[4:5], v[4:5], v[10:11], v[12:13]
	v_pk_mul_f16 v94, v94, v2
	v_pk_mul_f16 v93, v93, v2
	;; [unrolled: 1-line block ×4, first 2 shown]
	v_mov_b64_e32 v[0:1], v[14:15]
	v_mov_b64_e32 v[2:3], v[16:17]
.LBB0_13:
	s_mov_b32 s2, exec_lo
	v_cmpx_gt_i32_e64 s26, v62
	s_cbranch_execz .LBB0_30
; %bb.14:
	s_load_b32 s0, s[0:1], 0xd4
	v_mov_b32_e32 v10, 1.0
	s_wait_kmcnt 0x0
	s_cmp_lg_u32 s0, 1
	s_cselect_b32 s1, -1, 0
	s_cmp_eq_u32 s0, 1
	s_cselect_b32 s2, -1, 0
	s_and_b32 vcc_lo, exec_lo, s1
	s_cbranch_vccnz .LBB0_16
; %bb.15:
	v_div_scale_f32 v9, null, v6, v6, 1.0
	s_delay_alu instid0(VALU_DEP_1) | instskip(SKIP_1) | instid1(TRANS32_DEP_1)
	v_rcp_f32_e32 v10, v9
	v_nop
	v_fma_f32 v11, -v9, v10, 1.0
	s_delay_alu instid0(VALU_DEP_1) | instskip(SKIP_1) | instid1(VALU_DEP_1)
	v_fmac_f32_e32 v10, v11, v10
	v_div_scale_f32 v11, vcc_lo, 1.0, v6, 1.0
	v_mul_f32_e32 v12, v11, v10
	s_delay_alu instid0(VALU_DEP_1) | instskip(NEXT) | instid1(VALU_DEP_1)
	v_fma_f32 v13, -v9, v12, v11
	v_fmac_f32_e32 v12, v13, v10
	s_delay_alu instid0(VALU_DEP_1) | instskip(NEXT) | instid1(VALU_DEP_1)
	v_fma_f32 v9, -v9, v12, v11
	v_div_fmas_f32 v9, v9, v10, v12
	s_delay_alu instid0(VALU_DEP_1)
	v_div_fixup_f32 v10, v9, v6, 1.0
.LBB0_16:
	v_mad_u32 v9, s28, s26, v62
	v_dual_mov_b32 v19, 0 :: v_dual_lshrrev_b32 v11, 16, v106
	v_dual_lshrrev_b32 v17, 16, v105 :: v_dual_lshrrev_b32 v21, 16, v104
	v_cvt_f32_f16_e32 v12, v103
	v_cvt_f32_f16_e32 v14, v106
	s_delay_alu instid0(VALU_DEP_4)
	v_cvt_f32_f16_e32 v15, v11
	v_cvt_f32_f16_e32 v16, v105
	;; [unrolled: 1-line block ×4, first 2 shown]
	v_mad_u32 v8, v9, s27, v8
	v_cvt_f32_f16_e32 v21, v21
	v_cmp_eq_u32_e32 vcc_lo, 0, v63
	v_pk_mul_f32 v[14:15], v[10:11], v[14:15] op_sel_hi:[0,1]
	v_pk_mul_f32 v[16:17], v[10:11], v[16:17] op_sel_hi:[0,1]
	s_and_b32 s1, vcc_lo, s1
	v_mad_u32 v9, s0, v8, s31
	v_lshrrev_b32_e32 v8, 16, v103
	s_delay_alu instid0(VALU_DEP_1) | instskip(NEXT) | instid1(VALU_DEP_1)
	v_cvt_f32_f16_e32 v13, v8
	v_pk_mul_f32 v[12:13], v[10:11], v[12:13] op_sel_hi:[0,1]
	s_delay_alu instid0(VALU_DEP_4) | instskip(NEXT) | instid1(VALU_DEP_1)
	v_lshl_add_u32 v18, v9, 8, v29
	v_lshl_add_u64 v[22:23], v[18:19], 2, s[20:21]
	v_add_nc_u32_e32 v18, 0x80, v18
	s_delay_alu instid0(VALU_DEP_1)
	v_lshl_add_u64 v[24:25], v[18:19], 2, s[20:21]
	v_pk_mul_f32 v[18:19], v[10:11], v[20:21] op_sel_hi:[0,1]
	s_clause 0x1
	global_store_b128 v[22:23], v[12:15], off
	global_store_b128 v[24:25], v[16:19], off
	s_wait_xcnt 0x0
	s_and_saveexec_b32 s3, s1
	s_cbranch_execz .LBB0_18
; %bb.17:
	v_dual_mov_b32 v10, v0 :: v_dual_mov_b32 v11, v6
	global_store_b64 v9, v[10:11], s[22:23] scale_offset
.LBB0_18:
	s_wait_xcnt 0x0
	s_or_b32 exec_lo, exec_lo, s3
	v_cndmask_b32_e64 v8, 0, 1, s2
	v_mov_b32_e32 v0, 1.0
	s_and_not1_b32 vcc_lo, exec_lo, s2
	s_cbranch_vccnz .LBB0_20
; %bb.19:
	v_div_scale_f32 v0, null, v7, v7, 1.0
	s_delay_alu instid0(VALU_DEP_1) | instskip(SKIP_1) | instid1(TRANS32_DEP_1)
	v_rcp_f32_e32 v6, v0
	v_nop
	v_fma_f32 v10, -v0, v6, 1.0
	s_delay_alu instid0(VALU_DEP_1) | instskip(SKIP_1) | instid1(VALU_DEP_1)
	v_fmac_f32_e32 v6, v10, v6
	v_div_scale_f32 v10, vcc_lo, 1.0, v7, 1.0
	v_mul_f32_e32 v11, v10, v6
	s_delay_alu instid0(VALU_DEP_1) | instskip(NEXT) | instid1(VALU_DEP_1)
	v_fma_f32 v12, -v0, v11, v10
	v_fmac_f32_e32 v11, v12, v6
	s_delay_alu instid0(VALU_DEP_1) | instskip(NEXT) | instid1(VALU_DEP_1)
	v_fma_f32 v0, -v0, v11, v10
	v_div_fmas_f32 v0, v0, v6, v11
	s_delay_alu instid0(VALU_DEP_1)
	v_div_fixup_f32 v0, v0, v7, 1.0
.LBB0_20:
	v_dual_add_nc_u32 v9, s0, v9 :: v_dual_mov_b32 v15, 0
	v_dual_lshrrev_b32 v6, 16, v99 :: v_dual_lshrrev_b32 v12, 16, v102
	v_dual_lshrrev_b32 v16, 16, v101 :: v_dual_lshrrev_b32 v20, 16, v100
	s_delay_alu instid0(VALU_DEP_3) | instskip(SKIP_1) | instid1(VALU_DEP_4)
	v_lshl_add_u32 v14, v9, 8, v29
	v_cvt_f32_f16_e32 v10, v99
	v_cvt_f32_f16_e32 v11, v6
	;; [unrolled: 1-line block ×4, first 2 shown]
	v_lshl_add_u64 v[18:19], v[14:15], 2, s[20:21]
	v_add_nc_u32_e32 v14, 0x80, v14
	v_cvt_f32_f16_e32 v17, v16
	v_cvt_f32_f16_e32 v16, v101
	;; [unrolled: 1-line block ×4, first 2 shown]
	v_pk_mul_f32 v[10:11], v[0:1], v[10:11] op_sel_hi:[0,1]
	v_pk_mul_f32 v[12:13], v[0:1], v[12:13] op_sel_hi:[0,1]
	v_lshl_add_u64 v[22:23], v[14:15], 2, s[20:21]
	v_pk_mul_f32 v[14:15], v[0:1], v[16:17] op_sel_hi:[0,1]
	v_pk_mul_f32 v[16:17], v[0:1], v[20:21] op_sel_hi:[0,1]
	s_clause 0x1
	global_store_b128 v[18:19], v[10:13], off
	global_store_b128 v[22:23], v[14:17], off
	s_wait_xcnt 0x0
	s_and_saveexec_b32 s2, s1
	s_cbranch_execz .LBB0_22
; %bb.21:
	v_mov_b32_e32 v6, v1
	global_store_b64 v9, v[6:7], s[22:23] scale_offset
.LBB0_22:
	s_wait_xcnt 0x0
	s_or_b32 exec_lo, exec_lo, s2
	v_cmp_ne_u32_e32 vcc_lo, 1, v8
	v_mov_b32_e32 v0, 1.0
	s_cbranch_vccnz .LBB0_24
; %bb.23:
	v_div_scale_f32 v0, null, v4, v4, 1.0
	s_delay_alu instid0(VALU_DEP_1) | instskip(SKIP_1) | instid1(TRANS32_DEP_1)
	v_rcp_f32_e32 v1, v0
	v_nop
	v_fma_f32 v6, -v0, v1, 1.0
	s_delay_alu instid0(VALU_DEP_1) | instskip(SKIP_1) | instid1(VALU_DEP_1)
	v_fmac_f32_e32 v1, v6, v1
	v_div_scale_f32 v6, vcc_lo, 1.0, v4, 1.0
	v_mul_f32_e32 v7, v6, v1
	s_delay_alu instid0(VALU_DEP_1) | instskip(NEXT) | instid1(VALU_DEP_1)
	v_fma_f32 v10, -v0, v7, v6
	v_fmac_f32_e32 v7, v10, v1
	s_delay_alu instid0(VALU_DEP_1) | instskip(NEXT) | instid1(VALU_DEP_1)
	v_fma_f32 v0, -v0, v7, v6
	v_div_fmas_f32 v0, v0, v1, v7
	s_delay_alu instid0(VALU_DEP_1)
	v_div_fixup_f32 v0, v0, v4, 1.0
.LBB0_24:
	v_dual_add_nc_u32 v1, s0, v9 :: v_dual_mov_b32 v7, 0
	v_dual_lshrrev_b32 v9, 16, v96 :: v_dual_lshrrev_b32 v12, 16, v98
	v_dual_lshrrev_b32 v14, 16, v97 :: v_dual_lshrrev_b32 v16, 16, v95
	s_delay_alu instid0(VALU_DEP_3) | instskip(SKIP_1) | instid1(VALU_DEP_4)
	v_lshl_add_u32 v6, v1, 8, v29
	v_cvt_f32_f16_e32 v10, v96
	v_cvt_f32_f16_e32 v11, v9
	;; [unrolled: 1-line block ×4, first 2 shown]
	v_lshl_add_u64 v[18:19], v[6:7], 2, s[20:21]
	v_add_nc_u32_e32 v6, 0x80, v6
	v_cvt_f32_f16_e32 v15, v14
	v_cvt_f32_f16_e32 v14, v97
	v_cvt_f32_f16_e32 v17, v16
	v_cvt_f32_f16_e32 v16, v95
	v_pk_mul_f32 v[10:11], v[0:1], v[10:11] op_sel_hi:[0,1]
	v_pk_mul_f32 v[12:13], v[0:1], v[12:13] op_sel_hi:[0,1]
	v_lshl_add_u64 v[6:7], v[6:7], 2, s[20:21]
	v_pk_mul_f32 v[14:15], v[0:1], v[14:15] op_sel_hi:[0,1]
	v_pk_mul_f32 v[16:17], v[0:1], v[16:17] op_sel_hi:[0,1]
	s_clause 0x1
	global_store_b128 v[18:19], v[10:13], off
	global_store_b128 v[6:7], v[14:17], off
	s_wait_xcnt 0x0
	s_and_saveexec_b32 s2, s1
	s_cbranch_execz .LBB0_26
; %bb.25:
	v_dual_mov_b32 v6, v2 :: v_dual_mov_b32 v7, v4
	global_store_b64 v1, v[6:7], s[22:23] scale_offset
.LBB0_26:
	s_wait_xcnt 0x0
	s_or_b32 exec_lo, exec_lo, s2
	v_cmp_ne_u32_e32 vcc_lo, 1, v8
	v_mov_b32_e32 v0, 1.0
	s_cbranch_vccnz .LBB0_28
; %bb.27:
	v_div_scale_f32 v0, null, v5, v5, 1.0
	s_delay_alu instid0(VALU_DEP_1) | instskip(SKIP_1) | instid1(TRANS32_DEP_1)
	v_rcp_f32_e32 v2, v0
	v_nop
	v_fma_f32 v4, -v0, v2, 1.0
	s_delay_alu instid0(VALU_DEP_1) | instskip(SKIP_1) | instid1(VALU_DEP_1)
	v_fmac_f32_e32 v2, v4, v2
	v_div_scale_f32 v4, vcc_lo, 1.0, v5, 1.0
	v_mul_f32_e32 v6, v4, v2
	s_delay_alu instid0(VALU_DEP_1) | instskip(NEXT) | instid1(VALU_DEP_1)
	v_fma_f32 v7, -v0, v6, v4
	v_fmac_f32_e32 v6, v7, v2
	s_delay_alu instid0(VALU_DEP_1) | instskip(NEXT) | instid1(VALU_DEP_1)
	v_fma_f32 v0, -v0, v6, v4
	v_div_fmas_f32 v0, v0, v2, v6
	s_delay_alu instid0(VALU_DEP_1)
	v_div_fixup_f32 v0, v0, v5, 1.0
.LBB0_28:
	v_dual_add_nc_u32 v1, s0, v1 :: v_dual_mov_b32 v11, 0
	v_dual_lshrrev_b32 v2, 16, v94 :: v_dual_lshrrev_b32 v4, 16, v93
	v_dual_lshrrev_b32 v12, 16, v92 :: v_dual_lshrrev_b32 v16, 16, v91
	s_delay_alu instid0(VALU_DEP_3) | instskip(SKIP_1) | instid1(VALU_DEP_4)
	v_lshl_add_u32 v10, v1, 8, v29
	v_cvt_f32_f16_e32 v6, v94
	v_cvt_f32_f16_e32 v7, v2
	;; [unrolled: 1-line block ×4, first 2 shown]
	v_lshl_add_u64 v[14:15], v[10:11], 2, s[20:21]
	v_add_nc_u32_e32 v10, 0x80, v10
	v_cvt_f32_f16_e32 v13, v12
	v_cvt_f32_f16_e32 v12, v92
	;; [unrolled: 1-line block ×4, first 2 shown]
	v_pk_mul_f32 v[6:7], v[0:1], v[6:7] op_sel_hi:[0,1]
	v_pk_mul_f32 v[8:9], v[0:1], v[8:9] op_sel_hi:[0,1]
	v_lshl_add_u64 v[18:19], v[10:11], 2, s[20:21]
	v_pk_mul_f32 v[10:11], v[0:1], v[12:13] op_sel_hi:[0,1]
	v_pk_mul_f32 v[12:13], v[0:1], v[16:17] op_sel_hi:[0,1]
	s_clause 0x1
	global_store_b128 v[14:15], v[6:9], off
	global_store_b128 v[18:19], v[10:13], off
	s_wait_xcnt 0x0
	s_and_b32 exec_lo, exec_lo, s1
	s_cbranch_execz .LBB0_30
; %bb.29:
	v_mov_b32_e32 v4, v3
	global_store_b64 v1, v[4:5], s[22:23] scale_offset
.LBB0_30:
	s_sendmsg sendmsg(MSG_DEALLOC_VGPRS)
	s_endpgm
	.section	.rodata,"a",@progbits
	.p2align	6, 0x0
	.amdhsa_kernel _ZL15flash_attn_tileILi256ELi256ELi4ELi8ELb0EEvPKcS1_S1_S1_S1_PKiPfP15HIP_vector_typeIfLj2EEffffjfiS5_IjLj3EEiiiiiiiiiiiliiliiiiil
		.amdhsa_group_segment_fixed_size 37888
		.amdhsa_private_segment_fixed_size 0
		.amdhsa_kernarg_size 464
		.amdhsa_user_sgpr_count 2
		.amdhsa_user_sgpr_dispatch_ptr 0
		.amdhsa_user_sgpr_queue_ptr 0
		.amdhsa_user_sgpr_kernarg_segment_ptr 1
		.amdhsa_user_sgpr_dispatch_id 0
		.amdhsa_user_sgpr_kernarg_preload_length 0
		.amdhsa_user_sgpr_kernarg_preload_offset 0
		.amdhsa_user_sgpr_private_segment_size 0
		.amdhsa_wavefront_size32 1
		.amdhsa_uses_dynamic_stack 0
		.amdhsa_enable_private_segment 0
		.amdhsa_system_sgpr_workgroup_id_x 1
		.amdhsa_system_sgpr_workgroup_id_y 1
		.amdhsa_system_sgpr_workgroup_id_z 1
		.amdhsa_system_sgpr_workgroup_info 0
		.amdhsa_system_vgpr_workitem_id 1
		.amdhsa_next_free_vgpr 137
		.amdhsa_next_free_sgpr 42
		.amdhsa_named_barrier_count 0
		.amdhsa_reserve_vcc 1
		.amdhsa_float_round_mode_32 0
		.amdhsa_float_round_mode_16_64 0
		.amdhsa_float_denorm_mode_32 3
		.amdhsa_float_denorm_mode_16_64 3
		.amdhsa_fp16_overflow 0
		.amdhsa_memory_ordered 1
		.amdhsa_forward_progress 1
		.amdhsa_inst_pref_size 187
		.amdhsa_round_robin_scheduling 0
		.amdhsa_exception_fp_ieee_invalid_op 0
		.amdhsa_exception_fp_denorm_src 0
		.amdhsa_exception_fp_ieee_div_zero 0
		.amdhsa_exception_fp_ieee_overflow 0
		.amdhsa_exception_fp_ieee_underflow 0
		.amdhsa_exception_fp_ieee_inexact 0
		.amdhsa_exception_int_div_zero 0
	.end_amdhsa_kernel
	.section	.text._ZL15flash_attn_tileILi256ELi256ELi4ELi8ELb0EEvPKcS1_S1_S1_S1_PKiPfP15HIP_vector_typeIfLj2EEffffjfiS5_IjLj3EEiiiiiiiiiiiliiliiiiil,"axG",@progbits,_ZL15flash_attn_tileILi256ELi256ELi4ELi8ELb0EEvPKcS1_S1_S1_S1_PKiPfP15HIP_vector_typeIfLj2EEffffjfiS5_IjLj3EEiiiiiiiiiiiliiliiiiil,comdat
.Lfunc_end0:
	.size	_ZL15flash_attn_tileILi256ELi256ELi4ELi8ELb0EEvPKcS1_S1_S1_S1_PKiPfP15HIP_vector_typeIfLj2EEffffjfiS5_IjLj3EEiiiiiiiiiiiliiliiiiil, .Lfunc_end0-_ZL15flash_attn_tileILi256ELi256ELi4ELi8ELb0EEvPKcS1_S1_S1_S1_PKiPfP15HIP_vector_typeIfLj2EEffffjfiS5_IjLj3EEiiiiiiiiiiiliiliiiiil
                                        ; -- End function
	.set _ZL15flash_attn_tileILi256ELi256ELi4ELi8ELb0EEvPKcS1_S1_S1_S1_PKiPfP15HIP_vector_typeIfLj2EEffffjfiS5_IjLj3EEiiiiiiiiiiiliiliiiiil.num_vgpr, 137
	.set _ZL15flash_attn_tileILi256ELi256ELi4ELi8ELb0EEvPKcS1_S1_S1_S1_PKiPfP15HIP_vector_typeIfLj2EEffffjfiS5_IjLj3EEiiiiiiiiiiiliiliiiiil.num_agpr, 0
	.set _ZL15flash_attn_tileILi256ELi256ELi4ELi8ELb0EEvPKcS1_S1_S1_S1_PKiPfP15HIP_vector_typeIfLj2EEffffjfiS5_IjLj3EEiiiiiiiiiiiliiliiiiil.numbered_sgpr, 42
	.set _ZL15flash_attn_tileILi256ELi256ELi4ELi8ELb0EEvPKcS1_S1_S1_S1_PKiPfP15HIP_vector_typeIfLj2EEffffjfiS5_IjLj3EEiiiiiiiiiiiliiliiiiil.num_named_barrier, 0
	.set _ZL15flash_attn_tileILi256ELi256ELi4ELi8ELb0EEvPKcS1_S1_S1_S1_PKiPfP15HIP_vector_typeIfLj2EEffffjfiS5_IjLj3EEiiiiiiiiiiiliiliiiiil.private_seg_size, 0
	.set _ZL15flash_attn_tileILi256ELi256ELi4ELi8ELb0EEvPKcS1_S1_S1_S1_PKiPfP15HIP_vector_typeIfLj2EEffffjfiS5_IjLj3EEiiiiiiiiiiiliiliiiiil.uses_vcc, 1
	.set _ZL15flash_attn_tileILi256ELi256ELi4ELi8ELb0EEvPKcS1_S1_S1_S1_PKiPfP15HIP_vector_typeIfLj2EEffffjfiS5_IjLj3EEiiiiiiiiiiiliiliiiiil.uses_flat_scratch, 0
	.set _ZL15flash_attn_tileILi256ELi256ELi4ELi8ELb0EEvPKcS1_S1_S1_S1_PKiPfP15HIP_vector_typeIfLj2EEffffjfiS5_IjLj3EEiiiiiiiiiiiliiliiiiil.has_dyn_sized_stack, 0
	.set _ZL15flash_attn_tileILi256ELi256ELi4ELi8ELb0EEvPKcS1_S1_S1_S1_PKiPfP15HIP_vector_typeIfLj2EEffffjfiS5_IjLj3EEiiiiiiiiiiiliiliiiiil.has_recursion, 0
	.set _ZL15flash_attn_tileILi256ELi256ELi4ELi8ELb0EEvPKcS1_S1_S1_S1_PKiPfP15HIP_vector_typeIfLj2EEffffjfiS5_IjLj3EEiiiiiiiiiiiliiliiiiil.has_indirect_call, 0
	.section	.AMDGPU.csdata,"",@progbits
; Kernel info:
; codeLenInByte = 23888
; TotalNumSgprs: 44
; NumVgprs: 137
; ScratchSize: 0
; MemoryBound: 0
; FloatMode: 240
; IeeeMode: 1
; LDSByteSize: 37888 bytes/workgroup (compile time only)
; SGPRBlocks: 0
; VGPRBlocks: 8
; NumSGPRsForWavesPerEU: 44
; NumVGPRsForWavesPerEU: 137
; NamedBarCnt: 0
; Occupancy: 7
; WaveLimiterHint : 1
; COMPUTE_PGM_RSRC2:SCRATCH_EN: 0
; COMPUTE_PGM_RSRC2:USER_SGPR: 2
; COMPUTE_PGM_RSRC2:TRAP_HANDLER: 0
; COMPUTE_PGM_RSRC2:TGID_X_EN: 1
; COMPUTE_PGM_RSRC2:TGID_Y_EN: 1
; COMPUTE_PGM_RSRC2:TGID_Z_EN: 1
; COMPUTE_PGM_RSRC2:TIDIG_COMP_CNT: 1
	.section	.text._ZL25flash_attn_mask_to_KV_maxILi4EEvPK7__half2Piiii,"axG",@progbits,_ZL25flash_attn_mask_to_KV_maxILi4EEvPK7__half2Piiii,comdat
	.globl	_ZL25flash_attn_mask_to_KV_maxILi4EEvPK7__half2Piiii ; -- Begin function _ZL25flash_attn_mask_to_KV_maxILi4EEvPK7__half2Piiii
	.p2align	8
	.type	_ZL25flash_attn_mask_to_KV_maxILi4EEvPK7__half2Piiii,@function
_ZL25flash_attn_mask_to_KV_maxILi4EEvPK7__half2Piiii: ; @_ZL25flash_attn_mask_to_KV_maxILi4EEvPK7__half2Piiii
; %bb.0:
	s_load_b128 s[4:7], s[0:1], 0x0
	s_mov_b32 s2, exec_lo
	v_cmpx_gt_u32_e32 32, v0
; %bb.1:
	v_dual_mov_b32 v2, 1 :: v_dual_lshlrev_b32 v1, 2, v0
	ds_store_b32 v1, v2
; %bb.2:
	s_or_b32 exec_lo, exec_lo, s2
	s_clause 0x1
	s_load_b96 s[8:10], s[0:1], 0x10
	s_load_b32 s11, s[0:1], 0x20
	s_wait_xcnt 0x0
	s_bfe_u32 s1, ttmp6, 0x4000c
	s_bfe_u32 s2, ttmp6, 0x40010
	s_add_co_i32 s1, s1, 1
	s_add_co_i32 s2, s2, 1
	s_and_b32 s0, ttmp6, 15
	s_bfe_u32 s3, ttmp6, 0x40004
	s_mul_i32 s1, ttmp9, s1
	s_mul_i32 s2, ttmp7, s2
	s_getreg_b32 s12, hwreg(HW_REG_IB_STS2, 6, 4)
	s_add_co_i32 s0, s0, s1
	s_add_co_i32 s3, s3, s2
	s_cmp_eq_u32 s12, 0
	v_dual_lshrrev_b32 v1, 3, v0 :: v_dual_bitop2_b32 v2, 31, v0 bitop3:0x40
	s_cselect_b32 s1, ttmp9, s0
	s_cselect_b32 s12, ttmp7, s3
	s_wait_dscnt 0x0
	s_barrier_signal -1
	s_wait_kmcnt 0x0
	s_mul_i32 s0, s1, s9
	s_mul_i32 s2, s10, s12
	s_lshl_b32 s0, s0, 2
	s_barrier_wait -1
	s_add_co_i32 s2, s2, s0
	v_cmp_eq_u32_e64 s0, 0, v2
	s_ashr_i32 s3, s2, 31
	v_lshlrev_b32_e32 v2, 2, v2
	s_lshl_b64 s[2:3], s[2:3], 2
	s_delay_alu instid0(SALU_CYCLE_1)
	s_add_nc_u64 s[2:3], s[4:5], s[2:3]
	s_lshl_b32 s5, s8, 8
	s_branch .LBB1_4
.LBB1_3:                                ;   in Loop: Header=BB1_4 Depth=1
	s_or_b32 exec_lo, exec_lo, s8
	s_wait_dscnt 0x0
	s_barrier_signal -1
	s_barrier_wait -1
	ds_load_b32 v3, v2
	s_wait_dscnt 0x0
	s_barrier_signal -1
	s_barrier_wait -1
	v_cmp_ne_u32_e32 vcc_lo, 0, v3
	s_cmp_lg_u32 vcc_lo, exec_lo
	s_cselect_b32 s8, -1, 0
	s_delay_alu instid0(SALU_CYCLE_1)
	s_and_b32 vcc_lo, exec_lo, s8
	s_cbranch_vccnz .LBB1_20
.LBB1_4:                                ; =>This Inner Loop Header: Depth=1
	s_mov_b32 s4, s5
	s_addk_co_i32 s5, 0xff00
	s_delay_alu instid0(SALU_CYCLE_1)
	s_cmp_lt_i32 s5, 0
	s_cbranch_scc1 .LBB1_19
; %bb.5:                                ;   in Loop: Header=BB1_4 Depth=1
	s_lshr_b32 s8, s5, 1
	s_delay_alu instid0(SALU_CYCLE_1) | instskip(SKIP_4) | instid1(VALU_DEP_2)
	v_add_nc_u32_e32 v3, s8, v0
	global_load_b32 v4, v3, s[2:3] scale_offset
	s_wait_loadcnt 0x0
	v_lshrrev_b32_e32 v5, 16, v4
	v_cmp_class_f16_e64 s8, v4, 0x204
	v_cmp_class_f16_e64 s10, v5, 0x204
	s_and_b32 s13, s8, s10
	s_mov_b32 s10, 0
	s_and_saveexec_b32 s8, s13
	s_cbranch_execz .LBB1_17
; %bb.6:                                ;   in Loop: Header=BB1_4 Depth=1
	v_add_nc_u32_e32 v3, s9, v3
	s_mov_b32 s13, 0
	global_load_b32 v4, v3, s[2:3] scale_offset
	s_wait_loadcnt 0x0
	v_cmp_class_f16_e64 s14, v4, 0x204
	s_and_saveexec_b32 s10, s14
	s_cbranch_execz .LBB1_16
; %bb.7:                                ;   in Loop: Header=BB1_4 Depth=1
	v_lshrrev_b32_e32 v4, 16, v4
	s_mov_b32 s14, 0
	s_delay_alu instid0(VALU_DEP_1)
	v_cmp_class_f16_e64 s15, v4, 0x204
	s_and_saveexec_b32 s13, s15
	s_cbranch_execz .LBB1_15
; %bb.8:                                ;   in Loop: Header=BB1_4 Depth=1
	v_add_nc_u32_e32 v3, s9, v3
	s_mov_b32 s15, 0
	global_load_b32 v4, v3, s[2:3] scale_offset
	s_wait_loadcnt 0x0
	v_cmp_class_f16_e64 s16, v4, 0x204
	s_and_saveexec_b32 s14, s16
	s_cbranch_execz .LBB1_14
; %bb.9:                                ;   in Loop: Header=BB1_4 Depth=1
	v_lshrrev_b32_e32 v4, 16, v4
	s_mov_b32 s16, 0
	s_delay_alu instid0(VALU_DEP_1)
	v_cmp_class_f16_e64 s17, v4, 0x204
	s_and_saveexec_b32 s15, s17
	s_cbranch_execz .LBB1_13
; %bb.10:                               ;   in Loop: Header=BB1_4 Depth=1
	v_add_nc_u32_e32 v3, s9, v3
	global_load_b32 v3, v3, s[2:3] scale_offset
	s_wait_loadcnt 0x0
	v_cmp_class_f16_e64 s18, v3, 0x204
	s_and_saveexec_b32 s17, s18
; %bb.11:                               ;   in Loop: Header=BB1_4 Depth=1
	v_lshrrev_b32_e32 v3, 16, v3
	s_delay_alu instid0(VALU_DEP_1)
	v_cmp_class_f16_e64 s16, v3, 0x204
	s_and_b32 s16, s16, exec_lo
; %bb.12:                               ;   in Loop: Header=BB1_4 Depth=1
	s_or_b32 exec_lo, exec_lo, s17
	s_delay_alu instid0(SALU_CYCLE_1)
	s_and_b32 s16, s16, exec_lo
.LBB1_13:                               ;   in Loop: Header=BB1_4 Depth=1
	s_or_b32 exec_lo, exec_lo, s15
	s_delay_alu instid0(SALU_CYCLE_1)
	s_and_b32 s15, s16, exec_lo
.LBB1_14:                               ;   in Loop: Header=BB1_4 Depth=1
	s_or_b32 exec_lo, exec_lo, s14
	s_delay_alu instid0(SALU_CYCLE_1)
	s_and_b32 s14, s15, exec_lo
.LBB1_15:                               ;   in Loop: Header=BB1_4 Depth=1
	s_or_b32 exec_lo, exec_lo, s13
	s_delay_alu instid0(SALU_CYCLE_1)
	s_and_b32 s13, s14, exec_lo
.LBB1_16:                               ;   in Loop: Header=BB1_4 Depth=1
	s_or_b32 exec_lo, exec_lo, s10
	s_delay_alu instid0(SALU_CYCLE_1)
	s_and_b32 s10, s13, exec_lo
.LBB1_17:                               ;   in Loop: Header=BB1_4 Depth=1
	s_or_b32 exec_lo, exec_lo, s8
	v_cndmask_b32_e64 v3, 0, 1, s10
	s_mov_b32 s13, exec_lo
	s_delay_alu instid0(VALU_DEP_1)
	v_cmp_ne_u32_e32 vcc_lo, 0, v3
	s_and_saveexec_b32 s8, s0
	s_cbranch_execz .LBB1_3
; %bb.18:                               ;   in Loop: Header=BB1_4 Depth=1
	s_cmp_eq_u32 vcc_lo, s13
	s_cselect_b32 s10, -1, 0
	s_delay_alu instid0(SALU_CYCLE_1)
	v_cndmask_b32_e64 v3, 0, 1, s10
	ds_store_b32 v1, v3
	s_branch .LBB1_3
.LBB1_19:                               ;   in Loop: Header=BB1_4 Depth=1
	s_cbranch_execz .LBB1_4
.LBB1_20:
	s_mov_b32 s0, exec_lo
	v_cmpx_eq_u32_e32 0, v0
	s_cbranch_execz .LBB1_22
; %bb.21:
	s_mul_i32 s0, s11, s12
	v_mov_b32_e32 v1, s4
	s_add_co_i32 s0, s0, s1
	s_delay_alu instid0(SALU_CYCLE_1)
	v_mov_b32_e32 v0, s0
	global_store_b32 v0, v1, s[6:7] scale_offset
.LBB1_22:
	s_endpgm
	.section	.rodata,"a",@progbits
	.p2align	6, 0x0
	.amdhsa_kernel _ZL25flash_attn_mask_to_KV_maxILi4EEvPK7__half2Piiii
		.amdhsa_group_segment_fixed_size 128
		.amdhsa_private_segment_fixed_size 0
		.amdhsa_kernarg_size 288
		.amdhsa_user_sgpr_count 2
		.amdhsa_user_sgpr_dispatch_ptr 0
		.amdhsa_user_sgpr_queue_ptr 0
		.amdhsa_user_sgpr_kernarg_segment_ptr 1
		.amdhsa_user_sgpr_dispatch_id 0
		.amdhsa_user_sgpr_kernarg_preload_length 0
		.amdhsa_user_sgpr_kernarg_preload_offset 0
		.amdhsa_user_sgpr_private_segment_size 0
		.amdhsa_wavefront_size32 1
		.amdhsa_uses_dynamic_stack 0
		.amdhsa_enable_private_segment 0
		.amdhsa_system_sgpr_workgroup_id_x 1
		.amdhsa_system_sgpr_workgroup_id_y 1
		.amdhsa_system_sgpr_workgroup_id_z 0
		.amdhsa_system_sgpr_workgroup_info 0
		.amdhsa_system_vgpr_workitem_id 0
		.amdhsa_next_free_vgpr 6
		.amdhsa_next_free_sgpr 19
		.amdhsa_named_barrier_count 0
		.amdhsa_reserve_vcc 1
		.amdhsa_float_round_mode_32 0
		.amdhsa_float_round_mode_16_64 0
		.amdhsa_float_denorm_mode_32 3
		.amdhsa_float_denorm_mode_16_64 3
		.amdhsa_fp16_overflow 0
		.amdhsa_memory_ordered 1
		.amdhsa_forward_progress 1
		.amdhsa_inst_pref_size 6
		.amdhsa_round_robin_scheduling 0
		.amdhsa_exception_fp_ieee_invalid_op 0
		.amdhsa_exception_fp_denorm_src 0
		.amdhsa_exception_fp_ieee_div_zero 0
		.amdhsa_exception_fp_ieee_overflow 0
		.amdhsa_exception_fp_ieee_underflow 0
		.amdhsa_exception_fp_ieee_inexact 0
		.amdhsa_exception_int_div_zero 0
	.end_amdhsa_kernel
	.section	.text._ZL25flash_attn_mask_to_KV_maxILi4EEvPK7__half2Piiii,"axG",@progbits,_ZL25flash_attn_mask_to_KV_maxILi4EEvPK7__half2Piiii,comdat
.Lfunc_end1:
	.size	_ZL25flash_attn_mask_to_KV_maxILi4EEvPK7__half2Piiii, .Lfunc_end1-_ZL25flash_attn_mask_to_KV_maxILi4EEvPK7__half2Piiii
                                        ; -- End function
	.set _ZL25flash_attn_mask_to_KV_maxILi4EEvPK7__half2Piiii.num_vgpr, 6
	.set _ZL25flash_attn_mask_to_KV_maxILi4EEvPK7__half2Piiii.num_agpr, 0
	.set _ZL25flash_attn_mask_to_KV_maxILi4EEvPK7__half2Piiii.numbered_sgpr, 19
	.set _ZL25flash_attn_mask_to_KV_maxILi4EEvPK7__half2Piiii.num_named_barrier, 0
	.set _ZL25flash_attn_mask_to_KV_maxILi4EEvPK7__half2Piiii.private_seg_size, 0
	.set _ZL25flash_attn_mask_to_KV_maxILi4EEvPK7__half2Piiii.uses_vcc, 1
	.set _ZL25flash_attn_mask_to_KV_maxILi4EEvPK7__half2Piiii.uses_flat_scratch, 0
	.set _ZL25flash_attn_mask_to_KV_maxILi4EEvPK7__half2Piiii.has_dyn_sized_stack, 0
	.set _ZL25flash_attn_mask_to_KV_maxILi4EEvPK7__half2Piiii.has_recursion, 0
	.set _ZL25flash_attn_mask_to_KV_maxILi4EEvPK7__half2Piiii.has_indirect_call, 0
	.section	.AMDGPU.csdata,"",@progbits
; Kernel info:
; codeLenInByte = 748
; TotalNumSgprs: 21
; NumVgprs: 6
; ScratchSize: 0
; MemoryBound: 0
; FloatMode: 240
; IeeeMode: 1
; LDSByteSize: 128 bytes/workgroup (compile time only)
; SGPRBlocks: 0
; VGPRBlocks: 0
; NumSGPRsForWavesPerEU: 21
; NumVGPRsForWavesPerEU: 6
; NamedBarCnt: 0
; Occupancy: 16
; WaveLimiterHint : 0
; COMPUTE_PGM_RSRC2:SCRATCH_EN: 0
; COMPUTE_PGM_RSRC2:USER_SGPR: 2
; COMPUTE_PGM_RSRC2:TRAP_HANDLER: 0
; COMPUTE_PGM_RSRC2:TGID_X_EN: 1
; COMPUTE_PGM_RSRC2:TGID_Y_EN: 1
; COMPUTE_PGM_RSRC2:TGID_Z_EN: 0
; COMPUTE_PGM_RSRC2:TIDIG_COMP_CNT: 0
	.section	.text._ZL33flash_attn_stream_k_fixup_uniformILi256ELi4ELi8EEvPfPK15HIP_vector_typeIfLj2EEiiiiiiS1_IjLj3EES5_S5_,"axG",@progbits,_ZL33flash_attn_stream_k_fixup_uniformILi256ELi4ELi8EEvPfPK15HIP_vector_typeIfLj2EEiiiiiiS1_IjLj3EES5_S5_,comdat
	.globl	_ZL33flash_attn_stream_k_fixup_uniformILi256ELi4ELi8EEvPfPK15HIP_vector_typeIfLj2EEiiiiiiS1_IjLj3EES5_S5_ ; -- Begin function _ZL33flash_attn_stream_k_fixup_uniformILi256ELi4ELi8EEvPfPK15HIP_vector_typeIfLj2EEiiiiiiS1_IjLj3EES5_S5_
	.p2align	8
	.type	_ZL33flash_attn_stream_k_fixup_uniformILi256ELi4ELi8EEvPfPK15HIP_vector_typeIfLj2EEiiiiiiS1_IjLj3EES5_S5_,@function
_ZL33flash_attn_stream_k_fixup_uniformILi256ELi4ELi8EEvPfPK15HIP_vector_typeIfLj2EEiiiiiiS1_IjLj3EES5_S5_: ; @_ZL33flash_attn_stream_k_fixup_uniformILi256ELi4ELi8EEvPfPK15HIP_vector_typeIfLj2EEiiiiiiS1_IjLj3EES5_S5_
; %bb.0:
	s_load_b256 s[4:11], s[0:1], 0x1c
	s_bfe_u32 s2, ttmp6, 0x40014
	s_lshr_b32 s3, ttmp7, 16
	s_add_co_i32 s2, s2, 1
	s_bfe_u32 s13, ttmp6, 0x40010
	s_mul_i32 s2, s3, s2
	s_bfe_u32 s12, ttmp6, 0x40008
	s_and_b32 s15, ttmp7, 0xffff
	s_add_co_i32 s13, s13, 1
	s_bfe_u32 s14, ttmp6, 0x4000c
	s_add_co_i32 s12, s12, s2
	s_mul_i32 s2, s15, s13
	s_bfe_u32 s13, ttmp6, 0x40004
	s_add_co_i32 s14, s14, 1
	s_add_co_i32 s13, s13, s2
	s_and_b32 s2, ttmp6, 15
	s_mul_i32 s14, ttmp9, s14
	s_getreg_b32 s20, hwreg(HW_REG_IB_STS2, 6, 4)
	s_add_co_i32 s2, s2, s14
	s_load_b128 s[16:19], s[0:1], 0x3c
	s_cmp_eq_u32 s20, 0
	s_cselect_b32 s14, ttmp9, s2
	s_cselect_b32 s13, s15, s13
	s_wait_kmcnt 0x0
	s_mul_hi_u32 s2, s7, s14
	s_cselect_b32 s12, s3, s12
	s_add_co_i32 s2, s14, s2
	s_delay_alu instid0(SALU_CYCLE_1) | instskip(NEXT) | instid1(SALU_CYCLE_1)
	s_lshr_b32 s7, s2, s8
	s_mul_i32 s2, s7, s9
	s_delay_alu instid0(SALU_CYCLE_1) | instskip(NEXT) | instid1(SALU_CYCLE_1)
	s_sub_co_i32 s8, s14, s2
	s_mul_hi_u32 s2, s8, s10
	s_delay_alu instid0(SALU_CYCLE_1) | instskip(SKIP_2) | instid1(SALU_CYCLE_1)
	s_add_co_i32 s9, s8, s2
	s_load_b64 s[2:3], s[0:1], 0x10
	s_lshr_b32 s15, s9, s11
	s_mul_i32 s9, s15, s16
	s_delay_alu instid0(SALU_CYCLE_1) | instskip(NEXT) | instid1(SALU_CYCLE_1)
	s_sub_co_i32 s8, s8, s9
	s_mul_hi_u32 s9, s8, s17
	s_delay_alu instid0(SALU_CYCLE_1) | instskip(NEXT) | instid1(SALU_CYCLE_1)
	s_add_co_i32 s9, s8, s9
	s_lshr_b32 s9, s9, s18
	s_delay_alu instid0(SALU_CYCLE_1) | instskip(SKIP_2) | instid1(SALU_CYCLE_1)
	s_mul_i32 s10, s9, s19
	s_lshl_b32 s17, s9, 3
	s_sub_co_i32 s16, s8, s10
	s_lshl_b32 s8, s16, 2
	s_delay_alu instid0(SALU_CYCLE_1) | instskip(SKIP_4) | instid1(SALU_CYCLE_1)
	s_add_co_i32 s8, s8, s13
	s_wait_kmcnt 0x0
	s_cmp_lt_i32 s8, s2
	s_cselect_b32 s8, -1, 0
	s_add_co_i32 s9, s17, s12
	s_cmp_lt_i32 s9, s5
	s_cselect_b32 s9, -1, 0
	s_delay_alu instid0(SALU_CYCLE_1) | instskip(NEXT) | instid1(SALU_CYCLE_1)
	s_and_b32 s8, s8, s9
	s_and_not1_b32 vcc_lo, exec_lo, s8
	s_cbranch_vccnz .LBB2_6
; %bb.1:
	s_mul_i32 s2, s7, s2
	s_load_b128 s[8:11], s[0:1], 0x0
	s_wait_xcnt 0x0
	s_add_co_i32 s0, s2, s13
	s_mul_i32 s15, s15, s5
	s_mul_i32 s0, s0, s3
	;; [unrolled: 1-line block ×3, first 2 shown]
	s_add_co_i32 s0, s0, s12
	s_lshl_b32 s1, s1, 10
	s_add_co_i32 s0, s0, s15
	s_mul_i32 s7, s6, s14
	s_add_co_i32 s0, s0, s17
	s_lshl_b32 s5, s13, 3
	s_lshl_b32 s0, s0, 8
	s_add_co_i32 s15, s7, s6
	s_add_co_i32 s1, s1, s0
	;; [unrolled: 1-line block ×3, first 2 shown]
	v_or_b32_e32 v4, s1, v0
	s_lshl_b32 s1, s15, 5
	s_add_co_i32 s2, s15, -2
	s_add_co_i32 s0, s0, s1
	s_delay_alu instid0(SALU_CYCLE_1)
	s_sub_co_i32 s0, s0, 32
	s_wait_kmcnt 0x0
	global_load_b32 v3, v4, s[8:9] scale_offset
	s_ashr_i32 s1, s0, 31
	v_ashrrev_i32_e32 v5, 31, v4
	s_lshl_b64 s[0:1], s[0:1], 3
	s_cmp_lt_i32 s2, s7
	s_add_nc_u64 s[0:1], s[10:11], s[0:1]
	s_load_b32 s16, s[0:1], 0x4
	s_cbranch_scc1 .LBB2_4
; %bb.2:
	s_wait_xcnt 0x0
	s_load_b32 s0, s[0:1], 0x0
	s_add_co_i32 s14, s14, 1
	s_lshl_b32 s3, s13, 11
	s_wait_xcnt 0x0
	s_mul_i32 s1, s6, s14
	s_lshl_b32 s6, s12, 8
	s_lshl_b32 s13, s1, 13
	s_add_co_i32 s6, s6, s3
	s_lshl_b32 s1, s1, 5
	s_add_co_i32 s6, s6, s13
	s_lshl_b32 s2, s4, 7
	s_wait_kmcnt 0x0
	v_dual_mov_b32 v2, s16 :: v_dual_bitop2_b32 v0, s6, v0 bitop3:0x54
	s_add_co_i32 s1, s12, s1
	s_lshl_b32 s4, s4, 5
	s_ashr_i32 s3, s2, 31
	s_add_co_i32 s1, s1, s4
	v_add_nc_u32_e32 v0, 0xffffc000, v0
	s_lshl_b64 s[2:3], s[2:3], 2
	s_add_co_i32 s4, s1, s5
	s_add_nc_u64 s[2:3], s[10:11], s[2:3]
	s_add_co_i32 s1, s15, -1
	s_sub_co_i32 s4, s4, 64
.LBB2_3:                                ; =>This Inner Loop Header: Depth=1
	global_load_b32 v7, v0, s[2:3] scale_offset
	s_ashr_i32 s5, s4, 31
	v_max_num_f32_e64 v1, s0, s0
	s_lshl_b64 s[12:13], s[4:5], 3
	s_delay_alu instid0(SALU_CYCLE_1) | instskip(SKIP_1) | instid1(VALU_DEP_1)
	s_add_nc_u64 s[12:13], s[10:11], s[12:13]
	s_load_b64 s[12:13], s[12:13], 0x0
	v_readfirstlane_b32 s5, v1
	v_add_nc_u32_e32 v0, 0xffffe000, v0
	s_wait_kmcnt 0x0
	v_max_num_f32_e64 v1, s12, s12
	s_delay_alu instid0(VALU_DEP_1) | instskip(SKIP_1) | instid1(SALU_CYCLE_3)
	v_readfirstlane_b32 s6, v1
	s_max_num_f32 s5, s5, s6
	s_sub_f32 s0, s0, s5
	s_sub_f32 s6, s12, s5
	s_delay_alu instid0(SALU_CYCLE_2) | instskip(NEXT) | instid1(SALU_CYCLE_2)
	s_mul_f32 s12, s0, 0x3fb8aa3b
	s_mul_f32 s14, s6, 0x3fb8aa3b
	s_delay_alu instid0(SALU_CYCLE_2)
	s_xor_b32 s15, s12, 0x80000000
	s_rndne_f32 s16, s12
	s_fmamk_f32 s15, s0, 0x3fb8aa3b, s15
	s_cmp_nlt_f32 s0, 0xc2ce8ed0
	s_rndne_f32 s17, s14
	s_sub_f32 s12, s12, s16
	s_fmamk_f32 s15, s0, 0x32a5705f, s15
	s_cselect_b32 vcc_lo, -1, 0
	s_cmp_ngt_f32 s0, 0x42b17218
	s_delay_alu instid0(SALU_CYCLE_1) | instskip(SKIP_2) | instid1(SALU_CYCLE_1)
	s_add_f32 s12, s12, s15
	s_cvt_i32_f32 s15, s16
	s_sub_f32 s16, s14, s17
	v_s_exp_f32 s12, s12
	v_nop
	s_delay_alu instid0(TRANS32_DEP_1) | instskip(SKIP_1) | instid1(VALU_DEP_1)
	v_ldexp_f32 v1, s12, s15
	s_cvt_i32_f32 s12, s17
	v_cndmask_b32_e32 v1, 0, v1, vcc_lo
	s_cselect_b32 vcc_lo, -1, 0
	s_cmp_ge_f32 s0, 0xc1a00000
	s_delay_alu instid0(VALU_DEP_1)
	v_cndmask_b32_e32 v1, 0x7f800000, v1, vcc_lo
	s_cselect_b32 vcc_lo, -1, 0
	s_xor_b32 s0, s14, 0x80000000
	s_cmp_nlt_f32 s6, 0xc2ce8ed0
	s_fmamk_f32 s0, s6, 0x3fb8aa3b, s0
	v_cndmask_b32_e32 v10, 0, v1, vcc_lo
	s_delay_alu instid0(SALU_CYCLE_2) | instskip(NEXT) | instid1(SALU_CYCLE_3)
	s_fmamk_f32 s0, s6, 0x32a5705f, s0
	s_add_f32 s0, s16, s0
	s_delay_alu instid0(SALU_CYCLE_3) | instskip(SKIP_1) | instid1(TRANS32_DEP_1)
	v_s_exp_f32 s0, s0
	v_nop
	v_ldexp_f32 v6, s0, s12
	s_cselect_b32 s0, -1, 0
	s_cmp_ngt_f32 s6, 0x42b17218
	s_delay_alu instid0(VALU_DEP_1) | instskip(SKIP_2) | instid1(VALU_DEP_1)
	v_cndmask_b32_e64 v6, 0, v6, s0
	s_cselect_b32 s0, -1, 0
	s_cmp_ge_f32 s6, 0xc1a00000
	v_cndmask_b32_e64 v8, 0x7f800000, v6, s0
	s_cselect_b32 s0, -1, 0
	v_mov_b32_e32 v6, s13
	s_add_co_i32 s1, s1, -1
	s_sub_co_i32 s4, s4, 32
	v_cndmask_b32_e64 v8, 0, v8, s0
	s_cmp_le_i32 s1, s7
	s_mov_b32 s0, s5
	s_wait_loadcnt 0x0
	s_delay_alu instid0(VALU_DEP_1) | instskip(NEXT) | instid1(VALU_DEP_1)
	v_pk_mul_f32 v[6:7], v[6:7], v[8:9] op_sel_hi:[1,0]
	v_pk_fma_f32 v[2:3], v[2:3], v[10:11], v[6:7] op_sel_hi:[1,0,1]
	s_cbranch_scc0 .LBB2_3
	s_branch .LBB2_5
.LBB2_4:
	s_wait_kmcnt 0x0
	v_mov_b32_e32 v2, s16
.LBB2_5:
	v_lshl_add_u64 v[0:1], v[4:5], 2, s[8:9]
	s_wait_loadcnt 0x0
	s_delay_alu instid0(VALU_DEP_2) | instskip(NEXT) | instid1(VALU_DEP_1)
	v_div_scale_f32 v4, null, v2, v2, v3
	v_rcp_f32_e32 v5, v4
	v_nop
	s_delay_alu instid0(TRANS32_DEP_1) | instskip(NEXT) | instid1(VALU_DEP_1)
	v_fma_f32 v6, -v4, v5, 1.0
	v_fmac_f32_e32 v5, v6, v5
	v_div_scale_f32 v6, vcc_lo, v3, v2, v3
	s_delay_alu instid0(VALU_DEP_1) | instskip(NEXT) | instid1(VALU_DEP_1)
	v_mul_f32_e32 v7, v6, v5
	v_fma_f32 v8, -v4, v7, v6
	s_delay_alu instid0(VALU_DEP_1) | instskip(NEXT) | instid1(VALU_DEP_1)
	v_fmac_f32_e32 v7, v8, v5
	v_fma_f32 v4, -v4, v7, v6
	s_delay_alu instid0(VALU_DEP_1) | instskip(NEXT) | instid1(VALU_DEP_1)
	v_div_fmas_f32 v4, v4, v5, v7
	v_div_fixup_f32 v2, v4, v2, v3
	global_store_b32 v[0:1], v2, off
.LBB2_6:
	s_endpgm
	.section	.rodata,"a",@progbits
	.p2align	6, 0x0
	.amdhsa_kernel _ZL33flash_attn_stream_k_fixup_uniformILi256ELi4ELi8EEvPfPK15HIP_vector_typeIfLj2EEiiiiiiS1_IjLj3EES5_S5_
		.amdhsa_group_segment_fixed_size 0
		.amdhsa_private_segment_fixed_size 0
		.amdhsa_kernarg_size 76
		.amdhsa_user_sgpr_count 2
		.amdhsa_user_sgpr_dispatch_ptr 0
		.amdhsa_user_sgpr_queue_ptr 0
		.amdhsa_user_sgpr_kernarg_segment_ptr 1
		.amdhsa_user_sgpr_dispatch_id 0
		.amdhsa_user_sgpr_kernarg_preload_length 0
		.amdhsa_user_sgpr_kernarg_preload_offset 0
		.amdhsa_user_sgpr_private_segment_size 0
		.amdhsa_wavefront_size32 1
		.amdhsa_uses_dynamic_stack 0
		.amdhsa_enable_private_segment 0
		.amdhsa_system_sgpr_workgroup_id_x 1
		.amdhsa_system_sgpr_workgroup_id_y 1
		.amdhsa_system_sgpr_workgroup_id_z 1
		.amdhsa_system_sgpr_workgroup_info 0
		.amdhsa_system_vgpr_workitem_id 0
		.amdhsa_next_free_vgpr 12
		.amdhsa_next_free_sgpr 21
		.amdhsa_named_barrier_count 0
		.amdhsa_reserve_vcc 1
		.amdhsa_float_round_mode_32 0
		.amdhsa_float_round_mode_16_64 0
		.amdhsa_float_denorm_mode_32 3
		.amdhsa_float_denorm_mode_16_64 3
		.amdhsa_fp16_overflow 0
		.amdhsa_memory_ordered 1
		.amdhsa_forward_progress 1
		.amdhsa_inst_pref_size 9
		.amdhsa_round_robin_scheduling 0
		.amdhsa_exception_fp_ieee_invalid_op 0
		.amdhsa_exception_fp_denorm_src 0
		.amdhsa_exception_fp_ieee_div_zero 0
		.amdhsa_exception_fp_ieee_overflow 0
		.amdhsa_exception_fp_ieee_underflow 0
		.amdhsa_exception_fp_ieee_inexact 0
		.amdhsa_exception_int_div_zero 0
	.end_amdhsa_kernel
	.section	.text._ZL33flash_attn_stream_k_fixup_uniformILi256ELi4ELi8EEvPfPK15HIP_vector_typeIfLj2EEiiiiiiS1_IjLj3EES5_S5_,"axG",@progbits,_ZL33flash_attn_stream_k_fixup_uniformILi256ELi4ELi8EEvPfPK15HIP_vector_typeIfLj2EEiiiiiiS1_IjLj3EES5_S5_,comdat
.Lfunc_end2:
	.size	_ZL33flash_attn_stream_k_fixup_uniformILi256ELi4ELi8EEvPfPK15HIP_vector_typeIfLj2EEiiiiiiS1_IjLj3EES5_S5_, .Lfunc_end2-_ZL33flash_attn_stream_k_fixup_uniformILi256ELi4ELi8EEvPfPK15HIP_vector_typeIfLj2EEiiiiiiS1_IjLj3EES5_S5_
                                        ; -- End function
	.set _ZL33flash_attn_stream_k_fixup_uniformILi256ELi4ELi8EEvPfPK15HIP_vector_typeIfLj2EEiiiiiiS1_IjLj3EES5_S5_.num_vgpr, 12
	.set _ZL33flash_attn_stream_k_fixup_uniformILi256ELi4ELi8EEvPfPK15HIP_vector_typeIfLj2EEiiiiiiS1_IjLj3EES5_S5_.num_agpr, 0
	.set _ZL33flash_attn_stream_k_fixup_uniformILi256ELi4ELi8EEvPfPK15HIP_vector_typeIfLj2EEiiiiiiS1_IjLj3EES5_S5_.numbered_sgpr, 21
	.set _ZL33flash_attn_stream_k_fixup_uniformILi256ELi4ELi8EEvPfPK15HIP_vector_typeIfLj2EEiiiiiiS1_IjLj3EES5_S5_.num_named_barrier, 0
	.set _ZL33flash_attn_stream_k_fixup_uniformILi256ELi4ELi8EEvPfPK15HIP_vector_typeIfLj2EEiiiiiiS1_IjLj3EES5_S5_.private_seg_size, 0
	.set _ZL33flash_attn_stream_k_fixup_uniformILi256ELi4ELi8EEvPfPK15HIP_vector_typeIfLj2EEiiiiiiS1_IjLj3EES5_S5_.uses_vcc, 1
	.set _ZL33flash_attn_stream_k_fixup_uniformILi256ELi4ELi8EEvPfPK15HIP_vector_typeIfLj2EEiiiiiiS1_IjLj3EES5_S5_.uses_flat_scratch, 0
	.set _ZL33flash_attn_stream_k_fixup_uniformILi256ELi4ELi8EEvPfPK15HIP_vector_typeIfLj2EEiiiiiiS1_IjLj3EES5_S5_.has_dyn_sized_stack, 0
	.set _ZL33flash_attn_stream_k_fixup_uniformILi256ELi4ELi8EEvPfPK15HIP_vector_typeIfLj2EEiiiiiiS1_IjLj3EES5_S5_.has_recursion, 0
	.set _ZL33flash_attn_stream_k_fixup_uniformILi256ELi4ELi8EEvPfPK15HIP_vector_typeIfLj2EEiiiiiiS1_IjLj3EES5_S5_.has_indirect_call, 0
	.section	.AMDGPU.csdata,"",@progbits
; Kernel info:
; codeLenInByte = 1092
; TotalNumSgprs: 23
; NumVgprs: 12
; ScratchSize: 0
; MemoryBound: 0
; FloatMode: 240
; IeeeMode: 1
; LDSByteSize: 0 bytes/workgroup (compile time only)
; SGPRBlocks: 0
; VGPRBlocks: 0
; NumSGPRsForWavesPerEU: 23
; NumVGPRsForWavesPerEU: 12
; NamedBarCnt: 0
; Occupancy: 16
; WaveLimiterHint : 0
; COMPUTE_PGM_RSRC2:SCRATCH_EN: 0
; COMPUTE_PGM_RSRC2:USER_SGPR: 2
; COMPUTE_PGM_RSRC2:TRAP_HANDLER: 0
; COMPUTE_PGM_RSRC2:TGID_X_EN: 1
; COMPUTE_PGM_RSRC2:TGID_Y_EN: 1
; COMPUTE_PGM_RSRC2:TGID_Z_EN: 1
; COMPUTE_PGM_RSRC2:TIDIG_COMP_CNT: 0
	.section	.text._ZL33flash_attn_stream_k_fixup_generalILi256ELi4ELi8EEvPfPK15HIP_vector_typeIfLj2EEiiiiS1_IjLj3EES5_S5_S5_,"axG",@progbits,_ZL33flash_attn_stream_k_fixup_generalILi256ELi4ELi8EEvPfPK15HIP_vector_typeIfLj2EEiiiiS1_IjLj3EES5_S5_S5_,comdat
	.globl	_ZL33flash_attn_stream_k_fixup_generalILi256ELi4ELi8EEvPfPK15HIP_vector_typeIfLj2EEiiiiS1_IjLj3EES5_S5_S5_ ; -- Begin function _ZL33flash_attn_stream_k_fixup_generalILi256ELi4ELi8EEvPfPK15HIP_vector_typeIfLj2EEiiiiS1_IjLj3EES5_S5_S5_
	.p2align	8
	.type	_ZL33flash_attn_stream_k_fixup_generalILi256ELi4ELi8EEvPfPK15HIP_vector_typeIfLj2EEiiiiS1_IjLj3EES5_S5_S5_,@function
_ZL33flash_attn_stream_k_fixup_generalILi256ELi4ELi8EEvPfPK15HIP_vector_typeIfLj2EEiiiiS1_IjLj3EES5_S5_S5_: ; @_ZL33flash_attn_stream_k_fixup_generalILi256ELi4ELi8EEvPfPK15HIP_vector_typeIfLj2EEiiiiS1_IjLj3EES5_S5_S5_
; %bb.0:
	s_clause 0x1
	s_load_b128 s[4:7], s[0:1], 0x10
	s_load_b32 s16, s[0:1], 0x50
	s_bfe_u32 s2, ttmp6, 0x4000c
	s_and_b32 s3, ttmp6, 15
	s_add_co_i32 s2, s2, 1
	s_getreg_b32 s15, hwreg(HW_REG_IB_STS2, 6, 4)
	s_mul_i32 s2, ttmp9, s2
	s_mov_b32 s17, 0
	s_add_co_i32 s3, s3, s2
	s_cmp_eq_u32 s15, 0
	s_cselect_b32 s2, ttmp9, s3
	s_delay_alu instid0(SALU_CYCLE_1) | instskip(SKIP_3) | instid1(SALU_CYCLE_1)
	s_ashr_i32 s3, s2, 31
	s_wait_kmcnt 0x0
	s_ashr_i32 s19, s7, 31
	s_mov_b32 s18, s7
	s_mul_u64 s[8:9], s[18:19], s[2:3]
	s_delay_alu instid0(SALU_CYCLE_1) | instskip(NEXT) | instid1(SALU_CYCLE_1)
	s_and_b64 s[10:11], s[8:9], 0xffffffff00000000
	s_cmp_lg_u64 s[10:11], 0
	s_cbranch_scc0 .LBB3_21
; %bb.1:
	s_add_nc_u64 s[10:11], s[16:17], 0
	s_mov_b32 s23, s17
	s_xor_b64 s[10:11], s[10:11], 0
	s_mov_b32 s27, s17
	s_cvt_f32_u32 s3, s10
	s_cvt_f32_u32 s7, s11
	s_sub_nc_u64 s[20:21], 0, s[10:11]
	s_delay_alu instid0(SALU_CYCLE_2) | instskip(NEXT) | instid1(SALU_CYCLE_3)
	s_fmamk_f32 s3, s7, 0x4f800000, s3
	v_s_rcp_f32 s3, s3
	s_delay_alu instid0(TRANS32_DEP_1) | instskip(NEXT) | instid1(SALU_CYCLE_3)
	s_mul_f32 s3, s3, 0x5f7ffffc
	s_mul_f32 s7, s3, 0x2f800000
	s_delay_alu instid0(SALU_CYCLE_3) | instskip(NEXT) | instid1(SALU_CYCLE_3)
	s_trunc_f32 s7, s7
	s_fmamk_f32 s3, s7, 0xcf800000, s3
	s_cvt_u32_f32 s13, s7
	s_delay_alu instid0(SALU_CYCLE_2) | instskip(NEXT) | instid1(SALU_CYCLE_3)
	s_cvt_u32_f32 s12, s3
	s_mul_u64 s[24:25], s[20:21], s[12:13]
	s_delay_alu instid0(SALU_CYCLE_1)
	s_mul_hi_u32 s29, s12, s25
	s_mul_i32 s28, s12, s25
	s_mul_hi_u32 s22, s12, s24
	s_mul_i32 s7, s13, s24
	s_add_nc_u64 s[22:23], s[22:23], s[28:29]
	s_mul_hi_u32 s3, s13, s24
	s_mul_hi_u32 s14, s13, s25
	s_add_co_u32 s7, s22, s7
	s_add_co_ci_u32 s26, s23, s3
	s_mul_i32 s24, s13, s25
	s_add_co_ci_u32 s25, s14, 0
	s_delay_alu instid0(SALU_CYCLE_1) | instskip(SKIP_3) | instid1(SALU_CYCLE_1)
	s_add_nc_u64 s[22:23], s[26:27], s[24:25]
	s_mov_b32 s25, s17
	s_add_co_u32 s12, s12, s22
	s_cselect_b32 s3, -1, 0
	s_cmp_lg_u32 s3, 0
	s_add_co_ci_u32 s13, s13, s23
	s_mov_b32 s23, s17
	s_mul_u64 s[20:21], s[20:21], s[12:13]
	s_delay_alu instid0(SALU_CYCLE_1)
	s_mul_hi_u32 s27, s12, s21
	s_mul_i32 s26, s12, s21
	s_mul_hi_u32 s22, s12, s20
	s_mul_i32 s7, s13, s20
	s_add_nc_u64 s[22:23], s[22:23], s[26:27]
	s_mul_hi_u32 s3, s13, s20
	s_mul_hi_u32 s14, s13, s21
	s_add_co_u32 s7, s22, s7
	s_add_co_ci_u32 s24, s23, s3
	s_mul_i32 s20, s13, s21
	s_add_co_ci_u32 s21, s14, 0
	s_mov_b32 s23, s17
	s_add_nc_u64 s[20:21], s[24:25], s[20:21]
	s_delay_alu instid0(SALU_CYCLE_1) | instskip(SKIP_1) | instid1(SALU_CYCLE_1)
	s_add_co_u32 s3, s12, s20
	s_cselect_b32 s7, -1, 0
	s_cmp_lg_u32 s7, 0
	s_add_co_ci_u32 s7, s13, s21
	s_ashr_i32 s12, s9, 31
	s_delay_alu instid0(SALU_CYCLE_1) | instskip(NEXT) | instid1(SALU_CYCLE_1)
	s_mov_b32 s13, s12
	s_add_nc_u64 s[20:21], s[8:9], s[12:13]
	s_delay_alu instid0(SALU_CYCLE_1) | instskip(NEXT) | instid1(SALU_CYCLE_1)
	s_xor_b64 s[20:21], s[20:21], s[12:13]
	s_mul_hi_u32 s27, s20, s7
	s_mul_i32 s26, s20, s7
	s_mul_hi_u32 s22, s20, s3
	s_mul_hi_u32 s14, s21, s3
	s_mul_i32 s3, s21, s3
	s_add_nc_u64 s[22:23], s[22:23], s[26:27]
	s_mul_hi_u32 s9, s21, s7
	s_add_co_u32 s3, s22, s3
	s_add_co_ci_u32 s24, s23, s14
	s_mul_i32 s26, s21, s7
	s_add_co_ci_u32 s27, s9, 0
	s_delay_alu instid0(SALU_CYCLE_1) | instskip(NEXT) | instid1(SALU_CYCLE_1)
	s_add_nc_u64 s[22:23], s[24:25], s[26:27]
	s_and_b64 s[24:25], s[22:23], 0xffffffff00000000
	s_delay_alu instid0(SALU_CYCLE_1) | instskip(NEXT) | instid1(SALU_CYCLE_1)
	s_or_b32 s24, s24, s22
	s_mul_u64 s[22:23], s[10:11], s[24:25]
	s_add_nc_u64 s[26:27], s[24:25], 1
	s_sub_co_u32 s3, s20, s22
	s_cselect_b32 s7, -1, 0
	s_sub_co_i32 s9, s21, s23
	s_cmp_lg_u32 s7, 0
	s_add_nc_u64 s[28:29], s[24:25], 2
	s_sub_co_ci_u32 s9, s9, s11
	s_sub_co_u32 s14, s3, s10
	s_cselect_b32 s20, -1, 0
	s_delay_alu instid0(SALU_CYCLE_1) | instskip(SKIP_1) | instid1(SALU_CYCLE_1)
	s_cmp_lg_u32 s20, 0
	s_sub_co_ci_u32 s9, s9, 0
	s_cmp_ge_u32 s9, s11
	s_cselect_b32 s20, -1, 0
	s_cmp_ge_u32 s14, s10
	s_cselect_b32 s14, -1, 0
	s_cmp_eq_u32 s9, s11
	s_cselect_b32 s9, s14, s20
	s_delay_alu instid0(SALU_CYCLE_1) | instskip(SKIP_4) | instid1(SALU_CYCLE_1)
	s_cmp_lg_u32 s9, 0
	s_cselect_b32 s9, s28, s26
	s_cselect_b32 s14, s29, s27
	s_cmp_lg_u32 s7, 0
	s_sub_co_ci_u32 s7, s21, s23
	s_cmp_ge_u32 s7, s11
	s_cselect_b32 s20, -1, 0
	s_cmp_ge_u32 s3, s10
	s_cselect_b32 s3, -1, 0
	s_cmp_eq_u32 s7, s11
	s_cselect_b32 s3, s3, s20
	s_delay_alu instid0(SALU_CYCLE_1) | instskip(SKIP_4) | instid1(SALU_CYCLE_1)
	s_cmp_lg_u32 s3, 0
	s_mov_b32 s3, s17
	s_cselect_b32 s11, s14, s25
	s_cselect_b32 s10, s9, s24
	s_xor_b64 s[12:13], s[12:13], 0
	s_xor_b64 s[10:11], s[10:11], s[12:13]
	s_delay_alu instid0(SALU_CYCLE_1)
	s_sub_nc_u64 s[20:21], s[10:11], s[12:13]
	s_and_not1_b32 vcc_lo, exec_lo, s3
	s_cbranch_vccnz .LBB3_3
.LBB3_2:
	v_cvt_f32_u32_e32 v1, s16
	s_sub_co_i32 s7, 0, s16
	s_mov_b32 s21, 0
	s_delay_alu instid0(VALU_DEP_1) | instskip(SKIP_1) | instid1(TRANS32_DEP_1)
	v_rcp_iflag_f32_e32 v1, v1
	v_nop
	v_mul_f32_e32 v1, 0x4f7ffffe, v1
	s_delay_alu instid0(VALU_DEP_1) | instskip(NEXT) | instid1(VALU_DEP_1)
	v_cvt_u32_f32_e32 v1, v1
	v_readfirstlane_b32 s3, v1
	s_mul_i32 s7, s7, s3
	s_delay_alu instid0(SALU_CYCLE_1) | instskip(NEXT) | instid1(SALU_CYCLE_1)
	s_mul_hi_u32 s7, s3, s7
	s_add_co_i32 s3, s3, s7
	s_delay_alu instid0(SALU_CYCLE_1) | instskip(NEXT) | instid1(SALU_CYCLE_1)
	s_mul_hi_u32 s3, s8, s3
	s_mul_i32 s7, s3, s16
	s_delay_alu instid0(SALU_CYCLE_1)
	s_sub_co_i32 s7, s8, s7
	s_add_co_i32 s8, s3, 1
	s_sub_co_i32 s9, s7, s16
	s_cmp_ge_u32 s7, s16
	s_cselect_b32 s3, s8, s3
	s_cselect_b32 s7, s9, s7
	s_add_co_i32 s8, s3, 1
	s_cmp_ge_u32 s7, s16
	s_cselect_b32 s20, s8, s3
.LBB3_3:
	s_add_co_i32 s8, s2, 1
	s_delay_alu instid0(SALU_CYCLE_1) | instskip(NEXT) | instid1(SALU_CYCLE_1)
	s_ashr_i32 s9, s8, 31
	s_mul_u64 s[8:9], s[18:19], s[8:9]
	s_delay_alu instid0(SALU_CYCLE_1) | instskip(NEXT) | instid1(SALU_CYCLE_1)
	s_and_b64 s[10:11], s[8:9], 0xffffffff00000000
	s_cmp_lg_u64 s[10:11], 0
	s_cbranch_scc0 .LBB3_22
; %bb.4:
	s_add_nc_u64 s[10:11], s[16:17], 0
	s_delay_alu instid0(SALU_CYCLE_1) | instskip(SKIP_4) | instid1(SALU_CYCLE_2)
	s_xor_b64 s[12:13], s[10:11], 0
	s_mov_b32 s11, 0
	s_cvt_f32_u32 s3, s12
	s_cvt_f32_u32 s7, s13
	s_sub_nc_u64 s[24:25], 0, s[12:13]
	s_fmamk_f32 s3, s7, 0x4f800000, s3
	s_delay_alu instid0(SALU_CYCLE_3) | instskip(NEXT) | instid1(TRANS32_DEP_1)
	v_s_rcp_f32 s3, s3
	s_mul_f32 s3, s3, 0x5f7ffffc
	s_delay_alu instid0(SALU_CYCLE_3) | instskip(NEXT) | instid1(SALU_CYCLE_3)
	s_mul_f32 s7, s3, 0x2f800000
	s_trunc_f32 s7, s7
	s_delay_alu instid0(SALU_CYCLE_3) | instskip(SKIP_1) | instid1(SALU_CYCLE_2)
	s_fmamk_f32 s3, s7, 0xcf800000, s3
	s_cvt_u32_f32 s23, s7
	s_cvt_u32_f32 s22, s3
	s_delay_alu instid0(SALU_CYCLE_3) | instskip(NEXT) | instid1(SALU_CYCLE_1)
	s_mul_u64 s[26:27], s[24:25], s[22:23]
	s_mul_hi_u32 s29, s22, s27
	s_mul_i32 s28, s22, s27
	s_mul_hi_u32 s10, s22, s26
	s_mul_i32 s7, s23, s26
	s_add_nc_u64 s[28:29], s[10:11], s[28:29]
	s_mul_hi_u32 s3, s23, s26
	s_mul_hi_u32 s14, s23, s27
	s_add_co_u32 s7, s28, s7
	s_add_co_ci_u32 s10, s29, s3
	s_mul_i32 s26, s23, s27
	s_add_co_ci_u32 s27, s14, 0
	s_delay_alu instid0(SALU_CYCLE_1) | instskip(NEXT) | instid1(SALU_CYCLE_1)
	s_add_nc_u64 s[26:27], s[10:11], s[26:27]
	s_add_co_u32 s22, s22, s26
	s_cselect_b32 s3, -1, 0
	s_delay_alu instid0(SALU_CYCLE_1) | instskip(SKIP_1) | instid1(SALU_CYCLE_1)
	s_cmp_lg_u32 s3, 0
	s_add_co_ci_u32 s23, s23, s27
	s_mul_u64 s[24:25], s[24:25], s[22:23]
	s_delay_alu instid0(SALU_CYCLE_1)
	s_mul_hi_u32 s27, s22, s25
	s_mul_i32 s26, s22, s25
	s_mul_hi_u32 s10, s22, s24
	s_mul_i32 s7, s23, s24
	s_add_nc_u64 s[26:27], s[10:11], s[26:27]
	s_mul_hi_u32 s3, s23, s24
	s_mul_hi_u32 s14, s23, s25
	s_add_co_u32 s7, s26, s7
	s_add_co_ci_u32 s10, s27, s3
	s_mul_i32 s24, s23, s25
	s_add_co_ci_u32 s25, s14, 0
	s_delay_alu instid0(SALU_CYCLE_1) | instskip(NEXT) | instid1(SALU_CYCLE_1)
	s_add_nc_u64 s[24:25], s[10:11], s[24:25]
	s_add_co_u32 s3, s22, s24
	s_cselect_b32 s7, -1, 0
	s_delay_alu instid0(SALU_CYCLE_1) | instskip(SKIP_2) | instid1(SALU_CYCLE_1)
	s_cmp_lg_u32 s7, 0
	s_add_co_ci_u32 s7, s23, s25
	s_ashr_i32 s22, s9, 31
	s_mov_b32 s23, s22
	s_delay_alu instid0(SALU_CYCLE_1) | instskip(NEXT) | instid1(SALU_CYCLE_1)
	s_add_nc_u64 s[24:25], s[8:9], s[22:23]
	s_xor_b64 s[24:25], s[24:25], s[22:23]
	s_delay_alu instid0(SALU_CYCLE_1)
	s_mul_hi_u32 s27, s24, s7
	s_mul_i32 s26, s24, s7
	s_mul_hi_u32 s10, s24, s3
	s_mul_hi_u32 s14, s25, s3
	s_mul_i32 s3, s25, s3
	s_add_nc_u64 s[26:27], s[10:11], s[26:27]
	s_mul_hi_u32 s9, s25, s7
	s_add_co_u32 s3, s26, s3
	s_add_co_ci_u32 s10, s27, s14
	s_mul_i32 s28, s25, s7
	s_add_co_ci_u32 s29, s9, 0
	s_delay_alu instid0(SALU_CYCLE_1) | instskip(NEXT) | instid1(SALU_CYCLE_1)
	s_add_nc_u64 s[26:27], s[10:11], s[28:29]
	s_and_b64 s[28:29], s[26:27], 0xffffffff00000000
	s_delay_alu instid0(SALU_CYCLE_1) | instskip(NEXT) | instid1(SALU_CYCLE_1)
	s_or_b32 s28, s28, s26
	s_mul_u64 s[26:27], s[12:13], s[28:29]
	s_add_nc_u64 s[30:31], s[28:29], 1
	s_sub_co_u32 s3, s24, s26
	s_cselect_b32 s7, -1, 0
	s_sub_co_i32 s9, s25, s27
	s_cmp_lg_u32 s7, 0
	s_add_nc_u64 s[34:35], s[28:29], 2
	s_sub_co_ci_u32 s9, s9, s13
	s_sub_co_u32 s10, s3, s12
	s_cselect_b32 s14, -1, 0
	s_delay_alu instid0(SALU_CYCLE_1) | instskip(SKIP_1) | instid1(SALU_CYCLE_1)
	s_cmp_lg_u32 s14, 0
	s_sub_co_ci_u32 s9, s9, 0
	s_cmp_ge_u32 s9, s13
	s_cselect_b32 s14, -1, 0
	s_cmp_ge_u32 s10, s12
	s_cselect_b32 s10, -1, 0
	s_cmp_eq_u32 s9, s13
	s_cselect_b32 s9, s10, s14
	s_delay_alu instid0(SALU_CYCLE_1) | instskip(SKIP_4) | instid1(SALU_CYCLE_1)
	s_cmp_lg_u32 s9, 0
	s_cselect_b32 s9, s34, s30
	s_cselect_b32 s10, s35, s31
	s_cmp_lg_u32 s7, 0
	s_sub_co_ci_u32 s7, s25, s27
	s_cmp_ge_u32 s7, s13
	s_cselect_b32 s14, -1, 0
	s_cmp_ge_u32 s3, s12
	s_cselect_b32 s3, -1, 0
	s_cmp_eq_u32 s7, s13
	s_cselect_b32 s3, s3, s14
	s_delay_alu instid0(SALU_CYCLE_1) | instskip(SKIP_3) | instid1(SALU_CYCLE_1)
	s_cmp_lg_u32 s3, 0
	s_cselect_b32 s13, s10, s29
	s_cselect_b32 s12, s9, s28
	s_xor_b64 s[22:23], s[22:23], 0
	s_xor_b64 s[12:13], s[12:13], s[22:23]
	s_delay_alu instid0(SALU_CYCLE_1)
	s_sub_nc_u64 s[24:25], s[12:13], s[22:23]
	s_load_b96 s[12:14], s[0:1], 0x44
	s_cbranch_execnz .LBB3_6
.LBB3_5:
	v_cvt_f32_u32_e32 v1, s16
	s_sub_co_i32 s7, 0, s16
	s_delay_alu instid0(VALU_DEP_1) | instskip(SKIP_1) | instid1(TRANS32_DEP_1)
	v_rcp_iflag_f32_e32 v1, v1
	v_nop
	v_mul_f32_e32 v1, 0x4f7ffffe, v1
	s_delay_alu instid0(VALU_DEP_1) | instskip(NEXT) | instid1(VALU_DEP_1)
	v_cvt_u32_f32_e32 v1, v1
	v_readfirstlane_b32 s3, v1
	s_mul_i32 s7, s7, s3
	s_delay_alu instid0(SALU_CYCLE_1) | instskip(NEXT) | instid1(SALU_CYCLE_1)
	s_mul_hi_u32 s7, s3, s7
	s_add_co_i32 s3, s3, s7
	s_delay_alu instid0(SALU_CYCLE_1) | instskip(NEXT) | instid1(SALU_CYCLE_1)
	s_mul_hi_u32 s3, s8, s3
	s_mul_i32 s7, s3, s16
	s_delay_alu instid0(SALU_CYCLE_1)
	s_sub_co_i32 s7, s8, s7
	s_add_co_i32 s8, s3, 1
	s_sub_co_i32 s9, s7, s16
	s_cmp_ge_u32 s7, s16
	s_cselect_b32 s3, s8, s3
	s_cselect_b32 s7, s9, s7
	s_add_co_i32 s8, s3, 1
	s_cmp_ge_u32 s7, s16
	s_cselect_b32 s24, s8, s3
.LBB3_6:
	s_delay_alu instid0(SALU_CYCLE_1)
	s_cmp_eq_u32 s20, s24
	s_mov_b64 s[8:9], 0xffffffff
	s_cselect_b32 s3, -1, 0
	s_and_b64 s[8:9], s[20:21], s[8:9]
	s_mov_b32 s23, 0
	s_wait_kmcnt 0x0
	s_mov_b32 s22, s12
	s_mov_b32 s25, s23
	s_mul_u64 s[10:11], s[8:9], s[22:23]
	s_delay_alu instid0(SALU_CYCLE_1) | instskip(SKIP_2) | instid1(SALU_CYCLE_1)
	s_add_co_i32 s7, s11, s20
	s_mul_u64 s[10:11], s[24:25], s[22:23]
	s_lshr_b32 s12, s7, s13
	s_mul_i32 s7, s12, s14
	s_delay_alu instid0(SALU_CYCLE_1) | instskip(SKIP_2) | instid1(SALU_CYCLE_1)
	s_cmp_eq_u32 s7, s20
	s_cselect_b32 s7, -1, 0
	s_add_co_i32 s10, s11, s24
	s_lshr_b32 s10, s10, s13
	s_delay_alu instid0(SALU_CYCLE_1)
	s_cmp_eq_u32 s12, s10
	s_mul_i32 s10, s10, s14
	s_cselect_b32 s11, -1, 0
	s_cmp_lg_u32 s10, s24
	s_cselect_b32 s10, -1, 0
	s_or_b32 s3, s3, s7
	s_and_b32 s10, s11, s10
	s_delay_alu instid0(SALU_CYCLE_1) | instskip(NEXT) | instid1(SALU_CYCLE_1)
	s_or_b32 s3, s3, s10
	s_and_b32 vcc_lo, exec_lo, s3
	s_cbranch_vccnz .LBB3_24
; %bb.7:
	s_load_b256 s[24:31], s[0:1], 0x20
	s_bfe_u32 s7, ttmp6, 0x40014
	s_bfe_u32 s33, ttmp6, 0x40010
	s_lshr_b32 s3, ttmp7, 16
	s_add_co_i32 s7, s7, 1
	s_and_b32 s21, ttmp7, 0xffff
	s_add_co_i32 s33, s33, 1
	s_bfe_u32 s10, ttmp6, 0x40008
	s_mul_i32 s7, s3, s7
	s_bfe_u32 s34, ttmp6, 0x40004
	s_mul_i32 s33, s21, s33
	s_mov_b32 s11, s23
	s_add_co_i32 s35, s10, s7
	s_add_co_i32 s34, s34, s33
	s_cmp_eq_u32 s15, 0
	s_cselect_b32 s7, s21, s34
	s_cselect_b32 s3, s3, s35
	s_wait_kmcnt 0x0
	s_mov_b32 s10, s24
	s_delay_alu instid0(SALU_CYCLE_1) | instskip(NEXT) | instid1(SALU_CYCLE_1)
	s_mul_u64 s[8:9], s[8:9], s[10:11]
	s_add_co_i32 s8, s9, s20
	s_load_b32 s9, s[0:1], 0x40
	s_lshr_b32 s8, s8, s25
	s_delay_alu instid0(SALU_CYCLE_1) | instskip(NEXT) | instid1(SALU_CYCLE_1)
	s_mul_i32 s10, s8, s26
	s_sub_co_i32 s10, s20, s10
	s_delay_alu instid0(SALU_CYCLE_1) | instskip(NEXT) | instid1(SALU_CYCLE_1)
	s_mul_hi_u32 s11, s10, s27
	s_add_co_i32 s11, s10, s11
	s_delay_alu instid0(SALU_CYCLE_1) | instskip(NEXT) | instid1(SALU_CYCLE_1)
	s_lshr_b32 s15, s11, s28
	s_mul_i32 s11, s15, s29
	s_delay_alu instid0(SALU_CYCLE_1) | instskip(NEXT) | instid1(SALU_CYCLE_1)
	s_sub_co_i32 s10, s10, s11
	s_mul_hi_u32 s11, s10, s30
	s_delay_alu instid0(SALU_CYCLE_1) | instskip(NEXT) | instid1(SALU_CYCLE_1)
	s_add_co_i32 s11, s10, s11
	s_lshr_b32 s26, s11, s31
	s_mov_b32 s11, s23
	s_wait_kmcnt 0x0
	s_mul_i32 s9, s26, s9
	s_delay_alu instid0(SALU_CYCLE_1) | instskip(NEXT) | instid1(SALU_CYCLE_1)
	s_sub_co_i32 s10, s10, s9
	s_mul_u64 s[24:25], s[10:11], s[22:23]
	s_lshl_b32 s24, s26, 3
	s_add_co_i32 s9, s10, s25
	s_delay_alu instid0(SALU_CYCLE_1) | instskip(NEXT) | instid1(SALU_CYCLE_1)
	s_lshr_b32 s21, s9, s13
	s_lshl_b32 s9, s21, 2
	s_delay_alu instid0(SALU_CYCLE_1) | instskip(NEXT) | instid1(SALU_CYCLE_1)
	s_add_co_i32 s9, s9, s7
	s_cmp_lt_i32 s9, s4
	s_cselect_b32 s9, -1, 0
	s_add_co_i32 s10, s24, s3
	s_delay_alu instid0(SALU_CYCLE_1) | instskip(SKIP_1) | instid1(SALU_CYCLE_1)
	s_cmp_lt_i32 s10, s6
	s_cselect_b32 s10, -1, 0
	s_and_b32 s9, s9, s10
	s_delay_alu instid0(SALU_CYCLE_1)
	s_and_not1_b32 vcc_lo, exec_lo, s9
	s_cbranch_vccnz .LBB3_24
; %bb.8:
	s_mul_i32 s4, s8, s4
	s_load_b128 s[8:11], s[0:1], 0x0
	s_wait_xcnt 0x0
	s_add_co_i32 s0, s4, s7
	s_mul_i32 s15, s15, s6
	s_mul_i32 s0, s0, s5
	;; [unrolled: 1-line block ×3, first 2 shown]
	s_add_co_i32 s0, s0, s3
	s_lshl_b32 s1, s1, 10
	s_add_co_i32 s0, s0, s15
	s_lshl_b32 s15, s7, 3
	s_add_co_i32 s0, s0, s24
	s_add_co_i32 s15, s15, s3
	s_lshl_b32 s0, s0, 8
	v_lshl_or_b32 v6, s15, 8, v0
	s_add_co_i32 s1, s1, s0
	v_cvt_f32_u32_e32 v4, s16
	v_or_b32_e32 v2, s1, v0
	s_add_nc_u64 s[0:1], s[16:17], 0
	s_lshl_b32 s24, s16, 7
	s_xor_b64 s[6:7], s[0:1], 0
	s_lshl_b32 s0, s2, 5
	s_cvt_f32_u32 s3, s6
	s_add_co_i32 s0, s15, s0
	s_cvt_f32_u32 s4, s7
	s_ashr_i32 s1, s0, 31
	v_rcp_iflag_f32_e32 v4, v4
	s_lshl_b64 s[0:1], s[0:1], 3
	s_fmamk_f32 s3, s4, 0x4f800000, s3
	s_wait_kmcnt 0x0
	s_add_nc_u64 s[0:1], s[10:11], s[0:1]
	s_mov_b32 s25, 0
	s_load_b64 s[28:29], s[0:1], 0x0
	v_s_rcp_f32 s3, s3
	s_wait_xcnt 0x0
	s_lshl_b64 s[0:1], s[24:25], 2
	s_add_co_i32 s36, s2, -1
	s_add_nc_u64 s[26:27], s[10:11], s[0:1]
	s_sub_nc_u64 s[34:35], 0, s[6:7]
	v_mul_f32_e32 v4, 0x4f7ffffe, v4
	s_delay_alu instid0(TRANS32_DEP_1) | instskip(NEXT) | instid1(VALU_DEP_1)
	s_mul_f32 s3, s3, 0x5f7ffffc
	v_cvt_u32_f32_e32 v7, v4
	s_delay_alu instid0(SALU_CYCLE_2) | instskip(NEXT) | instid1(SALU_CYCLE_3)
	s_mul_f32 s4, s3, 0x2f800000
	s_trunc_f32 s4, s4
	s_wait_kmcnt 0x0
	v_mov_b32_e32 v0, s29
	global_load_b32 v1, v2, s[8:9] scale_offset
	v_ashrrev_i32_e32 v3, 31, v2
	s_fmamk_f32 s0, s4, 0xcf800000, s3
	s_cvt_u32_f32 s31, s4
	s_wait_xcnt 0x0
	s_delay_alu instid0(VALU_DEP_1)
	v_lshl_add_u64 v[2:3], v[2:3], 2, s[8:9]
	s_cvt_u32_f32 s30, s0
	s_mov_b64 s[8:9], 0xffffffff
.LBB3_9:                                ; =>This Inner Loop Header: Depth=1
	s_ashr_i32 s37, s36, 31
                                        ; implicit-def: $sgpr40_sgpr41
	s_delay_alu instid0(SALU_CYCLE_1) | instskip(NEXT) | instid1(SALU_CYCLE_1)
	s_mul_u64 s[0:1], s[36:37], s[18:19]
	s_and_b64 s[2:3], s[0:1], 0xffffffff00000000
	s_delay_alu instid0(SALU_CYCLE_1)
	s_cmp_lg_u64 s[2:3], 0
	s_mov_b32 s2, -1
	s_cbranch_scc0 .LBB3_11
; %bb.10:                               ;   in Loop: Header=BB3_9 Depth=1
	s_mul_u64 s[2:3], s[34:35], s[30:31]
	s_delay_alu instid0(SALU_CYCLE_1)
	s_mul_hi_u32 s5, s30, s3
	s_mul_i32 s4, s30, s3
	s_mul_hi_u32 s24, s30, s2
	s_mul_hi_u32 s17, s31, s2
	s_add_nc_u64 s[4:5], s[24:25], s[4:5]
	s_mul_i32 s2, s31, s2
	s_mul_hi_u32 s21, s31, s3
	s_add_co_u32 s2, s4, s2
	s_add_co_ci_u32 s24, s5, s17
	s_add_co_ci_u32 s5, s21, 0
	s_mul_i32 s4, s31, s3
	s_delay_alu instid0(SALU_CYCLE_1) | instskip(NEXT) | instid1(SALU_CYCLE_1)
	s_add_nc_u64 s[2:3], s[24:25], s[4:5]
	s_add_co_u32 s2, s30, s2
	s_cselect_b32 s4, -1, 0
	s_delay_alu instid0(SALU_CYCLE_1) | instskip(SKIP_1) | instid1(SALU_CYCLE_1)
	s_cmp_lg_u32 s4, 0
	s_add_co_ci_u32 s3, s31, s3
	s_mul_u64 s[4:5], s[34:35], s[2:3]
	s_delay_alu instid0(SALU_CYCLE_1)
	s_mul_hi_u32 s39, s2, s5
	s_mul_i32 s38, s2, s5
	s_mul_hi_u32 s24, s2, s4
	s_mul_hi_u32 s17, s3, s4
	s_mul_i32 s4, s3, s4
	s_add_nc_u64 s[38:39], s[24:25], s[38:39]
	s_mul_hi_u32 s21, s3, s5
	s_add_co_u32 s4, s38, s4
	s_add_co_ci_u32 s24, s39, s17
	s_mul_i32 s4, s3, s5
	s_add_co_ci_u32 s5, s21, 0
	s_delay_alu instid0(SALU_CYCLE_1) | instskip(NEXT) | instid1(SALU_CYCLE_1)
	s_add_nc_u64 s[4:5], s[24:25], s[4:5]
	s_add_co_u32 s17, s2, s4
	s_cselect_b32 s2, -1, 0
	s_delay_alu instid0(SALU_CYCLE_1) | instskip(SKIP_2) | instid1(SALU_CYCLE_1)
	s_cmp_lg_u32 s2, 0
	s_add_co_ci_u32 s21, s3, s5
	s_ashr_i32 s2, s1, 31
	s_mov_b32 s3, s2
	s_delay_alu instid0(SALU_CYCLE_1) | instskip(NEXT) | instid1(SALU_CYCLE_1)
	s_add_nc_u64 s[4:5], s[0:1], s[2:3]
	s_xor_b64 s[4:5], s[4:5], s[2:3]
	s_delay_alu instid0(SALU_CYCLE_1)
	s_mul_hi_u32 s39, s4, s21
	s_mul_i32 s38, s4, s21
	s_mul_hi_u32 s24, s4, s17
	s_mul_hi_u32 s29, s5, s17
	s_mul_i32 s17, s5, s17
	s_add_nc_u64 s[38:39], s[24:25], s[38:39]
	s_mul_hi_u32 s1, s5, s21
	s_add_co_u32 s17, s38, s17
	s_add_co_ci_u32 s24, s39, s29
	s_mul_i32 s40, s5, s21
	s_add_co_ci_u32 s41, s1, 0
	s_delay_alu instid0(SALU_CYCLE_1) | instskip(NEXT) | instid1(SALU_CYCLE_1)
	s_add_nc_u64 s[38:39], s[24:25], s[40:41]
	s_and_b64 s[40:41], s[38:39], 0xffffffff00000000
	s_delay_alu instid0(SALU_CYCLE_1) | instskip(NEXT) | instid1(SALU_CYCLE_1)
	s_or_b32 s40, s40, s38
	s_mul_u64 s[38:39], s[6:7], s[40:41]
	s_add_nc_u64 s[42:43], s[40:41], 1
	s_sub_co_u32 s1, s4, s38
	s_cselect_b32 s4, -1, 0
	s_sub_co_i32 s17, s5, s39
	s_cmp_lg_u32 s4, 0
	s_add_nc_u64 s[44:45], s[40:41], 2
	s_sub_co_ci_u32 s17, s17, s7
	s_sub_co_u32 s21, s1, s6
	s_cselect_b32 s24, -1, 0
	s_delay_alu instid0(SALU_CYCLE_1) | instskip(SKIP_1) | instid1(SALU_CYCLE_1)
	s_cmp_lg_u32 s24, 0
	s_sub_co_ci_u32 s17, s17, 0
	s_cmp_ge_u32 s17, s7
	s_cselect_b32 s24, -1, 0
	s_cmp_ge_u32 s21, s6
	s_cselect_b32 s21, -1, 0
	s_cmp_eq_u32 s17, s7
	s_cselect_b32 s17, s21, s24
	s_delay_alu instid0(SALU_CYCLE_1) | instskip(SKIP_4) | instid1(SALU_CYCLE_1)
	s_cmp_lg_u32 s17, 0
	s_cselect_b32 s17, s44, s42
	s_cselect_b32 s21, s45, s43
	s_cmp_lg_u32 s4, 0
	s_sub_co_ci_u32 s4, s5, s39
	s_cmp_ge_u32 s4, s7
	s_cselect_b32 s5, -1, 0
	s_cmp_ge_u32 s1, s6
	s_cselect_b32 s1, -1, 0
	s_cmp_eq_u32 s4, s7
	s_cselect_b32 s1, s1, s5
	s_delay_alu instid0(SALU_CYCLE_1) | instskip(SKIP_3) | instid1(SALU_CYCLE_1)
	s_cmp_lg_u32 s1, 0
	s_cselect_b32 s5, s21, s41
	s_cselect_b32 s4, s17, s40
	s_xor_b64 s[2:3], s[2:3], 0
	s_xor_b64 s[4:5], s[4:5], s[2:3]
	s_delay_alu instid0(SALU_CYCLE_1)
	s_sub_nc_u64 s[40:41], s[4:5], s[2:3]
	s_mov_b32 s2, 0
.LBB3_11:                               ;   in Loop: Header=BB3_9 Depth=1
	s_delay_alu instid0(SALU_CYCLE_1)
	s_and_not1_b32 vcc_lo, exec_lo, s2
	s_cbranch_vccnz .LBB3_13
; %bb.12:                               ;   in Loop: Header=BB3_9 Depth=1
	v_readfirstlane_b32 s1, v7
	s_sub_co_i32 s2, 0, s16
	s_delay_alu instid0(SALU_CYCLE_1) | instskip(NEXT) | instid1(SALU_CYCLE_1)
	s_mul_i32 s2, s2, s1
	s_mul_hi_u32 s2, s1, s2
	s_delay_alu instid0(SALU_CYCLE_1) | instskip(NEXT) | instid1(SALU_CYCLE_1)
	s_add_co_i32 s1, s1, s2
	s_mul_hi_u32 s1, s0, s1
	s_delay_alu instid0(SALU_CYCLE_1) | instskip(NEXT) | instid1(SALU_CYCLE_1)
	s_mul_i32 s2, s1, s16
	s_sub_co_i32 s0, s0, s2
	s_add_co_i32 s2, s1, 1
	s_sub_co_i32 s3, s0, s16
	s_cmp_ge_u32 s0, s16
	s_cselect_b32 s1, s2, s1
	s_cselect_b32 s0, s3, s0
	s_add_co_i32 s2, s1, 1
	s_cmp_ge_u32 s0, s16
	s_cselect_b32 s24, s2, s1
	s_delay_alu instid0(SALU_CYCLE_1)
	s_mov_b64 s[40:41], s[24:25]
.LBB3_13:                               ;   in Loop: Header=BB3_9 Depth=1
	s_delay_alu instid0(SALU_CYCLE_1)
	s_cmp_lg_u32 s20, s40
	s_mov_b32 s0, -1
                                        ; implicit-def: $vgpr4_vgpr5
                                        ; implicit-def: $sgpr24
                                        ; implicit-def: $sgpr17
                                        ; implicit-def: $sgpr21
                                        ; implicit-def: $sgpr29
	s_cbranch_scc0 .LBB3_18
; %bb.14:                               ;   in Loop: Header=BB3_9 Depth=1
	s_add_co_i32 s0, s36, s16
	v_max_num_f32_e64 v4, s28, s28
	s_lshl_b32 s0, s0, 5
	s_mov_b32 s29, s20
	s_add_co_i32 s0, s0, s15
	s_load_b64 s[38:39], s[10:11], s0 offset:0x0 scale_offset
	s_wait_xcnt 0x0
	v_readfirstlane_b32 s0, v4
	s_wait_kmcnt 0x0
	v_max_num_f32_e64 v5, s38, s38
	s_delay_alu instid0(VALU_DEP_1) | instskip(SKIP_1) | instid1(SALU_CYCLE_3)
	v_readfirstlane_b32 s1, v5
	s_max_num_f32 s17, s0, s1
	s_sub_f32 s33, s28, s17
	s_sub_f32 s37, s38, s17
	s_delay_alu instid0(SALU_CYCLE_2)
	s_cmp_nlt_f32 s33, 0xc2ce8ed0
	s_cselect_b32 s1, -1, 0
	s_cmp_ngt_f32 s33, 0x42b17218
	s_cselect_b32 s2, -1, 0
	s_cmp_ge_f32 s33, 0xc1a00000
	s_cselect_b32 s0, -1, 0
	s_cmp_nlt_f32 s37, 0xc2ce8ed0
	s_cselect_b32 s3, -1, 0
	s_cmp_ngt_f32 s37, 0x42b17218
	s_cselect_b32 s4, -1, 0
	s_cmp_ge_f32 s37, 0xc1a00000
	s_cselect_b32 s5, -1, 0
	s_and_b64 s[42:43], s[40:41], s[8:9]
	s_delay_alu instid0(SALU_CYCLE_1) | instskip(NEXT) | instid1(SALU_CYCLE_1)
	s_mul_u64 s[42:43], s[42:43], s[22:23]
	s_add_co_i32 s21, s43, s40
	s_delay_alu instid0(SALU_CYCLE_1) | instskip(NEXT) | instid1(SALU_CYCLE_1)
	s_lshr_b32 s21, s21, s13
	s_mul_i32 s24, s21, s14
	s_delay_alu instid0(SALU_CYCLE_1) | instskip(SKIP_3) | instid1(SALU_CYCLE_1)
	s_cmp_eq_u32 s24, s40
	s_cselect_b32 s24, -1, 0
	s_cmp_lt_u32 s21, s12
	s_cselect_b32 s21, -1, 0
	s_or_b32 s21, s21, s24
	s_mov_b32 s24, -1
	s_and_b32 vcc_lo, exec_lo, s21
	s_mov_b32 s21, s36
	s_cbranch_vccnz .LBB3_16
; %bb.15:                               ;   in Loop: Header=BB3_9 Depth=1
	s_add_co_i32 s21, s36, -1
	s_mov_b32 s24, 0
	s_mov_b32 s29, s40
.LBB3_16:                               ;   in Loop: Header=BB3_9 Depth=1
	v_lshl_add_u32 v4, s36, 13, v6
	s_mul_f32 s40, s33, 0x3fb8aa3b
	s_mul_f32 s38, s37, 0x3fb8aa3b
	s_delay_alu instid0(SALU_CYCLE_2)
	s_xor_b32 s42, s40, 0x80000000
	global_load_b32 v5, v4, s[26:27] scale_offset
	s_fmamk_f32 s42, s33, 0x3fb8aa3b, s42
	s_rndne_f32 s44, s40
	s_xor_b32 s41, s38, 0x80000000
	s_rndne_f32 s43, s38
	s_fmamk_f32 s33, s33, 0x32a5705f, s42
	s_sub_f32 s40, s40, s44
	s_fmamk_f32 s41, s37, 0x3fb8aa3b, s41
	s_sub_f32 s38, s38, s43
	s_delay_alu instid0(SALU_CYCLE_1) | instskip(NEXT) | instid1(SALU_CYCLE_1)
	s_add_f32 s33, s40, s33
	s_fmamk_f32 s37, s37, 0x32a5705f, s41
	s_cvt_i32_f32 s40, s44
	s_delay_alu instid0(SALU_CYCLE_1) | instskip(NEXT) | instid1(SALU_CYCLE_1)
	v_s_exp_f32 s33, s33
	s_add_f32 s37, s38, s37
	s_cvt_i32_f32 s38, s43
	s_delay_alu instid0(SALU_CYCLE_2) | instskip(NEXT) | instid1(TRANS32_DEP_2)
	v_s_exp_f32 s37, s37
	v_ldexp_f32 v8, s33, s40
	s_wait_xcnt 0x0
	s_delay_alu instid0(TRANS32_DEP_1) | instskip(NEXT) | instid1(VALU_DEP_2)
	v_ldexp_f32 v4, s37, s38
	v_cndmask_b32_e64 v8, 0, v8, s1
	s_delay_alu instid0(VALU_DEP_1) | instskip(NEXT) | instid1(VALU_DEP_1)
	v_cndmask_b32_e64 v9, 0x7f800000, v8, s2
	v_dual_cndmask_b32 v4, 0, v4, s3 :: v_dual_cndmask_b32 v10, 0, v9, s0
	s_delay_alu instid0(VALU_DEP_1) | instskip(NEXT) | instid1(VALU_DEP_1)
	v_cndmask_b32_e64 v4, 0x7f800000, v4, s4
	v_dual_cndmask_b32 v8, 0, v4, s5 :: v_dual_mov_b32 v4, s39
	s_wait_loadcnt 0x0
	s_delay_alu instid0(VALU_DEP_1) | instskip(NEXT) | instid1(VALU_DEP_1)
	v_pk_mul_f32 v[4:5], v[4:5], v[8:9] op_sel_hi:[1,0]
	v_pk_fma_f32 v[4:5], v[0:1], v[10:11], v[4:5] op_sel_hi:[1,0,1]
	s_cbranch_execz .LBB3_19
.LBB3_17:                               ;   in Loop: Header=BB3_9 Depth=1
	s_and_not1_b32 vcc_lo, exec_lo, s24
	s_cbranch_vccnz .LBB3_20
	s_branch .LBB3_23
.LBB3_18:                               ;   in Loop: Header=BB3_9 Depth=1
	s_and_not1_b32 vcc_lo, exec_lo, s0
	s_cbranch_vccnz .LBB3_17
.LBB3_19:                               ;   in Loop: Header=BB3_9 Depth=1
	s_wait_loadcnt 0x0
	v_mov_b64_e32 v[4:5], v[0:1]
	s_add_co_i32 s21, s36, -1
	s_mov_b32 s29, s20
	s_mov_b32 s17, s28
	s_cbranch_execz .LBB3_23
.LBB3_20:                               ;   in Loop: Header=BB3_9 Depth=1
	s_wait_loadcnt 0x0
	s_delay_alu instid0(VALU_DEP_1)
	v_mov_b64_e32 v[0:1], v[4:5]
	s_mov_b32 s20, s29
	s_mov_b32 s36, s21
	;; [unrolled: 1-line block ×3, first 2 shown]
	s_branch .LBB3_9
.LBB3_21:
                                        ; implicit-def: $sgpr20_sgpr21
	s_branch .LBB3_2
.LBB3_22:
                                        ; implicit-def: $sgpr24_sgpr25
	s_load_b96 s[12:14], s[0:1], 0x44
	s_branch .LBB3_5
.LBB3_23:
	s_delay_alu instid0(VALU_DEP_1) | instskip(SKIP_1) | instid1(VALU_DEP_1)
	v_div_scale_f32 v0, null, v4, v4, v5
	s_wait_loadcnt 0x0
	v_rcp_f32_e32 v1, v0
	v_nop
	s_delay_alu instid0(TRANS32_DEP_1) | instskip(NEXT) | instid1(VALU_DEP_1)
	v_fma_f32 v6, -v0, v1, 1.0
	v_fmac_f32_e32 v1, v6, v1
	v_div_scale_f32 v6, vcc_lo, v5, v4, v5
	s_delay_alu instid0(VALU_DEP_1) | instskip(NEXT) | instid1(VALU_DEP_1)
	v_mul_f32_e32 v7, v6, v1
	v_fma_f32 v8, -v0, v7, v6
	s_delay_alu instid0(VALU_DEP_1) | instskip(NEXT) | instid1(VALU_DEP_1)
	v_fmac_f32_e32 v7, v8, v1
	v_fma_f32 v0, -v0, v7, v6
	s_delay_alu instid0(VALU_DEP_1) | instskip(NEXT) | instid1(VALU_DEP_1)
	v_div_fmas_f32 v0, v0, v1, v7
	v_div_fixup_f32 v0, v0, v4, v5
	global_store_b32 v[2:3], v0, off
.LBB3_24:
	s_endpgm
	.section	.rodata,"a",@progbits
	.p2align	6, 0x0
	.amdhsa_kernel _ZL33flash_attn_stream_k_fixup_generalILi256ELi4ELi8EEvPfPK15HIP_vector_typeIfLj2EEiiiiS1_IjLj3EES5_S5_S5_
		.amdhsa_group_segment_fixed_size 0
		.amdhsa_private_segment_fixed_size 0
		.amdhsa_kernarg_size 336
		.amdhsa_user_sgpr_count 2
		.amdhsa_user_sgpr_dispatch_ptr 0
		.amdhsa_user_sgpr_queue_ptr 0
		.amdhsa_user_sgpr_kernarg_segment_ptr 1
		.amdhsa_user_sgpr_dispatch_id 0
		.amdhsa_user_sgpr_kernarg_preload_length 0
		.amdhsa_user_sgpr_kernarg_preload_offset 0
		.amdhsa_user_sgpr_private_segment_size 0
		.amdhsa_wavefront_size32 1
		.amdhsa_uses_dynamic_stack 0
		.amdhsa_enable_private_segment 0
		.amdhsa_system_sgpr_workgroup_id_x 1
		.amdhsa_system_sgpr_workgroup_id_y 1
		.amdhsa_system_sgpr_workgroup_id_z 1
		.amdhsa_system_sgpr_workgroup_info 0
		.amdhsa_system_vgpr_workitem_id 0
		.amdhsa_next_free_vgpr 12
		.amdhsa_next_free_sgpr 46
		.amdhsa_named_barrier_count 0
		.amdhsa_reserve_vcc 1
		.amdhsa_float_round_mode_32 0
		.amdhsa_float_round_mode_16_64 0
		.amdhsa_float_denorm_mode_32 3
		.amdhsa_float_denorm_mode_16_64 3
		.amdhsa_fp16_overflow 0
		.amdhsa_memory_ordered 1
		.amdhsa_forward_progress 1
		.amdhsa_inst_pref_size 27
		.amdhsa_round_robin_scheduling 0
		.amdhsa_exception_fp_ieee_invalid_op 0
		.amdhsa_exception_fp_denorm_src 0
		.amdhsa_exception_fp_ieee_div_zero 0
		.amdhsa_exception_fp_ieee_overflow 0
		.amdhsa_exception_fp_ieee_underflow 0
		.amdhsa_exception_fp_ieee_inexact 0
		.amdhsa_exception_int_div_zero 0
	.end_amdhsa_kernel
	.section	.text._ZL33flash_attn_stream_k_fixup_generalILi256ELi4ELi8EEvPfPK15HIP_vector_typeIfLj2EEiiiiS1_IjLj3EES5_S5_S5_,"axG",@progbits,_ZL33flash_attn_stream_k_fixup_generalILi256ELi4ELi8EEvPfPK15HIP_vector_typeIfLj2EEiiiiS1_IjLj3EES5_S5_S5_,comdat
.Lfunc_end3:
	.size	_ZL33flash_attn_stream_k_fixup_generalILi256ELi4ELi8EEvPfPK15HIP_vector_typeIfLj2EEiiiiS1_IjLj3EES5_S5_S5_, .Lfunc_end3-_ZL33flash_attn_stream_k_fixup_generalILi256ELi4ELi8EEvPfPK15HIP_vector_typeIfLj2EEiiiiS1_IjLj3EES5_S5_S5_
                                        ; -- End function
	.set _ZL33flash_attn_stream_k_fixup_generalILi256ELi4ELi8EEvPfPK15HIP_vector_typeIfLj2EEiiiiS1_IjLj3EES5_S5_S5_.num_vgpr, 12
	.set _ZL33flash_attn_stream_k_fixup_generalILi256ELi4ELi8EEvPfPK15HIP_vector_typeIfLj2EEiiiiS1_IjLj3EES5_S5_S5_.num_agpr, 0
	.set _ZL33flash_attn_stream_k_fixup_generalILi256ELi4ELi8EEvPfPK15HIP_vector_typeIfLj2EEiiiiS1_IjLj3EES5_S5_S5_.numbered_sgpr, 46
	.set _ZL33flash_attn_stream_k_fixup_generalILi256ELi4ELi8EEvPfPK15HIP_vector_typeIfLj2EEiiiiS1_IjLj3EES5_S5_S5_.num_named_barrier, 0
	.set _ZL33flash_attn_stream_k_fixup_generalILi256ELi4ELi8EEvPfPK15HIP_vector_typeIfLj2EEiiiiS1_IjLj3EES5_S5_S5_.private_seg_size, 0
	.set _ZL33flash_attn_stream_k_fixup_generalILi256ELi4ELi8EEvPfPK15HIP_vector_typeIfLj2EEiiiiS1_IjLj3EES5_S5_S5_.uses_vcc, 1
	.set _ZL33flash_attn_stream_k_fixup_generalILi256ELi4ELi8EEvPfPK15HIP_vector_typeIfLj2EEiiiiS1_IjLj3EES5_S5_S5_.uses_flat_scratch, 0
	.set _ZL33flash_attn_stream_k_fixup_generalILi256ELi4ELi8EEvPfPK15HIP_vector_typeIfLj2EEiiiiS1_IjLj3EES5_S5_S5_.has_dyn_sized_stack, 0
	.set _ZL33flash_attn_stream_k_fixup_generalILi256ELi4ELi8EEvPfPK15HIP_vector_typeIfLj2EEiiiiS1_IjLj3EES5_S5_S5_.has_recursion, 0
	.set _ZL33flash_attn_stream_k_fixup_generalILi256ELi4ELi8EEvPfPK15HIP_vector_typeIfLj2EEiiiiS1_IjLj3EES5_S5_S5_.has_indirect_call, 0
	.section	.AMDGPU.csdata,"",@progbits
; Kernel info:
; codeLenInByte = 3360
; TotalNumSgprs: 48
; NumVgprs: 12
; ScratchSize: 0
; MemoryBound: 0
; FloatMode: 240
; IeeeMode: 1
; LDSByteSize: 0 bytes/workgroup (compile time only)
; SGPRBlocks: 0
; VGPRBlocks: 0
; NumSGPRsForWavesPerEU: 48
; NumVGPRsForWavesPerEU: 12
; NamedBarCnt: 0
; Occupancy: 16
; WaveLimiterHint : 0
; COMPUTE_PGM_RSRC2:SCRATCH_EN: 0
; COMPUTE_PGM_RSRC2:USER_SGPR: 2
; COMPUTE_PGM_RSRC2:TRAP_HANDLER: 0
; COMPUTE_PGM_RSRC2:TGID_X_EN: 1
; COMPUTE_PGM_RSRC2:TGID_Y_EN: 1
; COMPUTE_PGM_RSRC2:TGID_Z_EN: 1
; COMPUTE_PGM_RSRC2:TIDIG_COMP_CNT: 0
	.section	.text._ZL26flash_attn_combine_resultsILi256EEvPKfPK15HIP_vector_typeIfLj2EEPfi,"axG",@progbits,_ZL26flash_attn_combine_resultsILi256EEvPKfPK15HIP_vector_typeIfLj2EEPfi,comdat
	.globl	_ZL26flash_attn_combine_resultsILi256EEvPKfPK15HIP_vector_typeIfLj2EEPfi ; -- Begin function _ZL26flash_attn_combine_resultsILi256EEvPKfPK15HIP_vector_typeIfLj2EEPfi
	.p2align	8
	.type	_ZL26flash_attn_combine_resultsILi256EEvPKfPK15HIP_vector_typeIfLj2EEPfi,@function
_ZL26flash_attn_combine_resultsILi256EEvPKfPK15HIP_vector_typeIfLj2EEPfi: ; @_ZL26flash_attn_combine_resultsILi256EEvPKfPK15HIP_vector_typeIfLj2EEPfi
; %bb.0:
	s_clause 0x2
	s_load_b128 s[4:7], s[0:1], 0x0
	s_load_b96 s[8:10], s[0:1], 0x10
	s_load_b64 s[2:3], s[0:1], 0x20
	s_bfe_u32 s11, ttmp6, 0x4000c
	s_wait_xcnt 0x0
	s_and_b32 s0, ttmp6, 15
	s_add_co_i32 s11, s11, 1
	s_and_b32 s12, ttmp7, 0xffff
	s_mul_i32 s1, ttmp9, s11
	s_bfe_u32 s11, ttmp6, 0x40010
	s_bfe_u32 s13, ttmp6, 0x40014
	s_add_co_i32 s11, s11, 1
	s_add_co_i32 s0, s0, s1
	s_mul_i32 s1, s12, s11
	s_bfe_u32 s11, ttmp6, 0x40004
	s_lshr_b32 s14, ttmp7, 16
	s_add_co_i32 s13, s13, 1
	s_add_co_i32 s11, s11, s1
	s_mul_i32 s1, s14, s13
	s_bfe_u32 s13, ttmp6, 0x40008
	s_getreg_b32 s15, hwreg(HW_REG_IB_STS2, 6, 4)
	s_add_co_i32 s13, s13, s1
	s_cmp_eq_u32 s15, 0
	v_mov_b32_e32 v2, v0
	s_cselect_b32 s1, s14, s13
	s_cselect_b32 s0, ttmp9, s0
	s_wait_kmcnt 0x0
	s_mul_i32 s1, s2, s1
	s_cselect_b32 s2, s12, s11
	s_add_co_i32 s0, s1, s0
	s_lshl_b32 s12, s10, 1
	s_mul_i32 s11, s0, s3
	s_mov_b32 s13, exec_lo
	s_add_co_i32 s11, s11, s2
	s_delay_alu instid0(SALU_CYCLE_1)
	s_mul_i32 s2, s11, s10
	v_cmpx_gt_i32_e64 s12, v0
	s_cbranch_execz .LBB4_13
; %bb.1:
	v_xad_u32 v1, v0, -1, s12
	s_ashr_i32 s3, s2, 31
	s_mov_b32 s0, -1
	s_mov_b32 s14, exec_lo
	s_delay_alu instid0(VALU_DEP_1)
	v_cmpx_lt_u32_e32 0xff, v1
	s_cbranch_execz .LBB4_10
; %bb.2:
	v_lshrrev_b32_e32 v6, 8, v1
	v_or_b32_e32 v1, 0x100, v0
	s_lshl_b64 s[0:1], s[2:3], 3
	v_mov_b32_e32 v4, 0
	s_add_nc_u64 s[0:1], s[6:7], s[0:1]
	v_add_nc_u32_e32 v2, -1, v6
	s_delay_alu instid0(VALU_DEP_1) | instskip(SKIP_1) | instid1(VALU_DEP_2)
	v_lshrrev_b32_e32 v3, 1, v2
	v_cmp_lt_u32_e32 vcc_lo, 13, v2
	v_add_nc_u32_e32 v7, 1, v3
	v_mov_b64_e32 v[2:3], v[0:1]
	s_and_saveexec_b32 s15, vcc_lo
	s_cbranch_execz .LBB4_6
; %bb.3:
	v_mov_b64_e32 v[2:3], v[0:1]
	v_dual_mov_b32 v5, 0 :: v_dual_bitop2_b32 v8, -8, v7 bitop3:0x40
	v_lshl_add_u32 v9, v0, 2, 0
	s_mov_b32 s16, 0
	s_mov_b32 s17, 0
.LBB4_4:                                ; =>This Inner Loop Header: Depth=1
	s_delay_alu instid0(VALU_DEP_2) | instskip(NEXT) | instid1(VALU_DEP_4)
	v_dual_mov_b32 v4, v2 :: v_dual_mov_b32 v11, v5
	v_dual_mov_b32 v13, v5 :: v_dual_add_nc_u32 v10, 0x200, v3
	v_dual_mov_b32 v15, v5 :: v_dual_add_nc_u32 v12, 0x400, v3
	s_delay_alu instid0(VALU_DEP_3) | instskip(SKIP_1) | instid1(VALU_DEP_4)
	v_lshl_add_u64 v[24:25], v[4:5], 2, s[0:1]
	v_dual_mov_b32 v4, v3 :: v_dual_add_nc_u32 v8, -8, v8
	v_lshl_add_u64 v[10:11], v[10:11], 2, s[0:1]
	v_dual_mov_b32 v17, v5 :: v_dual_add_nc_u32 v14, 0x600, v3
	s_delay_alu instid0(VALU_DEP_3)
	v_lshl_add_u64 v[26:27], v[4:5], 2, s[0:1]
	v_add_nc_u32_e32 v4, 0x200, v2
	global_load_b32 v1, v[24:25], off
	v_lshl_add_u64 v[12:13], v[12:13], 2, s[0:1]
	v_dual_mov_b32 v19, v5 :: v_dual_add_nc_u32 v16, 0x800, v3
	global_load_b32 v28, v[26:27], off
	s_wait_xcnt 0x1
	v_lshl_add_u64 v[24:25], v[4:5], 2, s[0:1]
	v_add_nc_u32_e32 v4, 0x400, v2
	s_clause 0x1
	global_load_b32 v29, v[24:25], off
	global_load_b32 v30, v[10:11], off
	s_wait_xcnt 0x2
	v_lshl_add_u64 v[26:27], v[4:5], 2, s[0:1]
	v_add_nc_u32_e32 v4, 0x600, v2
	s_clause 0x1
	global_load_b32 v24, v[26:27], off
	global_load_b32 v25, v[12:13], off
	s_wait_xcnt 0x2
	v_lshl_add_u64 v[10:11], v[4:5], 2, s[0:1]
	v_add_nc_u32_e32 v4, 0x800, v2
	v_lshl_add_u64 v[14:15], v[14:15], 2, s[0:1]
	s_clause 0x1
	global_load_b32 v26, v[10:11], off
	global_load_b32 v27, v[14:15], off
	s_wait_xcnt 0x2
	v_lshl_add_u64 v[12:13], v[4:5], 2, s[0:1]
	v_add_nc_u32_e32 v4, 0xa00, v2
	v_dual_mov_b32 v21, v5 :: v_dual_add_nc_u32 v18, 0xa00, v3
	v_lshl_add_u64 v[16:17], v[16:17], 2, s[0:1]
	v_dual_mov_b32 v23, v5 :: v_dual_add_nc_u32 v20, 0xc00, v3
	s_wait_xcnt 0x1
	v_lshl_add_u64 v[10:11], v[4:5], 2, s[0:1]
	v_add_nc_u32_e32 v4, 0xc00, v2
	s_clause 0x1
	global_load_b32 v14, v[12:13], off
	global_load_b32 v15, v[16:17], off
	v_add_nc_u32_e32 v22, 0xe00, v3
	v_lshl_add_u64 v[18:19], v[18:19], 2, s[0:1]
	v_lshl_add_u64 v[20:21], v[20:21], 2, s[0:1]
	s_wait_xcnt 0x1
	v_lshl_add_u64 v[12:13], v[4:5], 2, s[0:1]
	v_add_nc_u32_e32 v4, 0xe00, v2
	s_clause 0x1
	global_load_b32 v16, v[10:11], off
	global_load_b32 v17, v[18:19], off
	v_lshl_add_u64 v[22:23], v[22:23], 2, s[0:1]
	s_add_co_i32 s17, s17, 16
	v_cmp_eq_u32_e32 vcc_lo, 0, v8
	s_wait_xcnt 0x1
	v_lshl_add_u64 v[10:11], v[4:5], 2, s[0:1]
	s_clause 0x3
	global_load_b32 v18, v[12:13], off
	global_load_b32 v19, v[20:21], off
	;; [unrolled: 1-line block ×4, first 2 shown]
	v_dual_mov_b32 v4, s17 :: v_dual_add_nc_u32 v3, 0x1000, v3
	v_add_nc_u32_e32 v2, 0x1000, v2
	s_or_b32 s16, vcc_lo, s16
	s_wait_loadcnt 0xe
	ds_store_2addr_stride64_b32 v9, v1, v28 offset1:4
	s_wait_loadcnt 0xc
	ds_store_2addr_stride64_b32 v9, v29, v30 offset0:8 offset1:12
	s_wait_loadcnt 0xa
	ds_store_2addr_stride64_b32 v9, v24, v25 offset0:16 offset1:20
	;; [unrolled: 2-line block ×7, first 2 shown]
	v_add_nc_u32_e32 v9, 0x4000, v9
	s_wait_xcnt 0x0
	s_and_not1_b32 exec_lo, exec_lo, s16
	s_cbranch_execnz .LBB4_4
; %bb.5:
	s_or_b32 exec_lo, exec_lo, s16
.LBB4_6:
	s_delay_alu instid0(SALU_CYCLE_1) | instskip(SKIP_3) | instid1(VALU_DEP_1)
	s_or_b32 exec_lo, exec_lo, s15
	v_and_b32_e32 v1, 7, v7
	s_mov_b32 s16, 0
	s_mov_b32 s15, exec_lo
	v_cmpx_ne_u32_e32 0, v1
	s_cbranch_execz .LBB4_9
; %bb.7:
	v_lshlrev_b32_e32 v5, 2, v0
	s_delay_alu instid0(VALU_DEP_1) | instskip(NEXT) | instid1(VALU_DEP_1)
	v_lshl_or_b32 v4, v4, 10, v5
	v_dual_mov_b32 v5, 0 :: v_dual_add_nc_u32 v7, 0, v4
.LBB4_8:                                ; =>This Inner Loop Header: Depth=1
	v_dual_mov_b32 v4, v2 :: v_dual_add_nc_u32 v1, -1, v1
	v_add_nc_u32_e32 v2, 0x200, v2
	s_delay_alu instid0(VALU_DEP_2) | instskip(SKIP_1) | instid1(VALU_DEP_4)
	v_lshl_add_u64 v[8:9], v[4:5], 2, s[0:1]
	v_dual_mov_b32 v4, v3 :: v_dual_add_nc_u32 v3, 0x200, v3
	v_cmp_eq_u32_e32 vcc_lo, 0, v1
	s_delay_alu instid0(VALU_DEP_2)
	v_lshl_add_u64 v[10:11], v[4:5], 2, s[0:1]
	s_clause 0x1
	global_load_b32 v4, v[8:9], off
	global_load_b32 v12, v[10:11], off
	s_or_b32 s16, vcc_lo, s16
	s_wait_loadcnt 0x0
	ds_store_2addr_stride64_b32 v7, v4, v12 offset1:4
	v_add_nc_u32_e32 v7, 0x800, v7
	s_and_not1_b32 exec_lo, exec_lo, s16
	s_cbranch_execnz .LBB4_8
.LBB4_9:
	s_or_b32 exec_lo, exec_lo, s15
	v_add_nc_u32_e32 v1, 1, v6
	s_delay_alu instid0(VALU_DEP_1) | instskip(NEXT) | instid1(VALU_DEP_1)
	v_and_b32_e32 v2, 0x1fffffe, v1
	v_cmp_ne_u32_e32 vcc_lo, v1, v2
	v_lshl_or_b32 v2, v2, 8, v0
	s_or_not1_b32 s0, vcc_lo, exec_lo
.LBB4_10:
	s_or_b32 exec_lo, exec_lo, s14
	s_delay_alu instid0(SALU_CYCLE_1)
	s_and_b32 exec_lo, exec_lo, s0
	s_cbranch_execz .LBB4_13
; %bb.11:
	v_mov_b32_e32 v3, 0
	s_lshl_b64 s[0:1], s[2:3], 3
	v_lshl_add_u32 v1, v2, 2, 0
	s_add_nc_u64 s[0:1], s[6:7], s[0:1]
	s_delay_alu instid0(VALU_DEP_2) | instid1(SALU_CYCLE_1)
	v_lshl_add_u64 v[4:5], v[2:3], 2, s[0:1]
	s_mov_b32 s0, 0
.LBB4_12:                               ; =>This Inner Loop Header: Depth=1
	global_load_b32 v3, v[4:5], off
	v_add_nc_u32_e32 v2, 0x100, v2
	s_wait_xcnt 0x0
	v_add_nc_u64_e32 v[4:5], 0x400, v[4:5]
	s_delay_alu instid0(VALU_DEP_2)
	v_cmp_le_i32_e32 vcc_lo, s12, v2
	s_or_b32 s0, vcc_lo, s0
	s_wait_loadcnt 0x0
	ds_store_b32 v1, v3
	v_add_nc_u32_e32 v1, 0x400, v1
	s_and_not1_b32 exec_lo, exec_lo, s0
	s_cbranch_execnz .LBB4_12
.LBB4_13:
	s_or_b32 exec_lo, exec_lo, s13
	v_mov_b32_e32 v1, 0
	s_wait_dscnt 0x0
	s_barrier_signal -1
	s_barrier_wait -1
	ds_load_b32 v1, v1
	s_cmp_lt_i32 s10, 2
	s_wait_dscnt 0x0
	v_readfirstlane_b32 s3, v1
	s_cbranch_scc1 .LBB4_21
; %bb.14:
	s_cmp_eq_u32 s10, 2
	s_cbranch_scc1 .LBB4_18
; %bb.15:
	v_dual_mov_b32 v3, s3 :: v_dual_mov_b32 v4, s3
	s_add_co_i32 s1, s10, -1
	s_add_co_i32 s7, 0, 8
	s_and_b32 s3, s1, -2
	s_mov_b32 s6, 2
.LBB4_16:                               ; =>This Inner Loop Header: Depth=1
	v_dual_mov_b32 v1, s7 :: v_dual_mov_b32 v2, v3
	s_cmp_lg_u32 s3, s6
	s_cselect_b32 s12, -1, 0
	ds_load_2addr_b32 v[6:7], v1 offset1:2
	v_dual_mov_b32 v1, v4 :: v_dual_max_num_f32 v5, v2, v2
	s_delay_alu instid0(VALU_DEP_1)
	v_max_num_f32_e32 v3, v1, v1
	s_wait_dscnt 0x0
	v_cmp_u_f32_e32 vcc_lo, v7, v7
	v_max_num_f32_e32 v7, v7, v7
	v_cndmask_b32_e64 v4, 0, 1, vcc_lo
	v_cmp_u_f32_e32 vcc_lo, v6, v6
	v_max_num_f32_e32 v6, v6, v6
	s_delay_alu instid0(VALU_DEP_3) | instskip(SKIP_1) | instid1(VALU_DEP_3)
	v_readfirstlane_b32 s0, v4
	v_cndmask_b32_e64 v8, 0, 1, vcc_lo
	v_dual_max_num_f32 v4, v3, v7 :: v_dual_max_num_f32 v3, v5, v6
	s_lshl_b32 s0, s0, 1
	s_delay_alu instid0(VALU_DEP_2) | instskip(SKIP_1) | instid1(SALU_CYCLE_1)
	v_readfirstlane_b32 s13, v8
	s_or_b32 s0, s13, s0
	s_and_b32 s13, s0, 3
	s_delay_alu instid0(SALU_CYCLE_1)
	s_cmp_lg_u32 s13, 0
	s_cselect_b32 s0, -1, 0
	s_cmp_eq_u32 s13, 0
	s_cselect_b32 s13, -1, 0
	s_add_co_i32 s6, s6, 2
	s_and_b32 s12, s13, s12
	s_add_co_i32 s7, s7, 16
	s_and_b32 vcc_lo, exec_lo, s12
	s_cbranch_vccnz .LBB4_16
; %bb.17:
	v_dual_cndmask_b32 v2, v3, v2, s0 :: v_dual_cndmask_b32 v1, v4, v1, s0
	s_add_co_i32 s6, s6, -4
	s_and_b32 s7, s0, exec_lo
	s_cselect_b32 s6, s6, s1
	s_delay_alu instid0(VALU_DEP_1) | instskip(SKIP_3) | instid1(VALU_DEP_1)
	v_dual_max_num_f32 v2, v2, v2 :: v_dual_max_num_f32 v1, v1, v1
	s_or_b32 s6, s6, 1
	s_cmp_lg_u32 s1, s3
	s_cselect_b32 s1, -1, 0
	v_readfirstlane_b32 s7, v2
	v_readfirstlane_b32 s12, v1
	s_or_b32 s0, s1, s0
	s_max_num_f32 s3, s7, s12
	s_and_b32 vcc_lo, exec_lo, s0
	s_cbranch_vccnz .LBB4_19
	s_branch .LBB4_21
.LBB4_18:
	s_mov_b32 s6, 1
	s_cbranch_execz .LBB4_21
.LBB4_19:
	s_lshl_b32 s1, s6, 3
	s_sub_co_i32 s0, s10, s6
	s_add_co_i32 s1, s1, 0
.LBB4_20:                               ; =>This Inner Loop Header: Depth=1
	s_delay_alu instid0(SALU_CYCLE_1) | instskip(NEXT) | instid1(SALU_CYCLE_1)
	v_mov_b32_e32 v1, s1
	v_max_num_f32_e64 v2, s3, s3
	s_add_co_i32 s0, s0, -1
	s_add_co_i32 s1, s1, 8
	s_cmp_eq_u32 s0, 0
	ds_load_b32 v1, v1
	v_readfirstlane_b32 s3, v2
	s_wait_dscnt 0x0
	v_max_num_f32_e32 v1, v1, v1
	s_delay_alu instid0(VALU_DEP_1)
	v_readfirstlane_b32 s6, v1
	s_max_num_f32 s3, s3, s6
	s_cbranch_scc0 .LBB4_20
.LBB4_21:
	s_cmp_lt_i32 s10, 1
	s_cbranch_scc1 .LBB4_26
; %bb.22:
	s_lshl_b32 s0, s2, 8
	s_delay_alu instid0(SALU_CYCLE_1) | instskip(NEXT) | instid1(SALU_CYCLE_1)
	s_ashr_i32 s1, s0, 31
	s_lshl_b64 s[0:1], s[0:1], 2
	s_cmp_lt_u32 s10, 8
	s_add_nc_u64 s[0:1], s[4:5], s[0:1]
	s_cbranch_scc1 .LBB4_27
; %bb.23:
	v_mov_b32_e32 v2, 0
	v_or_b32_e32 v1, 0x700, v0
	s_and_b32 s2, s10, 0x7ffffff8
	s_mov_b32 s4, 0
	s_mov_b32 s5, 0
	v_mov_b32_e32 v3, v2
.LBB4_24:                               ; =>This Inner Loop Header: Depth=1
	v_add_nc_u32_e32 v4, 0xfffff900, v1
	v_dual_mov_b32 v16, s5 :: v_dual_add_nc_u32 v5, 0xfffffa00, v1
	s_clause 0x1
	global_load_b32 v21, v4, s[0:1] scale_offset
	global_load_b32 v23, v5, s[0:1] scale_offset
	s_wait_xcnt 0x1
	v_add_nc_u32_e32 v4, 0xfffffb00, v1
	s_wait_xcnt 0x0
	v_add_nc_u32_e32 v5, 0xfffffc00, v1
	s_clause 0x1
	global_load_b32 v25, v4, s[0:1] scale_offset
	global_load_b32 v27, v5, s[0:1] scale_offset
	s_wait_xcnt 0x1
	v_add_nc_u32_e32 v4, 0xfffffd00, v1
	s_wait_xcnt 0x0
	v_add_nc_u32_e32 v5, 0xfffffe00, v1
	global_load_b32 v29, v4, s[0:1] scale_offset
	s_wait_xcnt 0x0
	v_add_nc_u32_e32 v4, 0xffffff00, v1
	s_clause 0x2
	global_load_b32 v31, v5, s[0:1] scale_offset
	global_load_b32 v33, v4, s[0:1] scale_offset
	;; [unrolled: 1-line block ×3, first 2 shown]
	s_wait_xcnt 0x1
	ds_load_2addr_b64 v[4:7], v16 offset1:1
	ds_load_2addr_b64 v[8:11], v16 offset0:2 offset1:3
	ds_load_2addr_b64 v[12:15], v16 offset0:4 offset1:5
	;; [unrolled: 1-line block ×3, first 2 shown]
	s_wait_xcnt 0x0
	v_add_nc_u32_e32 v1, 0x800, v1
	s_wait_dscnt 0x3
	v_readfirstlane_b32 s6, v4
	v_readfirstlane_b32 s7, v6
	s_wait_dscnt 0x2
	v_readfirstlane_b32 s12, v8
	v_dual_mov_b32 v20, v5 :: v_dual_mov_b32 v26, v11
	s_sub_f32 s6, s6, s3
	s_sub_f32 s7, s7, s3
	;; [unrolled: 1-line block ×3, first 2 shown]
	v_readfirstlane_b32 s13, v10
	s_mul_f32 s18, s6, 0x3fb8aa3b
	s_mul_f32 s19, s7, 0x3fb8aa3b
	;; [unrolled: 1-line block ×3, first 2 shown]
	s_wait_dscnt 0x1
	v_readfirstlane_b32 s14, v12
	s_xor_b32 s26, s18, 0x80000000
	s_rndne_f32 s27, s18
	s_fmamk_f32 s26, s6, 0x3fb8aa3b, s26
	s_cmp_nlt_f32 s6, 0xc2ce8ed0
	s_rndne_f32 s28, s19
	s_sub_f32 s18, s18, s27
	s_fmamk_f32 s26, s6, 0x32a5705f, s26
	s_cvt_i32_f32 s27, s27
	s_cselect_b32 vcc_lo, -1, 0
	s_cmp_ngt_f32 s6, 0x42b17218
	s_add_f32 s18, s18, s26
	s_sub_f32 s36, s19, s28
	s_cvt_i32_f32 s28, s28
	s_rndne_f32 s29, s20
	v_s_exp_f32 s18, s18
	s_sub_f32 s13, s13, s3
	s_sub_f32 s14, s14, s3
	;; [unrolled: 1-line block ×3, first 2 shown]
	s_cvt_i32_f32 s29, s29
	s_mul_f32 s21, s13, 0x3fb8aa3b
	s_mul_f32 s22, s14, 0x3fb8aa3b
	v_readfirstlane_b32 s15, v14
	v_ldexp_f32 v4, s18, s27
	s_wait_dscnt 0x0
	v_mov_b32_e32 v32, v17
	s_rndne_f32 s30, s21
	s_rndne_f32 s31, s22
	s_sub_f32 s15, s15, s3
	v_cndmask_b32_e32 v4, 0, v4, vcc_lo
	s_cselect_b32 vcc_lo, -1, 0
	s_xor_b32 s6, s19, 0x80000000
	s_cmp_nlt_f32 s7, 0xc2ce8ed0
	s_fmamk_f32 s6, s7, 0x3fb8aa3b, s6
	v_cndmask_b32_e32 v4, 0x7f800000, v4, vcc_lo
	s_sub_f32 s38, s21, s30
	s_cselect_b32 vcc_lo, -1, 0
	s_fmamk_f32 s6, s7, 0x32a5705f, s6
	s_cmp_ngt_f32 s7, 0x42b17218
	s_cvt_i32_f32 s30, s30
	s_sub_f32 s39, s22, s31
	s_add_f32 s6, s36, s6
	s_cvt_i32_f32 s31, s31
	s_mul_f32 s23, s15, 0x3fb8aa3b
	v_readfirstlane_b32 s16, v16
	v_s_exp_f32 s6, s6
	v_readfirstlane_b32 s17, v18
	s_rndne_f32 s33, s23
	v_mov_b32_e32 v22, v7
	s_sub_f32 s16, s16, s3
	v_mov_b32_e32 v34, v19
	s_sub_f32 s40, s23, s33
	s_cvt_i32_f32 s33, s33
	v_ldexp_f32 v5, s6, s28
	s_mul_f32 s24, s16, 0x3fb8aa3b
	s_sub_f32 s17, s17, s3
	v_dual_mov_b32 v24, v9 :: v_dual_mov_b32 v28, v13
	s_delay_alu instid0(VALU_DEP_2)
	v_dual_mov_b32 v30, v15 :: v_dual_cndmask_b32 v5, 0, v5
	s_cselect_b32 vcc_lo, -1, 0
	s_xor_b32 s6, s20, 0x80000000
	s_cmp_nlt_f32 s12, 0xc2ce8ed0
	s_fmamk_f32 s6, s12, 0x3fb8aa3b, s6
	v_cndmask_b32_e32 v6, 0x7f800000, v5, vcc_lo
	s_rndne_f32 s34, s24
	s_cselect_b32 vcc_lo, -1, 0
	s_fmamk_f32 s6, s12, 0x32a5705f, s6
	s_cmp_ngt_f32 s12, 0x42b17218
	s_sub_f32 s41, s24, s34
	s_cvt_i32_f32 s34, s34
	s_add_f32 s6, s37, s6
	s_mul_f32 s25, s17, 0x3fb8aa3b
	s_delay_alu instid0(SALU_CYCLE_2) | instskip(NEXT) | instid1(SALU_CYCLE_2)
	v_s_exp_f32 s6, s6
	s_rndne_f32 s35, s25
	s_delay_alu instid0(SALU_CYCLE_3) | instskip(SKIP_2) | instid1(TRANS32_DEP_1)
	s_sub_f32 s42, s25, s35
	s_cvt_i32_f32 s35, s35
	v_nop
	v_ldexp_f32 v5, s6, s29
	s_delay_alu instid0(VALU_DEP_1)
	v_cndmask_b32_e32 v5, 0, v5, vcc_lo
	s_cselect_b32 vcc_lo, -1, 0
	s_xor_b32 s6, s21, 0x80000000
	s_cmp_nlt_f32 s13, 0xc2ce8ed0
	s_fmamk_f32 s6, s13, 0x3fb8aa3b, s6
	v_cndmask_b32_e32 v8, 0x7f800000, v5, vcc_lo
	s_cselect_b32 vcc_lo, -1, 0
	s_delay_alu instid0(SALU_CYCLE_1) | instskip(SKIP_1) | instid1(SALU_CYCLE_2)
	s_fmamk_f32 s6, s13, 0x32a5705f, s6
	s_cmp_ngt_f32 s13, 0x42b17218
	s_add_f32 s6, s38, s6
	s_delay_alu instid0(SALU_CYCLE_3) | instskip(SKIP_1) | instid1(TRANS32_DEP_1)
	v_s_exp_f32 s6, s6
	v_nop
	v_ldexp_f32 v5, s6, s30
	s_delay_alu instid0(VALU_DEP_1)
	v_cndmask_b32_e32 v5, 0, v5, vcc_lo
	s_cselect_b32 vcc_lo, -1, 0
	s_xor_b32 s6, s22, 0x80000000
	s_cmp_nlt_f32 s14, 0xc2ce8ed0
	s_fmamk_f32 s6, s14, 0x3fb8aa3b, s6
	v_cndmask_b32_e32 v10, 0x7f800000, v5, vcc_lo
	s_cselect_b32 vcc_lo, -1, 0
	s_delay_alu instid0(SALU_CYCLE_1) | instskip(SKIP_1) | instid1(SALU_CYCLE_2)
	s_fmamk_f32 s6, s14, 0x32a5705f, s6
	s_cmp_ngt_f32 s14, 0x42b17218
	s_add_f32 s6, s39, s6
	s_delay_alu instid0(SALU_CYCLE_3) | instskip(SKIP_1) | instid1(TRANS32_DEP_1)
	v_s_exp_f32 s6, s6
	;; [unrolled: 16-line block ×4, first 2 shown]
	v_nop
	v_ldexp_f32 v5, s6, s34
	s_delay_alu instid0(VALU_DEP_1) | instskip(SKIP_4) | instid1(SALU_CYCLE_3)
	v_cndmask_b32_e32 v5, 0, v5, vcc_lo
	s_cselect_b32 vcc_lo, -1, 0
	s_xor_b32 s6, s25, 0x80000000
	s_cmp_nlt_f32 s17, 0xc2ce8ed0
	s_fmamk_f32 s6, s17, 0x3fb8aa3b, s6
	s_fmamk_f32 s6, s17, 0x32a5705f, s6
	s_delay_alu instid0(SALU_CYCLE_3) | instskip(NEXT) | instid1(SALU_CYCLE_3)
	s_add_f32 s6, s42, s6
	v_s_exp_f32 s6, s6
	s_wait_loadcnt 0x7
	v_pk_fma_f32 v[2:3], v[4:5], v[20:21], v[2:3] op_sel_hi:[0,1,1]
	v_cndmask_b32_e32 v4, 0x7f800000, v5, vcc_lo
	s_delay_alu instid0(TRANS32_DEP_1)
	v_ldexp_f32 v5, s6, s35
	s_cselect_b32 vcc_lo, -1, 0
	s_cmp_ngt_f32 s17, 0x42b17218
	s_wait_loadcnt 0x6
	v_pk_fma_f32 v[2:3], v[6:7], v[22:23], v[2:3] op_sel_hi:[0,1,1]
	v_cndmask_b32_e32 v5, 0, v5, vcc_lo
	s_cselect_b32 vcc_lo, -1, 0
	s_add_co_i32 s4, s4, 8
	s_wait_loadcnt 0x5
	v_pk_fma_f32 v[2:3], v[8:9], v[24:25], v[2:3] op_sel_hi:[0,1,1]
	s_add_co_i32 s5, s5, 64
	v_cndmask_b32_e32 v6, 0x7f800000, v5, vcc_lo
	s_cmp_eq_u32 s2, s4
	s_wait_loadcnt 0x4
	v_pk_fma_f32 v[2:3], v[10:11], v[26:27], v[2:3] op_sel_hi:[0,1,1]
	s_wait_loadcnt 0x3
	s_delay_alu instid0(VALU_DEP_1) | instskip(SKIP_1) | instid1(VALU_DEP_1)
	v_pk_fma_f32 v[2:3], v[12:13], v[28:29], v[2:3] op_sel_hi:[0,1,1]
	s_wait_loadcnt 0x2
	v_pk_fma_f32 v[2:3], v[14:15], v[30:31], v[2:3] op_sel_hi:[0,1,1]
	s_wait_loadcnt 0x1
	s_delay_alu instid0(VALU_DEP_1) | instskip(SKIP_1) | instid1(VALU_DEP_1)
	v_pk_fma_f32 v[2:3], v[4:5], v[32:33], v[2:3] op_sel_hi:[0,1,1]
	s_wait_loadcnt 0x0
	v_pk_fma_f32 v[2:3], v[6:7], v[34:35], v[2:3] op_sel_hi:[0,1,1]
	s_cbranch_scc0 .LBB4_24
; %bb.25:
	s_and_b32 s4, s10, 7
	s_delay_alu instid0(SALU_CYCLE_1)
	s_cmp_eq_u32 s4, 0
	s_cbranch_scc0 .LBB4_28
	s_branch .LBB4_30
.LBB4_26:
	v_mov_b32_e32 v1, 0x7fc00000
	s_branch .LBB4_31
.LBB4_27:
	v_mov_b64_e32 v[2:3], 0
	s_mov_b32 s2, 0
	s_and_b32 s4, s10, 7
	s_delay_alu instid0(SALU_CYCLE_1)
	s_cmp_eq_u32 s4, 0
	s_cbranch_scc1 .LBB4_30
.LBB4_28:
	v_lshl_or_b32 v1, s2, 8, v0
	s_lshl_b32 s2, s2, 3
	s_delay_alu instid0(SALU_CYCLE_1)
	s_add_co_i32 s2, s2, 0
.LBB4_29:                               ; =>This Inner Loop Header: Depth=1
	global_load_b32 v5, v1, s[0:1] scale_offset
	s_wait_xcnt 0x0
	v_dual_mov_b32 v4, s2 :: v_dual_add_nc_u32 v1, 0x100, v1
	ds_load_b64 v[6:7], v4
	s_wait_dscnt 0x0
	v_readfirstlane_b32 s5, v6
	s_sub_f32 s5, s5, s3
	s_delay_alu instid0(SALU_CYCLE_3) | instskip(NEXT) | instid1(SALU_CYCLE_3)
	s_mul_f32 s6, s5, 0x3fb8aa3b
	s_xor_b32 s7, s6, 0x80000000
	s_rndne_f32 s10, s6
	s_fmamk_f32 s7, s5, 0x3fb8aa3b, s7
	s_cmp_nlt_f32 s5, 0xc2ce8ed0
	s_delay_alu instid0(SALU_CYCLE_1) | instskip(NEXT) | instid1(SALU_CYCLE_1)
	s_sub_f32 s6, s6, s10
	s_fmamk_f32 s7, s5, 0x32a5705f, s7
	s_cselect_b32 vcc_lo, -1, 0
	s_cmp_ngt_f32 s5, 0x42b17218
	s_delay_alu instid0(SALU_CYCLE_1) | instskip(SKIP_1) | instid1(SALU_CYCLE_2)
	s_add_f32 s6, s6, s7
	s_cvt_i32_f32 s7, s10
	v_s_exp_f32 s6, s6
	v_nop
	s_delay_alu instid0(TRANS32_DEP_1) | instid1(SALU_CYCLE_1)
	v_ldexp_f32 v4, s6, s7
	s_delay_alu instid0(VALU_DEP_1) | instskip(SKIP_3) | instid1(VALU_DEP_1)
	v_dual_cndmask_b32 v6, 0, v4, vcc_lo :: v_dual_mov_b32 v4, v7
	s_cselect_b32 vcc_lo, -1, 0
	s_add_co_i32 s4, s4, -1
	s_add_co_i32 s2, s2, 8
	v_cndmask_b32_e32 v6, 0x7f800000, v6, vcc_lo
	s_cmp_lg_u32 s4, 0
	s_wait_loadcnt 0x0
	s_delay_alu instid0(VALU_DEP_1)
	v_pk_fma_f32 v[2:3], v[6:7], v[4:5], v[2:3] op_sel_hi:[0,1,1]
	s_cbranch_scc1 .LBB4_29
.LBB4_30:
	s_delay_alu instid0(VALU_DEP_1) | instskip(NEXT) | instid1(VALU_DEP_1)
	v_div_scale_f32 v1, null, v2, v2, v3
	v_rcp_f32_e32 v4, v1
	v_nop
	s_delay_alu instid0(TRANS32_DEP_1) | instskip(NEXT) | instid1(VALU_DEP_1)
	v_fma_f32 v5, -v1, v4, 1.0
	v_fmac_f32_e32 v4, v5, v4
	v_div_scale_f32 v5, vcc_lo, v3, v2, v3
	s_delay_alu instid0(VALU_DEP_1) | instskip(NEXT) | instid1(VALU_DEP_1)
	v_mul_f32_e32 v6, v5, v4
	v_fma_f32 v7, -v1, v6, v5
	s_delay_alu instid0(VALU_DEP_1) | instskip(NEXT) | instid1(VALU_DEP_1)
	v_fmac_f32_e32 v6, v7, v4
	v_fma_f32 v1, -v1, v6, v5
	s_delay_alu instid0(VALU_DEP_1) | instskip(NEXT) | instid1(VALU_DEP_1)
	v_div_fmas_f32 v1, v1, v4, v6
	v_div_fixup_f32 v1, v1, v2, v3
.LBB4_31:
	s_lshl_b32 s0, s11, 8
	s_delay_alu instid0(SALU_CYCLE_1) | instskip(NEXT) | instid1(SALU_CYCLE_1)
	s_ashr_i32 s1, s0, 31
	s_lshl_b64 s[0:1], s[0:1], 2
	s_delay_alu instid0(SALU_CYCLE_1)
	s_add_nc_u64 s[0:1], s[8:9], s[0:1]
	global_store_b32 v0, v1, s[0:1] scale_offset
	s_endpgm
	.section	.rodata,"a",@progbits
	.p2align	6, 0x0
	.amdhsa_kernel _ZL26flash_attn_combine_resultsILi256EEvPKfPK15HIP_vector_typeIfLj2EEPfi
		.amdhsa_group_segment_fixed_size 0
		.amdhsa_private_segment_fixed_size 0
		.amdhsa_kernarg_size 288
		.amdhsa_user_sgpr_count 2
		.amdhsa_user_sgpr_dispatch_ptr 0
		.amdhsa_user_sgpr_queue_ptr 0
		.amdhsa_user_sgpr_kernarg_segment_ptr 1
		.amdhsa_user_sgpr_dispatch_id 0
		.amdhsa_user_sgpr_kernarg_preload_length 0
		.amdhsa_user_sgpr_kernarg_preload_offset 0
		.amdhsa_user_sgpr_private_segment_size 0
		.amdhsa_wavefront_size32 1
		.amdhsa_uses_dynamic_stack 0
		.amdhsa_enable_private_segment 0
		.amdhsa_system_sgpr_workgroup_id_x 1
		.amdhsa_system_sgpr_workgroup_id_y 1
		.amdhsa_system_sgpr_workgroup_id_z 1
		.amdhsa_system_sgpr_workgroup_info 0
		.amdhsa_system_vgpr_workitem_id 0
		.amdhsa_next_free_vgpr 36
		.amdhsa_next_free_sgpr 43
		.amdhsa_named_barrier_count 0
		.amdhsa_reserve_vcc 1
		.amdhsa_float_round_mode_32 0
		.amdhsa_float_round_mode_16_64 0
		.amdhsa_float_denorm_mode_32 3
		.amdhsa_float_denorm_mode_16_64 3
		.amdhsa_fp16_overflow 0
		.amdhsa_memory_ordered 1
		.amdhsa_forward_progress 1
		.amdhsa_inst_pref_size 29
		.amdhsa_round_robin_scheduling 0
		.amdhsa_exception_fp_ieee_invalid_op 0
		.amdhsa_exception_fp_denorm_src 0
		.amdhsa_exception_fp_ieee_div_zero 0
		.amdhsa_exception_fp_ieee_overflow 0
		.amdhsa_exception_fp_ieee_underflow 0
		.amdhsa_exception_fp_ieee_inexact 0
		.amdhsa_exception_int_div_zero 0
	.end_amdhsa_kernel
	.section	.text._ZL26flash_attn_combine_resultsILi256EEvPKfPK15HIP_vector_typeIfLj2EEPfi,"axG",@progbits,_ZL26flash_attn_combine_resultsILi256EEvPKfPK15HIP_vector_typeIfLj2EEPfi,comdat
.Lfunc_end4:
	.size	_ZL26flash_attn_combine_resultsILi256EEvPKfPK15HIP_vector_typeIfLj2EEPfi, .Lfunc_end4-_ZL26flash_attn_combine_resultsILi256EEvPKfPK15HIP_vector_typeIfLj2EEPfi
                                        ; -- End function
	.set _ZL26flash_attn_combine_resultsILi256EEvPKfPK15HIP_vector_typeIfLj2EEPfi.num_vgpr, 36
	.set _ZL26flash_attn_combine_resultsILi256EEvPKfPK15HIP_vector_typeIfLj2EEPfi.num_agpr, 0
	.set _ZL26flash_attn_combine_resultsILi256EEvPKfPK15HIP_vector_typeIfLj2EEPfi.numbered_sgpr, 43
	.set _ZL26flash_attn_combine_resultsILi256EEvPKfPK15HIP_vector_typeIfLj2EEPfi.num_named_barrier, 0
	.set _ZL26flash_attn_combine_resultsILi256EEvPKfPK15HIP_vector_typeIfLj2EEPfi.private_seg_size, 0
	.set _ZL26flash_attn_combine_resultsILi256EEvPKfPK15HIP_vector_typeIfLj2EEPfi.uses_vcc, 1
	.set _ZL26flash_attn_combine_resultsILi256EEvPKfPK15HIP_vector_typeIfLj2EEPfi.uses_flat_scratch, 0
	.set _ZL26flash_attn_combine_resultsILi256EEvPKfPK15HIP_vector_typeIfLj2EEPfi.has_dyn_sized_stack, 0
	.set _ZL26flash_attn_combine_resultsILi256EEvPKfPK15HIP_vector_typeIfLj2EEPfi.has_recursion, 0
	.set _ZL26flash_attn_combine_resultsILi256EEvPKfPK15HIP_vector_typeIfLj2EEPfi.has_indirect_call, 0
	.section	.AMDGPU.csdata,"",@progbits
; Kernel info:
; codeLenInByte = 3596
; TotalNumSgprs: 45
; NumVgprs: 36
; ScratchSize: 0
; MemoryBound: 0
; FloatMode: 240
; IeeeMode: 1
; LDSByteSize: 0 bytes/workgroup (compile time only)
; SGPRBlocks: 0
; VGPRBlocks: 2
; NumSGPRsForWavesPerEU: 45
; NumVGPRsForWavesPerEU: 36
; NamedBarCnt: 0
; Occupancy: 16
; WaveLimiterHint : 0
; COMPUTE_PGM_RSRC2:SCRATCH_EN: 0
; COMPUTE_PGM_RSRC2:USER_SGPR: 2
; COMPUTE_PGM_RSRC2:TRAP_HANDLER: 0
; COMPUTE_PGM_RSRC2:TGID_X_EN: 1
; COMPUTE_PGM_RSRC2:TGID_Y_EN: 1
; COMPUTE_PGM_RSRC2:TGID_Z_EN: 1
; COMPUTE_PGM_RSRC2:TIDIG_COMP_CNT: 0
	.section	.text._ZL15flash_attn_tileILi256ELi256ELi2ELi8ELb0EEvPKcS1_S1_S1_S1_PKiPfP15HIP_vector_typeIfLj2EEffffjfiS5_IjLj3EEiiiiiiiiiiiliiliiiiil,"axG",@progbits,_ZL15flash_attn_tileILi256ELi256ELi2ELi8ELb0EEvPKcS1_S1_S1_S1_PKiPfP15HIP_vector_typeIfLj2EEffffjfiS5_IjLj3EEiiiiiiiiiiiliiliiiiil,comdat
	.globl	_ZL15flash_attn_tileILi256ELi256ELi2ELi8ELb0EEvPKcS1_S1_S1_S1_PKiPfP15HIP_vector_typeIfLj2EEffffjfiS5_IjLj3EEiiiiiiiiiiiliiliiiiil ; -- Begin function _ZL15flash_attn_tileILi256ELi256ELi2ELi8ELb0EEvPKcS1_S1_S1_S1_PKiPfP15HIP_vector_typeIfLj2EEffffjfiS5_IjLj3EEiiiiiiiiiiiliiliiiiil
	.p2align	8
	.type	_ZL15flash_attn_tileILi256ELi256ELi2ELi8ELb0EEvPKcS1_S1_S1_S1_PKiPfP15HIP_vector_typeIfLj2EEffffjfiS5_IjLj3EEiiiiiiiiiiiliiliiiiil,@function
_ZL15flash_attn_tileILi256ELi256ELi2ELi8ELb0EEvPKcS1_S1_S1_S1_PKiPfP15HIP_vector_typeIfLj2EEffffjfiS5_IjLj3EEiiiiiiiiiiiliiliiiiil: ; @_ZL15flash_attn_tileILi256ELi256ELi2ELi8ELb0EEvPKcS1_S1_S1_S1_PKiPfP15HIP_vector_typeIfLj2EEffffjfiS5_IjLj3EEiiiiiiiiiiiliiliiiiil
; %bb.0:
	s_clause 0x1
	s_load_b128 s[20:23], s[0:1], 0x5c
	s_load_b64 s[30:31], s[0:1], 0x80
	s_bfe_u32 s5, ttmp6, 0x40014
	s_lshr_b32 s4, ttmp7, 16
	s_add_co_i32 s5, s5, 1
	s_bfe_u32 s6, ttmp6, 0x40008
	s_mul_i32 s5, s4, s5
	s_getreg_b32 s27, hwreg(HW_REG_IB_STS2, 6, 4)
	s_add_co_i32 s6, s6, s5
	s_load_b64 s[36:37], s[0:1], 0xb8
	s_mov_b64 s[34:35], 0
	s_wait_kmcnt 0x0
	s_ashr_i32 s2, s23, 31
	s_delay_alu instid0(SALU_CYCLE_1) | instskip(NEXT) | instid1(SALU_CYCLE_1)
	s_lshr_b32 s2, s2, 29
	s_add_co_i32 s2, s23, s2
	s_delay_alu instid0(SALU_CYCLE_1) | instskip(NEXT) | instid1(SALU_CYCLE_1)
	s_ashr_i32 s2, s2, 3
	s_cvt_f32_u32 s3, s2
	s_sub_co_i32 s7, 0, s2
	s_delay_alu instid0(SALU_CYCLE_2) | instskip(SKIP_1) | instid1(TRANS32_DEP_1)
	v_rcp_iflag_f32_e32 v1, s3
	v_nop
	v_readfirstlane_b32 s3, v1
	s_mul_f32 s3, s3, 0x4f7ffffe
	s_delay_alu instid0(SALU_CYCLE_3) | instskip(NEXT) | instid1(SALU_CYCLE_3)
	s_cvt_u32_f32 s3, s3
	s_mul_i32 s7, s7, s3
	s_delay_alu instid0(SALU_CYCLE_1) | instskip(NEXT) | instid1(SALU_CYCLE_1)
	s_mul_hi_u32 s7, s3, s7
	s_add_co_i32 s3, s3, s7
	s_cmp_eq_u32 s27, 0
	s_cselect_b32 s4, s4, s6
	s_delay_alu instid0(SALU_CYCLE_1) | instskip(NEXT) | instid1(SALU_CYCLE_1)
	s_mul_hi_u32 s3, s4, s3
	s_mul_i32 s5, s3, s2
	s_add_co_i32 s6, s3, 1
	s_sub_co_i32 s5, s4, s5
	s_delay_alu instid0(SALU_CYCLE_1)
	s_sub_co_i32 s7, s5, s2
	s_cmp_ge_u32 s5, s2
	s_cselect_b32 s3, s6, s3
	s_cselect_b32 s5, s7, s5
	s_add_co_i32 s6, s3, 1
	s_cmp_ge_u32 s5, s2
	s_cselect_b32 s28, s6, s3
	s_abs_i32 s2, s31
	s_abs_i32 s7, s23
	s_cvt_f32_u32 s3, s2
	s_sub_co_i32 s5, 0, s2
	s_lshl_b32 s4, s4, 3
	s_mul_i32 s6, s28, s23
	v_rcp_iflag_f32_e32 v1, s3
	s_sub_co_i32 s33, s4, s6
	s_xor_b32 s4, s23, s31
	s_delay_alu instid0(SALU_CYCLE_1) | instskip(SKIP_1) | instid1(TRANS32_DEP_1)
	s_ashr_i32 s24, s4, 31
	v_nop
	v_readfirstlane_b32 s3, v1
	s_mul_f32 s3, s3, 0x4f7ffffe
	s_delay_alu instid0(SALU_CYCLE_3) | instskip(NEXT) | instid1(SALU_CYCLE_3)
	s_cvt_u32_f32 s3, s3
	s_mul_i32 s5, s5, s3
	s_delay_alu instid0(SALU_CYCLE_1) | instskip(NEXT) | instid1(SALU_CYCLE_1)
	s_mul_hi_u32 s5, s3, s5
	s_add_co_i32 s3, s3, s5
	s_delay_alu instid0(SALU_CYCLE_1) | instskip(NEXT) | instid1(SALU_CYCLE_1)
	s_mul_hi_u32 s3, s7, s3
	s_mul_i32 s5, s3, s2
	s_delay_alu instid0(SALU_CYCLE_1)
	s_sub_co_i32 s4, s7, s5
	s_add_co_i32 s5, s3, 1
	s_sub_co_i32 s6, s4, s2
	s_cmp_ge_u32 s4, s2
	s_cselect_b32 s3, s5, s3
	s_cselect_b32 s4, s6, s4
	s_add_co_i32 s5, s3, 1
	s_cmp_ge_u32 s4, s2
	s_cselect_b32 s2, s5, s3
	s_load_b512 s[4:19], s[0:1], 0x0
	s_xor_b32 s2, s2, s24
	s_mov_b32 s3, 0
	s_sub_co_i32 s29, s2, s24
	s_delay_alu instid0(SALU_CYCLE_1) | instskip(NEXT) | instid1(SALU_CYCLE_1)
	s_abs_i32 s31, s29
	s_cvt_f32_u32 s2, s31
	s_delay_alu instid0(SALU_CYCLE_3) | instskip(SKIP_1) | instid1(TRANS32_DEP_1)
	v_rcp_iflag_f32_e32 v1, s2
	v_nop
	v_readfirstlane_b32 s2, v1
	s_wait_kmcnt 0x0
	s_cmp_eq_u64 s[10:11], 0
	s_cbranch_scc1 .LBB5_2
; %bb.1:
	s_abs_i32 s26, s36
	s_abs_i32 s34, s28
	s_cvt_f32_u32 s24, s26
	s_sub_co_i32 s25, 0, s26
	s_delay_alu instid0(SALU_CYCLE_2) | instskip(SKIP_1) | instid1(TRANS32_DEP_1)
	v_rcp_iflag_f32_e32 v1, s24
	v_nop
	v_readfirstlane_b32 s24, v1
	s_mul_f32 s24, s24, 0x4f7ffffe
	s_delay_alu instid0(SALU_CYCLE_3) | instskip(NEXT) | instid1(SALU_CYCLE_3)
	s_cvt_u32_f32 s24, s24
	s_mul_i32 s25, s25, s24
	s_delay_alu instid0(SALU_CYCLE_1) | instskip(NEXT) | instid1(SALU_CYCLE_1)
	s_mul_hi_u32 s25, s24, s25
	s_add_co_i32 s24, s24, s25
	s_delay_alu instid0(SALU_CYCLE_1) | instskip(SKIP_2) | instid1(SALU_CYCLE_1)
	s_mul_hi_u32 s35, s34, s24
	s_load_b64 s[24:25], s[0:1], 0xc8
	s_mul_i32 s35, s35, s26
	s_sub_co_i32 s34, s34, s35
	s_ashr_i32 s35, s28, 31
	s_sub_co_i32 s36, s34, s26
	s_cmp_ge_u32 s34, s26
	s_cselect_b32 s34, s36, s34
	s_delay_alu instid0(SALU_CYCLE_1) | instskip(SKIP_2) | instid1(SALU_CYCLE_1)
	s_sub_co_i32 s36, s34, s26
	s_cmp_ge_u32 s34, s26
	s_cselect_b32 s26, s36, s34
	s_xor_b32 s26, s26, s35
	s_delay_alu instid0(SALU_CYCLE_1) | instskip(NEXT) | instid1(SALU_CYCLE_1)
	s_sub_co_i32 s34, s26, s35
	s_ashr_i32 s35, s34, 31
	s_wait_kmcnt 0x0
	s_mul_u64 s[24:25], s[24:25], s[34:35]
	s_delay_alu instid0(SALU_CYCLE_1)
	s_add_nc_u64 s[34:35], s[10:11], s[24:25]
.LBB5_2:
	s_bfe_u32 s10, ttmp6, 0x4000c
	v_dual_lshrrev_b32 v1, 10, v0 :: v_dual_mov_b32 v3, 0
	s_add_co_i32 s10, s10, 1
	s_and_b32 s11, ttmp6, 15
	s_mul_i32 s10, ttmp9, s10
	s_delay_alu instid0(VALU_DEP_1)
	v_bfe_u32 v1, v1, 2, 8
	s_add_co_i32 s11, s11, s10
	s_cmp_eq_u32 s27, 0
	s_load_b96 s[24:26], s[0:1], 0x70
	s_cselect_b32 s10, ttmp9, s11
	v_mov_b32_e32 v13, v3
	v_lshl_add_u32 v38, s10, 1, v1
	s_delay_alu instid0(VALU_DEP_1) | instskip(NEXT) | instid1(VALU_DEP_1)
	v_mul_hi_u32 v1, s20, v38
	v_add_nc_u32_e32 v1, v38, v1
	s_wait_kmcnt 0x0
	s_mul_i32 s20, s33, s25
	s_ashr_i32 s39, s25, 31
	s_mov_b32 s38, s25
	s_ashr_i32 s25, s24, 31
	v_lshrrev_b32_e32 v1, s21, v1
	s_lshr_b64 s[24:25], s[24:25], 2
	s_ashr_i32 s21, s20, 31
	s_delay_alu instid0(VALU_DEP_1) | instskip(NEXT) | instid1(VALU_DEP_1)
	v_mul_lo_u32 v1, v1, s22
	v_sub_nc_u32_e32 v2, v38, v1
	v_bfe_u32 v1, v0, 10, 10
	s_delay_alu instid0(VALU_DEP_1) | instskip(NEXT) | instid1(VALU_DEP_3)
	v_lshlrev_b32_e32 v26, 1, v1
	v_mul_u64_e32 v[4:5], s[24:25], v[2:3]
	s_lshr_b64 s[24:25], s[38:39], 2
	s_delay_alu instid0(VALU_DEP_2) | instskip(SKIP_1) | instid1(VALU_DEP_2)
	v_and_b32_e32 v12, 6, v26
	v_bitop3_b32 v8, v26, 7, 1 bitop3:0xc8
	v_mul_u64_e32 v[6:7], s[24:25], v[12:13]
	v_and_b32_e32 v13, 0x3ff, v0
	v_dual_mov_b32 v9, v3 :: v_dual_mov_b32 v11, v3
	v_lshlrev_b32_e32 v0, 10, v1
	s_delay_alu instid0(VALU_DEP_3) | instskip(NEXT) | instid1(VALU_DEP_3)
	v_lshlrev_b32_e32 v10, 4, v13
	v_mul_u64_e32 v[8:9], s[24:25], v[8:9]
	s_mul_i32 s24, s28, s26
	v_lshlrev_b32_e32 v40, 3, v13
	s_ashr_i32 s25, s24, 31
	s_cmp_eq_u64 s[14:15], 0
	s_add_nc_u64 s[4:5], s[4:5], s[24:25]
	s_delay_alu instid0(SALU_CYCLE_1) | instskip(SKIP_3) | instid1(VALU_DEP_1)
	s_add_nc_u64 s[4:5], s[4:5], s[20:21]
	v_add_nc_u32_e32 v3, 0x4200, v40
	v_lshl_add_u64 v[4:5], v[4:5], 2, s[4:5]
	s_load_b32 s4, s[0:1], 0x40
	v_add_nc_u64_e32 v[10:11], v[4:5], v[10:11]
	s_delay_alu instid0(VALU_DEP_1)
	v_lshl_add_u64 v[22:23], v[6:7], 2, v[10:11]
	v_lshl_add_u64 v[24:25], v[8:9], 2, v[10:11]
	s_clause 0x3
	global_load_b128 v[4:7], v[22:23], off
	global_load_b128 v[8:11], v[22:23], off offset:512
	global_load_b128 v[14:17], v[24:25], off
	global_load_b128 v[18:21], v[24:25], off offset:512
	s_wait_xcnt 0x2
	v_or_b32_e32 v22, 1, v26
	s_wait_loadcnt 0x3
	s_wait_kmcnt 0x0
	v_fma_mixlo_f16 v4, s4, v4, 0
	v_fma_mixlo_f16 v5, s4, v5, 0
	;; [unrolled: 1-line block ×4, first 2 shown]
	s_wait_loadcnt 0x2
	v_fma_mixlo_f16 v8, s4, v8, 0
	v_fma_mixlo_f16 v9, s4, v9, 0
	;; [unrolled: 1-line block ×4, first 2 shown]
	s_wait_loadcnt 0x1
	v_fma_mixlo_f16 v14, s4, v14, 0
	v_fma_mixlo_f16 v15, s4, v15, 0
	s_wait_loadcnt 0x0
	v_fma_mixlo_f16 v18, s4, v18, 0
	v_fma_mixlo_f16 v19, s4, v19, 0
	v_dual_add_nc_u32 v23, v3, v0 :: v_dual_lshlrev_b32 v5, 16, v5
	v_and_b32_e32 v4, 0xffff, v4
	v_dual_lshlrev_b32 v7, 16, v7 :: v_dual_lshlrev_b32 v9, 16, v9
	v_and_b32_e32 v6, 0xffff, v6
	v_and_b32_e32 v8, 0xffff, v8
	v_fma_mixlo_f16 v16, s4, v16, 0
	v_fma_mixlo_f16 v17, s4, v17, 0
	v_fma_mixlo_f16 v20, s4, v20, 0
	v_fma_mixlo_f16 v21, s4, v21, 0
	v_lshlrev_b32_e32 v11, 16, v11
	v_and_b32_e32 v10, 0xffff, v10
	v_lshlrev_b32_e32 v15, 16, v15
	v_and_b32_e32 v14, 0xffff, v14
	v_dual_lshlrev_b32 v19, 16, v19 :: v_dual_bitop2_b32 v4, v5, v4 bitop3:0x54
	v_and_b32_e32 v18, 0xffff, v18
	v_or3_b32 v5, v7, v6, 0
	v_dual_lshlrev_b32 v17, 16, v17 :: v_dual_bitop2_b32 v6, v9, v8 bitop3:0x54
	v_and_b32_e32 v16, 0xffff, v16
	v_lshlrev_b32_e32 v21, 16, v21
	v_and_b32_e32 v20, 0xffff, v20
	v_or3_b32 v7, v11, v10, 0
	v_or_b32_e32 v8, v15, v14
	v_or_b32_e32 v10, v19, v18
	v_or3_b32 v4, 0, 0, v4
	v_or3_b32 v6, 0, 0, v6
	v_lshl_add_u32 v3, v22, 9, v3
	v_or3_b32 v9, v17, v16, 0
	v_or3_b32 v11, v21, v20, 0
	;; [unrolled: 1-line block ×4, first 2 shown]
	ds_store_2addr_b64 v23, v[4:5], v[6:7] offset1:32
	ds_store_2addr_b64 v3, v[8:9], v[10:11] offset1:32
	s_wait_dscnt 0x0
	s_barrier_signal -1
	s_barrier_wait -1
	s_cbranch_scc1 .LBB5_4
; %bb.3:
	s_load_b32 s4, s[0:1], 0xd0
	s_wait_kmcnt 0x0
	s_mul_i32 s4, s4, s28
	s_delay_alu instid0(SALU_CYCLE_1)
	s_add_co_i32 s4, s4, s10
	s_load_b32 s30, s[14:15], s4 offset:0x0 scale_offset
.LBB5_4:
	s_wait_xcnt 0x0
	s_bfe_u32 s4, ttmp6, 0x40010
	s_and_b32 s5, ttmp7, 0xffff
	s_add_co_i32 s4, s4, 1
	s_bfe_u32 s10, ttmp6, 0x40004
	s_mul_i32 s4, s5, s4
	v_lshlrev_b32_e32 v39, 2, v13
	s_add_co_i32 s10, s10, s4
	s_cmp_eq_u32 s27, 0
	v_mbcnt_lo_u32_b32 v41, -1, 0
	s_cselect_b32 s5, s5, s10
	s_mov_b32 s4, 0
	s_lshl_b32 s10, s5, 5
	s_wait_kmcnt 0x0
	s_cmp_lt_i32 s10, s30
	s_cbranch_scc1 .LBB5_7
; %bb.5:
	v_mbcnt_lo_u32_b32 v3, -1, 0
	s_delay_alu instid0(VALU_DEP_1)
	v_dual_mov_b32 v42, 32 :: v_dual_bitop2_b32 v47, 16, v3 bitop3:0x14
	v_xor_b32_e32 v46, 8, v3
	v_xor_b32_e32 v45, 4, v3
	;; [unrolled: 1-line block ×4, first 2 shown]
	s_and_not1_b32 vcc_lo, exec_lo, s4
	s_cbranch_vccz .LBB5_8
; %bb.6:
	v_dual_mov_b32 v35, 0xfeffffff :: v_dual_mov_b32 v72, 0
	v_dual_mov_b32 v21, 0 :: v_dual_mov_b32 v69, 0
	;; [unrolled: 1-line block ×3, first 2 shown]
	s_delay_alu instid0(VALU_DEP_2)
	v_dual_mov_b32 v34, v35 :: v_dual_mov_b32 v20, v21
	v_dual_mov_b32 v65, 0 :: v_dual_mov_b32 v68, 0
	;; [unrolled: 1-line block ×3, first 2 shown]
	s_branch .LBB5_11
.LBB5_7:
                                        ; implicit-def: $vgpr3
                                        ; implicit-def: $vgpr42
                                        ; implicit-def: $vgpr47
                                        ; implicit-def: $vgpr46
                                        ; implicit-def: $vgpr45
                                        ; implicit-def: $vgpr44
                                        ; implicit-def: $vgpr43
.LBB5_8:
	s_clause 0x1
	s_load_b64 s[20:21], s[0:1], 0x8c
	s_load_b128 s[24:27], s[0:1], 0x98
	s_mul_f32 s2, s2, 0x4f7ffffe
	s_sub_co_i32 s4, 0, s31
	s_mov_b32 s15, s3
	s_ashr_i32 s36, s33, 31
	s_cvt_u32_f32 s11, s2
	s_abs_i32 s2, s33
	s_ashr_i32 s40, s29, 31
	s_load_b64 s[38:39], s[0:1], 0xa8
	s_mul_i32 s4, s4, s11
	s_ashr_i32 s29, s28, 31
	s_mul_hi_u32 s4, s11, s4
	v_dual_mov_b32 v19, 0 :: v_dual_add_nc_u32 v50, 0x4200, v0
	s_add_co_i32 s14, s11, s4
	s_ashr_i32 s4, s37, 1
	s_mul_u64 s[14:15], s[2:3], s[14:15]
	s_xor_b32 s11, s36, s40
	s_mul_i32 s3, s15, s31
	s_wait_kmcnt 0x0
	s_ashr_i32 s20, s20, 2
	s_sub_co_i32 s2, s2, s3
	s_ashr_i32 s14, s26, 2
	s_add_co_i32 s3, s15, 1
	s_sub_co_i32 s26, s2, s31
	s_cmp_ge_u32 s2, s31
	v_mul_lo_u32 v14, s20, v1
	s_cselect_b32 s3, s3, s15
	s_cselect_b32 s2, s26, s2
	s_add_co_i32 s15, s3, 1
	s_cmp_ge_u32 s2, s31
	v_mul_lo_u32 v22, s14, v1
	s_cselect_b32 s2, s15, s3
	v_mad_u32 v52, v2, s4, v13
	s_xor_b32 s15, s2, s11
	s_mul_u64 s[2:3], s[24:25], s[28:29]
	s_sub_co_i32 s11, s15, s11
	s_lshl_b32 s15, s20, 3
	s_mul_i32 s36, s11, s21
	v_dual_add_nc_u32 v16, s15, v14 :: v_dual_lshlrev_b32 v18, 2, v39
	s_add_nc_u64 s[2:3], s[6:7], s[2:3]
	s_ashr_i32 s37, s36, 31
	s_mul_u64 s[24:25], s[38:39], s[28:29]
	s_add_nc_u64 s[6:7], s[2:3], s[36:37]
	s_mul_i32 s2, s11, s27
	v_dual_add_nc_u32 v24, s15, v16 :: v_dual_ashrrev_i32 v15, 31, v14
	s_add_nc_u64 s[8:9], s[8:9], s[24:25]
	s_ashr_i32 s3, s2, 31
	v_lshl_add_u32 v51, v1, 9, v18
	s_add_nc_u64 s[8:9], s[8:9], s[2:3]
	s_lshl_b32 s2, s14, 3
	v_dual_add_nc_u32 v26, s15, v24 :: v_dual_ashrrev_i32 v25, 31, v24
	v_dual_ashrrev_i32 v17, 31, v16 :: v_dual_add_nc_u32 v28, s2, v22
	v_lshl_add_u32 v53, v1, 7, 0x6200
	s_delay_alu instid0(VALU_DEP_3)
	v_ashrrev_i32_e32 v27, 31, v26
	v_mad_u32_u24 v48, 0x210, v1, v18
	v_mov_b32_e32 v34, 0xfeffffff
	v_add_nc_u32_e32 v30, s2, v28
	v_mul_u32_u24_e32 v49, 0x210, v13
	v_dual_ashrrev_i32 v23, 31, v22 :: v_dual_ashrrev_i32 v29, 31, v28
	v_dual_mov_b32 v67, v19 :: v_dual_add_nc_u32 v54, 0x1000, v51
	s_delay_alu instid0(VALU_DEP_4) | instskip(SKIP_2) | instid1(VALU_DEP_3)
	v_dual_add_nc_u32 v32, s2, v30 :: v_dual_ashrrev_i32 v31, 31, v30
	v_dual_mov_b32 v42, 32 :: v_dual_add_nc_u32 v55, 0x2000, v51
	v_dual_mov_b32 v65, v19 :: v_dual_add_nc_u32 v56, 0x3000, v51
	v_dual_ashrrev_i32 v33, 31, v32 :: v_dual_bitop2_b32 v47, 16, v41 bitop3:0x14
	v_dual_add_nc_u32 v57, v53, v39 :: v_dual_bitop2_b32 v46, 8, v41 bitop3:0x14
	v_dual_mov_b32 v66, v19 :: v_dual_bitop2_b32 v45, 4, v41 bitop3:0x14
	v_dual_mov_b32 v68, v19 :: v_dual_bitop2_b32 v44, 2, v41 bitop3:0x14
	;; [unrolled: 1-line block ×3, first 2 shown]
	v_dual_mov_b32 v71, v19 :: v_dual_add_nc_u32 v58, 0x800, v40
	v_mov_b32_e32 v69, v19
	v_dual_mov_b32 v72, v19 :: v_dual_add_nc_u32 v59, 0x1000, v40
	v_dual_mov_b32 v35, v34 :: v_dual_add_nc_u32 v60, 0x1800, v40
	;; [unrolled: 1-line block ×4, first 2 shown]
	v_add_nc_u32_e32 v63, 0x3000, v40
	v_add_nc_u32_e32 v64, 0x3800, v40
	s_ashr_i32 s21, s20, 31
	s_ashr_i32 s15, s14, 31
	s_add_nc_u64 s[24:25], s[0:1], 0xd0
.LBB5_9:                                ; =>This Inner Loop Header: Depth=1
	v_cmp_gt_i32_e64 s2, 32, v47
	v_dual_mov_b32 v9, v35 :: v_dual_mov_b32 v8, v34
	v_add_nc_u32_e32 v10, s10, v52
	s_ashr_i32 s11, s10, 31
	v_cndmask_b32_e64 v35, v41, v47, s2
	v_cmp_gt_i32_e64 s2, 32, v46
	v_cmp_gt_i32_e32 vcc_lo, 32, v43
	v_dual_max_num_f32 v74, v9, v9 :: v_dual_add_nc_u32 v37, 0x1080, v48
	v_dual_mov_b32 v75, 0 :: v_dual_mov_b32 v76, 0
	s_delay_alu instid0(VALU_DEP_4) | instskip(SKIP_2) | instid1(VALU_DEP_2)
	v_cndmask_b32_e64 v36, v41, v46, s2
	v_cmp_gt_i32_e64 s2, 32, v45
	v_cndmask_b32_e32 v77, v41, v43, vcc_lo
	v_dual_lshlrev_b32 v73, 2, v35 :: v_dual_cndmask_b32 v11, v41, v45, s2
	v_cmp_gt_i32_e64 s2, 32, v44
	s_delay_alu instid0(VALU_DEP_2) | instskip(NEXT) | instid1(VALU_DEP_2)
	v_dual_lshlrev_b32 v35, 2, v36 :: v_dual_lshlrev_b32 v36, 2, v11
	v_cndmask_b32_e64 v34, v41, v44, s2
	s_mul_u64 s[2:3], s[10:11], s[20:21]
	v_lshlrev_b32_e32 v11, 2, v77
	s_lshl_b64 s[2:3], s[2:3], 2
	s_delay_alu instid0(SALU_CYCLE_1)
	s_add_nc_u64 s[2:3], s[6:7], s[2:3]
	v_lshlrev_b32_e32 v34, 2, v34
	v_lshl_add_u64 v[0:1], v[14:15], 2, s[2:3]
	v_lshl_add_u64 v[2:3], v[16:17], 2, s[2:3]
	;; [unrolled: 1-line block ×4, first 2 shown]
	s_mul_u64 s[2:3], s[10:11], s[14:15]
	v_add_nc_u64_e32 v[78:79], v[0:1], v[18:19]
	v_add_nc_u64_e32 v[80:81], v[2:3], v[18:19]
	;; [unrolled: 1-line block ×4, first 2 shown]
	s_clause 0x1
	global_load_b128 v[0:3], v[78:79], off
	global_load_b128 v[4:7], v[80:81], off
	s_lshl_b64 s[2:3], s[2:3], 2
	s_delay_alu instid0(SALU_CYCLE_1)
	s_add_nc_u64 s[2:3], s[8:9], s[2:3]
	s_wait_loadcnt 0x1
	ds_store_b128 v48, v[0:3]
	s_clause 0x1
	global_load_b128 v[0:3], v[82:83], off
	global_load_b128 v[78:81], v[84:85], off
	s_wait_loadcnt 0x2
	ds_store_b128 v37, v[4:7]
	v_add_nc_u32_e32 v4, 0x2100, v48
	v_max_num_f32_e32 v37, v8, v8
	s_wait_loadcnt 0x1
	ds_store_b128 v4, v[0:3]
	v_add_nc_u32_e32 v0, 0x3180, v48
	s_wait_loadcnt 0x0
	ds_store_b128 v0, v[78:81]
	s_wait_dscnt 0x0
	s_barrier_signal -1
	s_barrier_wait -1
	ds_load_b128 v[0:3], v49
	ds_load_b128 v[4:7], v50
	ds_load_b128 v[78:81], v50 offset:512
	s_wait_dscnt 0x1
	;;#ASMSTART
	v_dot2_f32_f16 v75, v0, v4, v75
	;;#ASMEND
	;;#ASMSTART
	v_dot2_f32_f16 v75, v1, v5, v75
	;;#ASMEND
	;;#ASMSTART
	v_dot2_f32_f16 v75, v2, v6, v75
	;;#ASMEND
	;;#ASMSTART
	v_dot2_f32_f16 v75, v3, v7, v75
	;;#ASMEND
	s_wait_dscnt 0x0
	;;#ASMSTART
	v_dot2_f32_f16 v76, v0, v78, v76
	;;#ASMEND
	;;#ASMSTART
	v_dot2_f32_f16 v76, v1, v79, v76
	;;#ASMEND
	;;#ASMSTART
	v_dot2_f32_f16 v76, v2, v80, v76
	;;#ASMEND
	;;#ASMSTART
	v_dot2_f32_f16 v76, v3, v81, v76
	;;#ASMEND
	ds_load_b128 v[0:3], v49 offset:16
	ds_load_b128 v[4:7], v50 offset:16
	ds_load_b128 v[78:81], v50 offset:528
	s_wait_dscnt 0x1
	;;#ASMSTART
	v_dot2_f32_f16 v75, v0, v4, v75
	;;#ASMEND
	;;#ASMSTART
	v_dot2_f32_f16 v75, v1, v5, v75
	;;#ASMEND
	;;#ASMSTART
	v_dot2_f32_f16 v75, v2, v6, v75
	;;#ASMEND
	;;#ASMSTART
	v_dot2_f32_f16 v75, v3, v7, v75
	;;#ASMEND
	s_wait_dscnt 0x0
	;;#ASMSTART
	v_dot2_f32_f16 v76, v0, v78, v76
	;;#ASMEND
	;;#ASMSTART
	v_dot2_f32_f16 v76, v1, v79, v76
	;;#ASMEND
	;;#ASMSTART
	v_dot2_f32_f16 v76, v2, v80, v76
	;;#ASMEND
	;;#ASMSTART
	v_dot2_f32_f16 v76, v3, v81, v76
	;;#ASMEND
	ds_load_b128 v[0:3], v49 offset:32
	ds_load_b128 v[4:7], v50 offset:32
	;; [unrolled: 29-line block ×31, first 2 shown]
	ds_load_b128 v[4:7], v50 offset:1008
	s_wait_dscnt 0x1
	;;#ASMSTART
	v_dot2_f32_f16 v75, v0, v78, v75
	;;#ASMEND
	;;#ASMSTART
	v_dot2_f32_f16 v75, v1, v79, v75
	;;#ASMEND
	;;#ASMSTART
	v_dot2_f32_f16 v75, v2, v80, v75
	;;#ASMEND
	;;#ASMSTART
	v_dot2_f32_f16 v75, v3, v81, v75
	;;#ASMEND
	s_wait_dscnt 0x0
	;;#ASMSTART
	v_dot2_f32_f16 v76, v0, v4, v76
	;;#ASMEND
	;;#ASMSTART
	v_dot2_f32_f16 v76, v1, v5, v76
	;;#ASMEND
	;; [unrolled: 3-line block ×4, first 2 shown]
	global_load_u16 v6, v10, s[34:35] scale_offset
	v_lshl_add_u64 v[4:5], v[30:31], 2, s[2:3]
	v_lshl_add_u64 v[2:3], v[28:29], 2, s[2:3]
	;; [unrolled: 1-line block ×3, first 2 shown]
	s_wait_loadcnt 0x0
	s_barrier_signal -1
	s_barrier_wait -1
	s_delay_alu instid0(VALU_DEP_1) | instskip(SKIP_1) | instid1(VALU_DEP_1)
	v_add_nc_u64_e32 v[0:1], v[0:1], v[18:19]
	v_cvt_f32_f16_e32 v6, v6
	v_dual_add_f32 v7, v76, v6 :: v_dual_add_f32 v6, v75, v6
	s_wait_xcnt 0x0
	s_delay_alu instid0(VALU_DEP_1) | instskip(NEXT) | instid1(VALU_DEP_1)
	v_dual_add_f32 v10, 0x40051340, v7 :: v_dual_add_f32 v75, 0x40051340, v6
	v_dual_max_num_f32 v37, v37, v75 :: v_dual_max_num_f32 v10, v74, v10
	ds_bpermute_b32 v74, v73, v10
	ds_bpermute_b32 v73, v73, v37
	s_wait_dscnt 0x0
	v_dual_max_num_f32 v74, v74, v74 :: v_dual_max_num_f32 v73, v73, v73
	s_delay_alu instid0(VALU_DEP_1) | instskip(SKIP_4) | instid1(VALU_DEP_1)
	v_dual_max_num_f32 v37, v37, v73 :: v_dual_max_num_f32 v10, v10, v74
	ds_bpermute_b32 v73, v35, v10
	ds_bpermute_b32 v35, v35, v37
	s_wait_dscnt 0x0
	v_dual_max_num_f32 v73, v73, v73 :: v_dual_max_num_f32 v35, v35, v35
	v_dual_max_num_f32 v10, v10, v73 :: v_dual_max_num_f32 v35, v37, v35
	ds_bpermute_b32 v37, v36, v10
	ds_bpermute_b32 v36, v36, v35
	s_wait_dscnt 0x0
	v_dual_max_num_f32 v37, v37, v37 :: v_dual_max_num_f32 v36, v36, v36
	s_delay_alu instid0(VALU_DEP_1) | instskip(SKIP_4) | instid1(VALU_DEP_1)
	v_dual_max_num_f32 v10, v10, v37 :: v_dual_max_num_f32 v35, v35, v36
	ds_bpermute_b32 v36, v34, v10
	ds_bpermute_b32 v34, v34, v35
	s_wait_dscnt 0x0
	v_dual_max_num_f32 v36, v36, v36 :: v_dual_max_num_f32 v34, v34, v34
	v_dual_max_num_f32 v10, v10, v36 :: v_dual_max_num_f32 v34, v35, v34
	ds_bpermute_b32 v35, v11, v10
	ds_bpermute_b32 v11, v11, v34
	s_wait_dscnt 0x0
	v_max_num_f32_e32 v11, v11, v11
	s_delay_alu instid0(VALU_DEP_1) | instskip(NEXT) | instid1(VALU_DEP_1)
	v_max_num_f32_e32 v34, v34, v11
	v_dual_max_num_f32 v35, v35, v35 :: v_dual_sub_f32 v74, v6, v34
	s_delay_alu instid0(VALU_DEP_1) | instskip(NEXT) | instid1(VALU_DEP_2)
	v_max_num_f32_e32 v35, v10, v35
	v_cmp_ngt_f32_e64 s4, 0xc2ce8ed0, v74
	s_delay_alu instid0(VALU_DEP_2) | instskip(SKIP_2) | instid1(VALU_DEP_3)
	v_sub_f32_e32 v73, v7, v35
	v_mul_f32_e32 v7, 0x3fb8aa3b, v74
	v_sub_f32_e32 v76, v8, v34
	v_dual_mul_f32 v6, 0x3fb8aa3b, v73 :: v_dual_sub_f32 v75, v9, v35
	s_delay_alu instid0(VALU_DEP_2) | instskip(NEXT) | instid1(VALU_DEP_4)
	v_mul_f32_e32 v9, 0x3fb8aa3b, v76
	v_fma_f32 v11, 0x3fb8aa3b, v74, -v7
	v_rndne_f32_e32 v36, v7
	s_delay_alu instid0(VALU_DEP_4)
	v_fma_f32 v10, 0x3fb8aa3b, v73, -v6
	v_mul_f32_e32 v8, 0x3fb8aa3b, v75
	v_rndne_f32_e32 v77, v6
	v_fma_f32 v37, 0x3fb8aa3b, v76, -v9
	v_rndne_f32_e32 v79, v9
	v_dual_fmac_f32 v10, 0x32a5705f, v73 :: v_dual_fmac_f32 v11, 0x32a5705f, v74
	s_delay_alu instid0(VALU_DEP_3) | instskip(SKIP_1) | instid1(VALU_DEP_4)
	v_dual_sub_f32 v6, v6, v77 :: v_dual_fmac_f32 v37, 0x32a5705f, v76
	v_rndne_f32_e32 v81, v8
	v_sub_f32_e32 v9, v9, v79
	v_cmp_ngt_f32_e32 vcc_lo, 0xc2ce8ed0, v73
	s_delay_alu instid0(VALU_DEP_4)
	v_dual_add_f32 v78, v6, v10 :: v_dual_sub_f32 v6, v7, v36
	v_fma_f32 v7, 0x3fb8aa3b, v75, -v8
	v_sub_f32_e32 v8, v8, v81
	v_add_f32_e32 v80, v9, v37
	v_cvt_i32_f32_e32 v9, v36
	v_add_f32_e32 v6, v6, v11
	v_fmac_f32_e32 v7, 0x32a5705f, v75
	v_add_nc_u64_e32 v[10:11], v[4:5], v[18:19]
	v_exp_f32_e32 v4, v78
	v_exp_f32_e32 v5, v80
	;; [unrolled: 1-line block ×3, first 2 shown]
	v_add_f32_e32 v82, v8, v7
	s_delay_alu instid0(TRANS32_DEP_1)
	v_ldexp_f32 v83, v6, v9
	v_add_nc_u64_e32 v[8:9], v[2:3], v[18:19]
	v_cvt_i32_f32_e32 v2, v77
	v_lshl_add_u64 v[6:7], v[32:33], 2, s[2:3]
	v_cvt_i32_f32_e32 v3, v79
	v_cmp_ngt_f32_e64 s2, 0xc2ce8ed0, v76
	v_cmp_ngt_f32_e64 s3, 0xc2ce8ed0, v75
	v_ldexp_f32 v4, v4, v2
	v_add_nc_u64_e32 v[36:37], v[6:7], v[18:19]
	v_ldexp_f32 v77, v5, v3
	v_cvt_i32_f32_e32 v5, v81
	global_load_b128 v[0:3], v[0:1], off
	v_cndmask_b32_e32 v79, 0, v4, vcc_lo
	v_exp_f32_e32 v6, v82
	v_cmp_nlt_f32_e32 vcc_lo, 0x42b17218, v73
	s_delay_alu instid0(TRANS32_DEP_1)
	v_ldexp_f32 v78, v6, v5
	s_clause 0x1
	global_load_b128 v[4:7], v[8:9], off
	global_load_b128 v[8:11], v[10:11], off
	v_cndmask_b32_e64 v73, 0, v78, s3
	v_cmp_nlt_f32_e64 s3, 0x42b17218, v75
	v_cndmask_b32_e64 v75, 0, v77, s2
	v_cmp_nlt_f32_e64 s2, 0x42b17218, v76
	v_cndmask_b32_e64 v76, 0, v83, s4
	v_cmp_nlt_f32_e64 s4, 0x42b17218, v74
	v_cndmask_b32_e32 v77, 0x7f800000, v79, vcc_lo
	v_cndmask_b32_e64 v79, 0x7f800000, v73, s3
	v_cndmask_b32_e64 v78, 0x7f800000, v75, s2
	s_delay_alu instid0(VALU_DEP_4) | instskip(NEXT) | instid1(VALU_DEP_3)
	v_cndmask_b32_e64 v76, 0x7f800000, v76, s4
	v_cvt_f16_f32_e32 v74, v79
	s_delay_alu instid0(VALU_DEP_3) | instskip(NEXT) | instid1(VALU_DEP_3)
	v_cvt_f16_f32_e32 v73, v78
	v_cvt_pk_f16_f32 v75, v76, v77
	v_pk_fma_f32 v[20:21], v[20:21], v[78:79], v[76:77]
	global_load_b128 v[76:79], v[36:37], off
	s_wait_xcnt 0x0
	v_and_b32_e32 v36, 0xffff, v73
	v_and_b32_e32 v37, 0xffff, v74
	ds_store_b32 v57, v75
	s_wait_loadcnt 0x3
	ds_store_b128 v51, v[0:3]
	s_wait_loadcnt 0x2
	ds_store_b128 v54, v[4:7]
	;; [unrolled: 2-line block ×4, first 2 shown]
	s_wait_dscnt 0x0
	s_barrier_signal -1
	s_barrier_wait -1
	ds_load_b128 v[4:7], v53
	ds_load_2addr_b64 v[8:11], v40 offset1:32
	ds_load_b128 v[0:3], v53 offset:16
	v_mul_u32_u24_e32 v36, 0x10001, v36
	v_mul_u32_u24_e32 v37, 0x10001, v37
	s_delay_alu instid0(VALU_DEP_2) | instskip(SKIP_2) | instid1(VALU_DEP_4)
	v_pk_mul_f16 v72, v72, v36
	v_pk_mul_f16 v71, v71, v36
	;; [unrolled: 1-line block ×6, first 2 shown]
	s_wait_dscnt 0x2
	v_and_b32_e32 v73, 0xffff, v4
	v_dual_lshrrev_b32 v4, 16, v4 :: v_dual_lshrrev_b32 v77, 16, v7
	s_wait_dscnt 0x0
	v_and_b32_e32 v78, 0xffff, v3
	s_delay_alu instid0(VALU_DEP_3) | instskip(NEXT) | instid1(VALU_DEP_3)
	v_mul_u32_u24_e32 v73, 0x10001, v73
	v_mul_u32_u24_e32 v4, 0x10001, v4
	s_delay_alu instid0(VALU_DEP_2)
	v_pk_fma_f16 v72, v9, v73, v72
	v_pk_fma_f16 v71, v10, v73, v71
	;; [unrolled: 1-line block ×3, first 2 shown]
	v_pk_mul_f16 v73, v8, v73
	v_pk_fma_f16 v74, v9, v4, v68
	v_pk_fma_f16 v75, v10, v4, v67
	;; [unrolled: 1-line block ×3, first 2 shown]
	v_pk_mul_f16 v4, v8, v4
	ds_load_2addr_b64 v[8:11], v40 offset0:64 offset1:96
	v_pk_fma_f16 v36, v69, v36, v73
	ds_load_2addr_b64 v[66:69], v40 offset0:128 offset1:160
	v_and_b32_e32 v73, 0xffff, v5
	v_lshrrev_b32_e32 v5, 16, v5
	v_pk_fma_f16 v4, v65, v37, v4
	s_delay_alu instid0(VALU_DEP_3) | instskip(NEXT) | instid1(VALU_DEP_3)
	v_mul_u32_u24_e32 v37, 0x10001, v73
	v_mul_u32_u24_e32 v5, 0x10001, v5
	s_wait_dscnt 0x1
	s_delay_alu instid0(VALU_DEP_2)
	v_pk_fma_f16 v65, v9, v37, v72
	v_pk_fma_f16 v71, v10, v37, v71
	;; [unrolled: 1-line block ×8, first 2 shown]
	ds_load_2addr_b64 v[8:11], v40 offset0:192 offset1:224
	v_and_b32_e32 v4, 0xffff, v6
	v_lshrrev_b32_e32 v75, 16, v6
	v_and_b32_e32 v76, 0xffff, v7
	s_delay_alu instid0(VALU_DEP_3) | instskip(NEXT) | instid1(VALU_DEP_3)
	v_mul_u32_u24_e32 v4, 0x10001, v4
	v_mul_u32_u24_e32 v75, 0x10001, v75
	s_wait_dscnt 0x1
	s_delay_alu instid0(VALU_DEP_2)
	v_pk_fma_f16 v65, v67, v4, v65
	v_pk_fma_f16 v71, v68, v4, v71
	;; [unrolled: 1-line block ×4, first 2 shown]
	ds_load_2addr_b64 v[4:7], v58 offset1:32
	v_pk_fma_f16 v72, v67, v75, v72
	v_pk_fma_f16 v73, v68, v75, v73
	;; [unrolled: 1-line block ×4, first 2 shown]
	v_mul_u32_u24_e32 v75, 0x10001, v76
	ds_load_2addr_b64 v[66:69], v58 offset0:64 offset1:96
	v_mul_u32_u24_e32 v76, 0x10001, v77
	s_wait_dscnt 0x2
	v_pk_fma_f16 v65, v9, v75, v65
	v_pk_fma_f16 v71, v10, v75, v71
	;; [unrolled: 1-line block ×4, first 2 shown]
	v_and_b32_e32 v75, 0xffff, v0
	v_lshrrev_b32_e32 v0, 16, v0
	v_pk_fma_f16 v72, v9, v76, v72
	v_pk_fma_f16 v73, v10, v76, v73
	;; [unrolled: 1-line block ×4, first 2 shown]
	v_mul_u32_u24_e32 v75, 0x10001, v75
	v_mul_u32_u24_e32 v0, 0x10001, v0
	ds_load_2addr_b64 v[8:11], v58 offset0:128 offset1:160
	s_wait_dscnt 0x2
	v_pk_fma_f16 v65, v5, v75, v65
	v_pk_fma_f16 v76, v6, v75, v71
	;; [unrolled: 1-line block ×8, first 2 shown]
	v_and_b32_e32 v4, 0xffff, v1
	v_lshrrev_b32_e32 v1, 16, v1
	ds_load_2addr_b64 v[70:73], v58 offset0:192 offset1:224
	v_mul_u32_u24_e32 v4, 0x10001, v4
	v_mul_u32_u24_e32 v1, 0x10001, v1
	s_wait_dscnt 0x2
	s_delay_alu instid0(VALU_DEP_2)
	v_pk_fma_f16 v37, v67, v4, v65
	v_pk_fma_f16 v65, v68, v4, v76
	;; [unrolled: 1-line block ×7, first 2 shown]
	ds_load_b128 v[4:7], v53 offset:32
	v_pk_fma_f16 v0, v66, v1, v0
	v_and_b32_e32 v1, 0xffff, v2
	v_dual_lshrrev_b32 v2, 16, v2 :: v_dual_lshrrev_b32 v3, 16, v3
	ds_load_2addr_b64 v[66:69], v59 offset1:32
	v_mul_u32_u24_e32 v1, 0x10001, v1
	v_mul_u32_u24_e32 v2, 0x10001, v2
	;; [unrolled: 1-line block ×3, first 2 shown]
	s_wait_dscnt 0x3
	s_delay_alu instid0(VALU_DEP_3)
	v_pk_fma_f16 v37, v9, v1, v37
	v_pk_fma_f16 v65, v10, v1, v65
	;; [unrolled: 1-line block ×8, first 2 shown]
	v_mul_u32_u24_e32 v2, 0x10001, v78
	ds_load_2addr_b64 v[8:11], v59 offset0:64 offset1:96
	s_wait_dscnt 0x3
	v_pk_fma_f16 v36, v71, v3, v36
	v_pk_fma_f16 v37, v71, v2, v37
	;; [unrolled: 1-line block ×8, first 2 shown]
	ds_load_b128 v[0:3], v53 offset:48
	s_wait_dscnt 0x3
	v_and_b32_e32 v75, 0xffff, v4
	v_lshrrev_b32_e32 v4, 16, v4
	v_and_b32_e32 v76, 0xffff, v7
	v_lshrrev_b32_e32 v77, 16, v7
	s_delay_alu instid0(VALU_DEP_4) | instskip(NEXT) | instid1(VALU_DEP_4)
	v_mul_u32_u24_e32 v75, 0x10001, v75
	v_mul_u32_u24_e32 v4, 0x10001, v4
	s_wait_dscnt 0x2
	s_delay_alu instid0(VALU_DEP_2)
	v_pk_fma_f16 v37, v67, v75, v37
	v_pk_fma_f16 v65, v68, v75, v65
	;; [unrolled: 1-line block ×8, first 2 shown]
	ds_load_2addr_b64 v[66:69], v59 offset0:128 offset1:160
	v_and_b32_e32 v70, 0xffff, v5
	v_dual_lshrrev_b32 v5, 16, v5 :: v_dual_lshrrev_b32 v75, 16, v6
	s_wait_dscnt 0x1
	v_and_b32_e32 v78, 0xffff, v3
	s_delay_alu instid0(VALU_DEP_3) | instskip(NEXT) | instid1(VALU_DEP_3)
	v_mul_u32_u24_e32 v70, 0x10001, v70
	v_mul_u32_u24_e32 v5, 0x10001, v5
	;; [unrolled: 1-line block ×3, first 2 shown]
	s_delay_alu instid0(VALU_DEP_3)
	v_pk_fma_f16 v37, v9, v70, v37
	v_pk_fma_f16 v65, v10, v70, v65
	;; [unrolled: 1-line block ×8, first 2 shown]
	ds_load_2addr_b64 v[8:11], v59 offset0:192 offset1:224
	v_and_b32_e32 v4, 0xffff, v6
	s_wait_dscnt 0x1
	v_pk_fma_f16 v36, v67, v75, v36
	v_pk_fma_f16 v71, v68, v75, v71
	;; [unrolled: 1-line block ×4, first 2 shown]
	v_mul_u32_u24_e32 v4, 0x10001, v4
	v_mul_u32_u24_e32 v75, 0x10001, v76
	s_delay_alu instid0(VALU_DEP_2)
	v_pk_fma_f16 v37, v67, v4, v37
	v_pk_fma_f16 v65, v68, v4, v65
	;; [unrolled: 1-line block ×4, first 2 shown]
	ds_load_2addr_b64 v[4:7], v60 offset1:32
	ds_load_2addr_b64 v[66:69], v60 offset0:64 offset1:96
	s_wait_dscnt 0x2
	v_pk_fma_f16 v37, v9, v75, v37
	v_pk_fma_f16 v65, v10, v75, v65
	;; [unrolled: 1-line block ×4, first 2 shown]
	v_and_b32_e32 v75, 0xffff, v0
	v_lshrrev_b32_e32 v0, 16, v0
	v_mul_u32_u24_e32 v76, 0x10001, v77
	s_delay_alu instid0(VALU_DEP_3) | instskip(NEXT) | instid1(VALU_DEP_3)
	v_mul_u32_u24_e32 v75, 0x10001, v75
	v_mul_u32_u24_e32 v0, 0x10001, v0
	s_delay_alu instid0(VALU_DEP_3)
	v_pk_fma_f16 v36, v9, v76, v36
	v_pk_fma_f16 v71, v10, v76, v71
	;; [unrolled: 1-line block ×4, first 2 shown]
	s_wait_dscnt 0x1
	v_pk_fma_f16 v37, v5, v75, v37
	v_pk_fma_f16 v65, v6, v75, v65
	;; [unrolled: 1-line block ×8, first 2 shown]
	v_and_b32_e32 v4, 0xffff, v1
	v_lshrrev_b32_e32 v1, 16, v1
	ds_load_2addr_b64 v[8:11], v60 offset0:128 offset1:160
	ds_load_2addr_b64 v[70:73], v60 offset0:192 offset1:224
	v_mul_u32_u24_e32 v4, 0x10001, v4
	v_mul_u32_u24_e32 v1, 0x10001, v1
	s_wait_dscnt 0x2
	s_delay_alu instid0(VALU_DEP_2)
	v_pk_fma_f16 v37, v67, v4, v37
	v_pk_fma_f16 v65, v68, v4, v65
	;; [unrolled: 1-line block ×7, first 2 shown]
	ds_load_b128 v[4:7], v53 offset:64
	v_pk_fma_f16 v0, v66, v1, v0
	v_and_b32_e32 v1, 0xffff, v2
	v_dual_lshrrev_b32 v2, 16, v2 :: v_dual_lshrrev_b32 v3, 16, v3
	ds_load_2addr_b64 v[66:69], v61 offset1:32
	v_mul_u32_u24_e32 v1, 0x10001, v1
	v_mul_u32_u24_e32 v2, 0x10001, v2
	v_mul_u32_u24_e32 v3, 0x10001, v3
	s_wait_dscnt 0x3
	s_delay_alu instid0(VALU_DEP_3)
	v_pk_fma_f16 v37, v9, v1, v37
	v_pk_fma_f16 v65, v10, v1, v65
	;; [unrolled: 1-line block ×8, first 2 shown]
	v_mul_u32_u24_e32 v2, 0x10001, v78
	ds_load_2addr_b64 v[8:11], v61 offset0:64 offset1:96
	s_wait_dscnt 0x3
	v_pk_fma_f16 v36, v71, v3, v36
	v_pk_fma_f16 v37, v71, v2, v37
	;; [unrolled: 1-line block ×8, first 2 shown]
	ds_load_b128 v[0:3], v53 offset:80
	s_wait_dscnt 0x3
	v_and_b32_e32 v75, 0xffff, v4
	v_lshrrev_b32_e32 v4, 16, v4
	v_and_b32_e32 v76, 0xffff, v7
	v_lshrrev_b32_e32 v77, 16, v7
	s_delay_alu instid0(VALU_DEP_4) | instskip(NEXT) | instid1(VALU_DEP_4)
	v_mul_u32_u24_e32 v75, 0x10001, v75
	v_mul_u32_u24_e32 v4, 0x10001, v4
	s_wait_dscnt 0x2
	s_delay_alu instid0(VALU_DEP_2)
	v_pk_fma_f16 v37, v67, v75, v37
	v_pk_fma_f16 v65, v68, v75, v65
	;; [unrolled: 1-line block ×8, first 2 shown]
	ds_load_2addr_b64 v[66:69], v61 offset0:128 offset1:160
	v_and_b32_e32 v70, 0xffff, v5
	v_dual_lshrrev_b32 v5, 16, v5 :: v_dual_lshrrev_b32 v75, 16, v6
	s_delay_alu instid0(VALU_DEP_2) | instskip(NEXT) | instid1(VALU_DEP_2)
	v_mul_u32_u24_e32 v70, 0x10001, v70
	v_mul_u32_u24_e32 v5, 0x10001, v5
	s_delay_alu instid0(VALU_DEP_3) | instskip(SKIP_1) | instid1(VALU_DEP_3)
	v_mul_u32_u24_e32 v75, 0x10001, v75
	s_wait_dscnt 0x2
	v_pk_fma_f16 v37, v9, v70, v37
	v_pk_fma_f16 v65, v10, v70, v65
	v_pk_fma_f16 v74, v11, v70, v74
	v_pk_fma_f16 v36, v9, v5, v36
	v_pk_fma_f16 v71, v10, v5, v71
	v_pk_fma_f16 v72, v11, v5, v72
	v_pk_fma_f16 v70, v8, v70, v73
	v_pk_fma_f16 v73, v8, v5, v4
	ds_load_2addr_b64 v[8:11], v61 offset0:192 offset1:224
	v_and_b32_e32 v4, 0xffff, v6
	s_wait_dscnt 0x1
	v_pk_fma_f16 v36, v67, v75, v36
	v_pk_fma_f16 v71, v68, v75, v71
	v_pk_fma_f16 v72, v69, v75, v72
	v_pk_fma_f16 v73, v66, v75, v73
	v_mul_u32_u24_e32 v4, 0x10001, v4
	v_mul_u32_u24_e32 v75, 0x10001, v76
	s_delay_alu instid0(VALU_DEP_2)
	v_pk_fma_f16 v37, v67, v4, v37
	v_pk_fma_f16 v65, v68, v4, v65
	;; [unrolled: 1-line block ×4, first 2 shown]
	ds_load_2addr_b64 v[4:7], v62 offset1:32
	ds_load_2addr_b64 v[66:69], v62 offset0:64 offset1:96
	s_wait_dscnt 0x2
	v_pk_fma_f16 v37, v9, v75, v37
	v_pk_fma_f16 v65, v10, v75, v65
	;; [unrolled: 1-line block ×4, first 2 shown]
	v_and_b32_e32 v75, 0xffff, v0
	v_lshrrev_b32_e32 v0, 16, v0
	v_mul_u32_u24_e32 v76, 0x10001, v77
	s_delay_alu instid0(VALU_DEP_3) | instskip(NEXT) | instid1(VALU_DEP_3)
	v_mul_u32_u24_e32 v75, 0x10001, v75
	v_mul_u32_u24_e32 v0, 0x10001, v0
	s_delay_alu instid0(VALU_DEP_3)
	v_pk_fma_f16 v36, v9, v76, v36
	v_pk_fma_f16 v71, v10, v76, v71
	;; [unrolled: 1-line block ×4, first 2 shown]
	ds_load_2addr_b64 v[8:11], v62 offset0:128 offset1:160
	s_wait_dscnt 0x2
	v_pk_fma_f16 v37, v5, v75, v37
	v_pk_fma_f16 v65, v6, v75, v65
	;; [unrolled: 1-line block ×8, first 2 shown]
	v_and_b32_e32 v4, 0xffff, v1
	v_dual_lshrrev_b32 v1, 16, v1 :: v_dual_lshrrev_b32 v75, 16, v2
	ds_load_2addr_b64 v[70:73], v62 offset0:192 offset1:224
	v_and_b32_e32 v76, 0xffff, v3
	v_mul_u32_u24_e32 v4, 0x10001, v4
	v_mul_u32_u24_e32 v1, 0x10001, v1
	v_mul_u32_u24_e32 v75, 0x10001, v75
	s_wait_dscnt 0x2
	s_delay_alu instid0(VALU_DEP_3)
	v_pk_fma_f16 v37, v67, v4, v37
	v_pk_fma_f16 v65, v68, v4, v65
	;; [unrolled: 1-line block ×8, first 2 shown]
	ds_load_b128 v[4:7], v53 offset:96
	v_and_b32_e32 v0, 0xffff, v2
	v_lshrrev_b32_e32 v77, 16, v3
	s_wait_dscnt 0x2
	v_pk_fma_f16 v67, v9, v75, v67
	v_pk_fma_f16 v68, v10, v75, v68
	;; [unrolled: 1-line block ×3, first 2 shown]
	v_mul_u32_u24_e32 v0, 0x10001, v0
	v_pk_fma_f16 v66, v8, v75, v66
	v_mul_u32_u24_e32 v75, 0x10001, v76
	v_mul_u32_u24_e32 v76, 0x10001, v77
	s_delay_alu instid0(VALU_DEP_4)
	v_pk_fma_f16 v37, v9, v0, v37
	v_pk_fma_f16 v65, v10, v0, v65
	;; [unrolled: 1-line block ×4, first 2 shown]
	ds_load_2addr_b64 v[0:3], v63 offset1:32
	ds_load_2addr_b64 v[8:11], v63 offset0:64 offset1:96
	s_wait_dscnt 0x3
	v_pk_fma_f16 v37, v71, v75, v37
	v_pk_fma_f16 v65, v72, v75, v65
	;; [unrolled: 1-line block ×8, first 2 shown]
	ds_load_b128 v[66:69], v53 offset:112
	s_wait_dscnt 0x3
	v_and_b32_e32 v75, 0xffff, v4
	v_lshrrev_b32_e32 v4, 16, v4
	v_and_b32_e32 v76, 0xffff, v7
	v_lshrrev_b32_e32 v77, 16, v7
	s_delay_alu instid0(VALU_DEP_4) | instskip(NEXT) | instid1(VALU_DEP_4)
	v_mul_u32_u24_e32 v75, 0x10001, v75
	v_mul_u32_u24_e32 v4, 0x10001, v4
	s_delay_alu instid0(VALU_DEP_4) | instskip(SKIP_1) | instid1(VALU_DEP_3)
	v_mul_u32_u24_e32 v76, 0x10001, v76
	s_wait_dscnt 0x2
	v_pk_fma_f16 v37, v1, v75, v37
	v_pk_fma_f16 v65, v2, v75, v65
	;; [unrolled: 1-line block ×8, first 2 shown]
	ds_load_2addr_b64 v[0:3], v63 offset0:128 offset1:160
	v_and_b32_e32 v70, 0xffff, v5
	v_dual_lshrrev_b32 v5, 16, v5 :: v_dual_lshrrev_b32 v75, 16, v6
	s_wait_dscnt 0x1
	v_and_b32_e32 v78, 0xffff, v69
	v_lshrrev_b32_e32 v69, 16, v69
	v_mul_u32_u24_e32 v70, 0x10001, v70
	v_mul_u32_u24_e32 v5, 0x10001, v5
	;; [unrolled: 1-line block ×3, first 2 shown]
	s_delay_alu instid0(VALU_DEP_3)
	v_pk_fma_f16 v37, v9, v70, v37
	v_pk_fma_f16 v65, v10, v70, v65
	;; [unrolled: 1-line block ×8, first 2 shown]
	ds_load_2addr_b64 v[8:11], v63 offset0:192 offset1:224
	v_and_b32_e32 v4, 0xffff, v6
	s_wait_dscnt 0x1
	v_pk_fma_f16 v71, v1, v75, v71
	v_pk_fma_f16 v72, v2, v75, v72
	;; [unrolled: 1-line block ×4, first 2 shown]
	v_mul_u32_u24_e32 v4, 0x10001, v4
	v_and_b32_e32 v75, 0xffff, v66
	v_lshrrev_b32_e32 v66, 16, v66
	s_delay_alu instid0(VALU_DEP_3)
	v_pk_fma_f16 v37, v1, v4, v37
	v_pk_fma_f16 v65, v2, v4, v65
	;; [unrolled: 1-line block ×4, first 2 shown]
	ds_load_2addr_b64 v[4:7], v64 offset1:32
	ds_load_2addr_b64 v[0:3], v64 offset0:64 offset1:96
	v_mul_u32_u24_e32 v66, 0x10001, v66
	s_wait_dscnt 0x2
	v_pk_fma_f16 v37, v9, v76, v37
	v_pk_fma_f16 v65, v10, v76, v65
	;; [unrolled: 1-line block ×4, first 2 shown]
	v_mul_u32_u24_e32 v76, 0x10001, v77
	v_and_b32_e32 v77, 0xffff, v68
	v_lshrrev_b32_e32 v68, 16, v68
	s_delay_alu instid0(VALU_DEP_3)
	v_pk_fma_f16 v70, v8, v76, v70
	v_mul_u32_u24_e32 v8, 0x10001, v75
	v_pk_fma_f16 v71, v9, v76, v71
	v_pk_fma_f16 v72, v10, v76, v72
	;; [unrolled: 1-line block ×3, first 2 shown]
	v_and_b32_e32 v76, 0xffff, v67
	s_wait_dscnt 0x1
	v_pk_fma_f16 v37, v5, v8, v37
	v_pk_fma_f16 v65, v6, v8, v65
	;; [unrolled: 1-line block ×4, first 2 shown]
	ds_load_2addr_b64 v[8:11], v64 offset0:128 offset1:160
	v_pk_fma_f16 v71, v5, v66, v71
	v_pk_fma_f16 v72, v6, v66, v72
	;; [unrolled: 1-line block ×4, first 2 shown]
	ds_load_2addr_b64 v[4:7], v64 offset0:192 offset1:224
	s_wait_dscnt 0x0
	s_barrier_signal -1
	s_barrier_wait -1
	s_load_b32 s2, s[24:25], 0x4
	v_lshrrev_b32_e32 v67, 16, v67
	v_mul_u32_u24_e32 v70, 0x10001, v76
	v_mul_u32_u24_e32 v75, 0x10001, v77
	;; [unrolled: 1-line block ×5, first 2 shown]
	v_pk_fma_f16 v37, v1, v70, v37
	v_pk_fma_f16 v65, v2, v70, v65
	;; [unrolled: 1-line block ×8, first 2 shown]
	v_mul_u32_u24_e32 v76, 0x10001, v78
	v_pk_fma_f16 v37, v9, v75, v37
	v_pk_fma_f16 v65, v10, v75, v65
	v_pk_fma_f16 v66, v11, v75, v69
	v_pk_fma_f16 v1, v9, v68, v1
	v_pk_fma_f16 v2, v10, v68, v2
	v_pk_fma_f16 v3, v11, v68, v3
	v_pk_fma_f16 v9, v8, v75, v36
	v_pk_fma_f16 v0, v8, v68, v0
	s_wait_kmcnt 0x0
	s_lshl_b32 s2, s2, 5
	v_pk_fma_f16 v72, v5, v76, v37
	v_pk_fma_f16 v71, v6, v76, v65
	;; [unrolled: 1-line block ×8, first 2 shown]
	s_add_co_i32 s10, s2, s10
	s_delay_alu instid0(SALU_CYCLE_1)
	s_cmp_ge_i32 s10, s30
	s_cbranch_scc0 .LBB5_9
; %bb.10:
	v_mov_b32_e32 v3, v41
.LBB5_11:
	v_cmp_lt_i32_e32 vcc_lo, v47, v42
	s_cmp_lg_u64 s[12:13], 0
	s_cselect_b32 s2, -1, 0
	s_cmp_eq_u32 s5, 0
	v_cndmask_b32_e32 v0, v3, v47, vcc_lo
	v_cmp_lt_i32_e32 vcc_lo, v46, v42
	s_cselect_b32 s3, -1, 0
	s_delay_alu instid0(SALU_CYCLE_1) | instskip(NEXT) | instid1(VALU_DEP_2)
	s_and_b32 s2, s3, s2
	v_dual_cndmask_b32 v2, v3, v46 :: v_dual_lshlrev_b32 v1, 2, v0
	v_cmp_lt_i32_e32 vcc_lo, v45, v42
	s_delay_alu instid0(VALU_DEP_2)
	v_lshlrev_b32_e32 v2, 2, v2
	ds_bpermute_b32 v0, v1, v20
	ds_bpermute_b32 v1, v1, v21
	s_wait_dscnt 0x0
	v_pk_add_f32 v[0:1], v[20:21], v[0:1]
	ds_bpermute_b32 v4, v2, v0
	ds_bpermute_b32 v5, v2, v1
	v_cndmask_b32_e32 v2, v3, v45, vcc_lo
	v_cmp_lt_i32_e32 vcc_lo, v44, v42
	s_delay_alu instid0(VALU_DEP_2)
	v_lshlrev_b32_e32 v2, 2, v2
	s_wait_dscnt 0x0
	v_pk_add_f32 v[0:1], v[0:1], v[4:5]
	ds_bpermute_b32 v4, v2, v0
	ds_bpermute_b32 v5, v2, v1
	v_cndmask_b32_e32 v2, v3, v44, vcc_lo
	v_cmp_lt_i32_e32 vcc_lo, v43, v42
	s_delay_alu instid0(VALU_DEP_2)
	v_lshlrev_b32_e32 v2, 2, v2
	s_wait_dscnt 0x0
	v_pk_add_f32 v[0:1], v[0:1], v[4:5]
	ds_bpermute_b32 v4, v2, v0
	ds_bpermute_b32 v5, v2, v1
	v_cndmask_b32_e32 v2, v3, v43, vcc_lo
	s_and_b32 vcc_lo, exec_lo, s2
	s_delay_alu instid0(VALU_DEP_1)
	v_lshlrev_b32_e32 v3, 2, v2
	s_wait_dscnt 0x0
	v_pk_add_f32 v[0:1], v[0:1], v[4:5]
	ds_bpermute_b32 v2, v3, v0
	ds_bpermute_b32 v3, v3, v1
	s_wait_dscnt 0x0
	v_pk_add_f32 v[0:1], v[0:1], v[2:3]
	v_add_nc_u32_e32 v2, s33, v12
	s_cbranch_vccz .LBB5_13
; %bb.12:
	s_delay_alu instid0(VALU_DEP_1) | instskip(NEXT) | instid1(VALU_DEP_1)
	v_dual_ashrrev_i32 v3, 31, v2 :: v_dual_max_num_f32 v7, v35, v35
	v_lshl_add_u64 v[4:5], v[2:3], 2, s[12:13]
	v_max_num_f32_e32 v3, v34, v34
	global_load_b64 v[4:5], v[4:5], off
	s_wait_loadcnt 0x0
	v_dual_max_num_f32 v6, v4, v4 :: v_dual_max_num_f32 v8, v5, v5
	s_delay_alu instid0(VALU_DEP_1) | instskip(NEXT) | instid1(VALU_DEP_1)
	v_max_num_f32_e32 v6, v3, v6
	v_dual_max_num_f32 v7, v7, v8 :: v_dual_sub_f32 v3, v34, v6
	s_delay_alu instid0(VALU_DEP_1) | instskip(SKIP_2) | instid1(VALU_DEP_3)
	v_dual_sub_f32 v8, v4, v6 :: v_dual_sub_f32 v9, v35, v7
	v_sub_f32_e32 v10, v5, v7
	v_mov_b64_e32 v[34:35], v[6:7]
	v_dual_mul_f32 v4, 0x3fb8aa3b, v3 :: v_dual_mul_f32 v5, 0x3fb8aa3b, v8
	s_delay_alu instid0(VALU_DEP_4) | instskip(SKIP_1) | instid1(VALU_DEP_3)
	v_mul_f32_e32 v11, 0x3fb8aa3b, v9
	v_cmp_ngt_f32_e32 vcc_lo, 0xc2ce8ed0, v3
	v_fma_f32 v14, 0x3fb8aa3b, v3, -v4
	s_delay_alu instid0(VALU_DEP_4) | instskip(SKIP_4) | instid1(VALU_DEP_4)
	v_fma_f32 v16, 0x3fb8aa3b, v8, -v5
	v_rndne_f32_e32 v17, v5
	v_rndne_f32_e32 v15, v4
	v_fma_f32 v18, 0x3fb8aa3b, v9, -v11
	v_rndne_f32_e32 v19, v11
	v_dual_fmac_f32 v14, 0x32a5705f, v3 :: v_dual_sub_f32 v5, v5, v17
	v_fmac_f32_e32 v16, 0x32a5705f, v8
	s_delay_alu instid0(VALU_DEP_3) | instskip(NEXT) | instid1(VALU_DEP_2)
	v_dual_mul_f32 v12, 0x3fb8aa3b, v10 :: v_dual_sub_f32 v11, v11, v19
	v_dual_fmac_f32 v18, 0x32a5705f, v9 :: v_dual_add_f32 v5, v5, v16
	v_sub_f32_e32 v4, v4, v15
	s_delay_alu instid0(VALU_DEP_3) | instskip(NEXT) | instid1(VALU_DEP_3)
	v_rndne_f32_e32 v21, v12
	v_add_f32_e32 v11, v11, v18
	v_fma_f32 v20, 0x3fb8aa3b, v10, -v12
	v_exp_f32_e32 v5, v5
	v_add_f32_e32 v4, v4, v14
	v_cvt_i32_f32_e32 v14, v15
	v_exp_f32_e32 v11, v11
	v_cvt_i32_f32_e32 v15, v19
	v_cvt_i32_f32_e32 v16, v17
	v_exp_f32_e32 v4, v4
	s_delay_alu instid0(TRANS32_DEP_2) | instid1(VALU_DEP_2)
	v_ldexp_f32 v11, v11, v15
	s_delay_alu instid0(TRANS32_DEP_1) | instskip(SKIP_2) | instid1(VALU_DEP_3)
	v_ldexp_f32 v4, v4, v14
	v_sub_f32_e32 v12, v12, v21
	v_cvt_i32_f32_e32 v14, v21
	v_cndmask_b32_e32 v4, 0, v4, vcc_lo
	v_cmp_ngt_f32_e32 vcc_lo, 0xc2ce8ed0, v9
	v_cndmask_b32_e32 v11, 0, v11, vcc_lo
	v_cmp_nlt_f32_e32 vcc_lo, 0x42b17218, v3
	v_ldexp_f32 v3, v5, v16
	v_cndmask_b32_e32 v4, 0x7f800000, v4, vcc_lo
	v_cmp_nlt_f32_e32 vcc_lo, 0x42b17218, v9
	s_delay_alu instid0(VALU_DEP_2) | instskip(SKIP_3) | instid1(VALU_DEP_1)
	v_cvt_f16_f32_e32 v9, v4
	v_cndmask_b32_e32 v5, 0x7f800000, v11, vcc_lo
	v_cmp_ngt_f32_e32 vcc_lo, 0xc2ce8ed0, v8
	v_dual_fmac_f32 v20, 0x32a5705f, v10 :: v_dual_cndmask_b32 v3, 0, v3
	v_add_f32_e32 v12, v12, v20
	v_cmp_ngt_f32_e32 vcc_lo, 0xc2ce8ed0, v10
	s_delay_alu instid0(VALU_DEP_2) | instskip(SKIP_1) | instid1(TRANS32_DEP_1)
	v_exp_f32_e32 v12, v12
	v_nop
	v_ldexp_f32 v12, v12, v14
	v_and_b32_e32 v14, 0xffff, v9
	s_delay_alu instid0(VALU_DEP_2) | instskip(SKIP_4) | instid1(VALU_DEP_4)
	v_cndmask_b32_e32 v11, 0, v12, vcc_lo
	v_cvt_f16_f32_e32 v12, v5
	v_cmp_nlt_f32_e32 vcc_lo, 0x42b17218, v8
	v_cndmask_b32_e32 v8, 0x7f800000, v3, vcc_lo
	v_cmp_nlt_f32_e32 vcc_lo, 0x42b17218, v10
	v_and_b32_e32 v3, 0xffff, v12
	v_mul_u32_u24_e32 v10, 0x10001, v14
	v_cndmask_b32_e32 v9, 0x7f800000, v11, vcc_lo
	s_delay_alu instid0(VALU_DEP_3) | instskip(NEXT) | instid1(VALU_DEP_3)
	v_mul_u32_u24_e32 v3, 0x10001, v3
	v_pk_mul_f16 v69, v69, v10
	v_pk_mul_f16 v72, v72, v10
	;; [unrolled: 1-line block ×3, first 2 shown]
	v_pk_fma_f32 v[0:1], v[0:1], v[4:5], v[8:9]
	v_pk_mul_f16 v70, v70, v10
	v_pk_mul_f16 v65, v65, v3
	;; [unrolled: 1-line block ×5, first 2 shown]
.LBB5_13:
	s_mov_b32 s2, exec_lo
	v_cmpx_gt_i32_e64 s22, v38
	s_cbranch_execz .LBB5_22
; %bb.14:
	s_load_b32 s0, s[0:1], 0xd4
	v_mov_b32_e32 v4, 1.0
	s_wait_kmcnt 0x0
	s_cmp_lg_u32 s0, 1
	s_cselect_b32 s2, -1, 0
	s_cmp_eq_u32 s0, 1
	s_cselect_b32 s1, -1, 0
	s_and_b32 vcc_lo, exec_lo, s2
	s_cbranch_vccnz .LBB5_16
; %bb.15:
	v_div_scale_f32 v3, null, v0, v0, 1.0
	s_delay_alu instid0(VALU_DEP_1) | instskip(SKIP_1) | instid1(TRANS32_DEP_1)
	v_rcp_f32_e32 v4, v3
	v_nop
	v_fma_f32 v5, -v3, v4, 1.0
	s_delay_alu instid0(VALU_DEP_1) | instskip(SKIP_1) | instid1(VALU_DEP_1)
	v_fmac_f32_e32 v4, v5, v4
	v_div_scale_f32 v5, vcc_lo, 1.0, v0, 1.0
	v_mul_f32_e32 v6, v5, v4
	s_delay_alu instid0(VALU_DEP_1) | instskip(NEXT) | instid1(VALU_DEP_1)
	v_fma_f32 v7, -v3, v6, v5
	v_fmac_f32_e32 v6, v7, v4
	s_delay_alu instid0(VALU_DEP_1) | instskip(NEXT) | instid1(VALU_DEP_1)
	v_fma_f32 v3, -v3, v6, v5
	v_div_fmas_f32 v3, v3, v4, v6
	s_delay_alu instid0(VALU_DEP_1)
	v_div_fixup_f32 v4, v3, v0, 1.0
.LBB5_16:
	v_mad_u32 v3, s28, s22, v38
	v_cmp_eq_u32_e32 vcc_lo, 0, v13
	v_dual_mov_b32 v13, 0 :: v_dual_lshrrev_b32 v5, 16, v72
	v_dual_lshrrev_b32 v11, 16, v71 :: v_dual_lshrrev_b32 v15, 16, v70
	v_cvt_f32_f16_e32 v6, v69
	v_cvt_f32_f16_e32 v8, v72
	s_delay_alu instid0(VALU_DEP_4)
	v_cvt_f32_f16_e32 v9, v5
	v_cvt_f32_f16_e32 v10, v71
	v_cvt_f32_f16_e32 v14, v70
	v_mad_u32 v2, v3, s23, v2
	v_lshrrev_b32_e32 v3, 16, v69
	v_cvt_f32_f16_e32 v11, v11
	v_cvt_f32_f16_e32 v15, v15
	v_pk_mul_f32 v[8:9], v[4:5], v[8:9] op_sel_hi:[0,1]
	s_and_b32 s2, vcc_lo, s2
	v_cvt_f32_f16_e32 v7, v3
	v_pk_mul_f32 v[10:11], v[4:5], v[10:11] op_sel_hi:[0,1]
	s_delay_alu instid0(VALU_DEP_2) | instskip(SKIP_1) | instid1(VALU_DEP_1)
	v_pk_mul_f32 v[6:7], v[4:5], v[6:7] op_sel_hi:[0,1]
	v_mad_u32 v2, s0, v2, s5
	v_lshl_add_u32 v12, v2, 8, v39
	s_delay_alu instid0(VALU_DEP_1) | instskip(SKIP_1) | instid1(VALU_DEP_1)
	v_lshl_add_u64 v[16:17], v[12:13], 2, s[16:17]
	v_add_nc_u32_e32 v12, 0x80, v12
	v_lshl_add_u64 v[18:19], v[12:13], 2, s[16:17]
	v_pk_mul_f32 v[12:13], v[4:5], v[14:15] op_sel_hi:[0,1]
	s_clause 0x1
	global_store_b128 v[16:17], v[6:9], off
	global_store_b128 v[18:19], v[10:13], off
	s_wait_xcnt 0x0
	s_and_saveexec_b32 s3, s2
	s_cbranch_execz .LBB5_18
; %bb.17:
	v_dual_mov_b32 v4, v34 :: v_dual_mov_b32 v5, v0
	global_store_b64 v2, v[4:5], s[18:19] scale_offset
.LBB5_18:
	s_wait_xcnt 0x0
	s_or_b32 exec_lo, exec_lo, s3
	v_mov_b32_e32 v0, 1.0
	s_and_not1_b32 vcc_lo, exec_lo, s1
	s_cbranch_vccnz .LBB5_20
; %bb.19:
	v_div_scale_f32 v0, null, v1, v1, 1.0
	s_delay_alu instid0(VALU_DEP_1) | instskip(SKIP_1) | instid1(TRANS32_DEP_1)
	v_rcp_f32_e32 v3, v0
	v_nop
	v_fma_f32 v4, -v0, v3, 1.0
	s_delay_alu instid0(VALU_DEP_1) | instskip(SKIP_1) | instid1(VALU_DEP_1)
	v_fmac_f32_e32 v3, v4, v3
	v_div_scale_f32 v4, vcc_lo, 1.0, v1, 1.0
	v_mul_f32_e32 v5, v4, v3
	s_delay_alu instid0(VALU_DEP_1) | instskip(NEXT) | instid1(VALU_DEP_1)
	v_fma_f32 v6, -v0, v5, v4
	v_fmac_f32_e32 v5, v6, v3
	s_delay_alu instid0(VALU_DEP_1) | instskip(NEXT) | instid1(VALU_DEP_1)
	v_fma_f32 v0, -v0, v5, v4
	v_div_fmas_f32 v0, v0, v3, v5
	s_delay_alu instid0(VALU_DEP_1)
	v_div_fixup_f32 v0, v0, v1, 1.0
.LBB5_20:
	v_dual_mov_b32 v9, 0 :: v_dual_add_nc_u32 v2, s0, v2
	v_dual_lshrrev_b32 v3, 16, v65 :: v_dual_lshrrev_b32 v6, 16, v68
	v_dual_lshrrev_b32 v10, 16, v67 :: v_dual_lshrrev_b32 v14, 16, v66
	s_delay_alu instid0(VALU_DEP_3) | instskip(SKIP_1) | instid1(VALU_DEP_4)
	v_lshl_add_u32 v8, v2, 8, v39
	v_cvt_f32_f16_e32 v4, v65
	v_cvt_f32_f16_e32 v5, v3
	;; [unrolled: 1-line block ×4, first 2 shown]
	v_lshl_add_u64 v[12:13], v[8:9], 2, s[16:17]
	v_add_nc_u32_e32 v8, 0x80, v8
	v_cvt_f32_f16_e32 v11, v10
	v_cvt_f32_f16_e32 v10, v67
	;; [unrolled: 1-line block ×4, first 2 shown]
	v_pk_mul_f32 v[4:5], v[0:1], v[4:5] op_sel_hi:[0,1]
	v_pk_mul_f32 v[6:7], v[0:1], v[6:7] op_sel_hi:[0,1]
	v_lshl_add_u64 v[16:17], v[8:9], 2, s[16:17]
	v_pk_mul_f32 v[8:9], v[0:1], v[10:11] op_sel_hi:[0,1]
	v_pk_mul_f32 v[10:11], v[0:1], v[14:15] op_sel_hi:[0,1]
	s_clause 0x1
	global_store_b128 v[12:13], v[4:7], off
	global_store_b128 v[16:17], v[8:11], off
	s_wait_xcnt 0x0
	s_and_b32 exec_lo, exec_lo, s2
	s_cbranch_execz .LBB5_22
; %bb.21:
	v_mov_b32_e32 v0, v35
	global_store_b64 v2, v[0:1], s[18:19] scale_offset
.LBB5_22:
	s_sendmsg sendmsg(MSG_DEALLOC_VGPRS)
	s_endpgm
	.section	.rodata,"a",@progbits
	.p2align	6, 0x0
	.amdhsa_kernel _ZL15flash_attn_tileILi256ELi256ELi2ELi8ELb0EEvPKcS1_S1_S1_S1_PKiPfP15HIP_vector_typeIfLj2EEffffjfiS5_IjLj3EEiiiiiiiiiiiliiliiiiil
		.amdhsa_group_segment_fixed_size 26112
		.amdhsa_private_segment_fixed_size 0
		.amdhsa_kernarg_size 464
		.amdhsa_user_sgpr_count 2
		.amdhsa_user_sgpr_dispatch_ptr 0
		.amdhsa_user_sgpr_queue_ptr 0
		.amdhsa_user_sgpr_kernarg_segment_ptr 1
		.amdhsa_user_sgpr_dispatch_id 0
		.amdhsa_user_sgpr_kernarg_preload_length 0
		.amdhsa_user_sgpr_kernarg_preload_offset 0
		.amdhsa_user_sgpr_private_segment_size 0
		.amdhsa_wavefront_size32 1
		.amdhsa_uses_dynamic_stack 0
		.amdhsa_enable_private_segment 0
		.amdhsa_system_sgpr_workgroup_id_x 1
		.amdhsa_system_sgpr_workgroup_id_y 1
		.amdhsa_system_sgpr_workgroup_id_z 1
		.amdhsa_system_sgpr_workgroup_info 0
		.amdhsa_system_vgpr_workitem_id 1
		.amdhsa_next_free_vgpr 86
		.amdhsa_next_free_sgpr 41
		.amdhsa_named_barrier_count 0
		.amdhsa_reserve_vcc 1
		.amdhsa_float_round_mode_32 0
		.amdhsa_float_round_mode_16_64 0
		.amdhsa_float_denorm_mode_32 3
		.amdhsa_float_denorm_mode_16_64 3
		.amdhsa_fp16_overflow 0
		.amdhsa_memory_ordered 1
		.amdhsa_forward_progress 1
		.amdhsa_inst_pref_size 75
		.amdhsa_round_robin_scheduling 0
		.amdhsa_exception_fp_ieee_invalid_op 0
		.amdhsa_exception_fp_denorm_src 0
		.amdhsa_exception_fp_ieee_div_zero 0
		.amdhsa_exception_fp_ieee_overflow 0
		.amdhsa_exception_fp_ieee_underflow 0
		.amdhsa_exception_fp_ieee_inexact 0
		.amdhsa_exception_int_div_zero 0
	.end_amdhsa_kernel
	.section	.text._ZL15flash_attn_tileILi256ELi256ELi2ELi8ELb0EEvPKcS1_S1_S1_S1_PKiPfP15HIP_vector_typeIfLj2EEffffjfiS5_IjLj3EEiiiiiiiiiiiliiliiiiil,"axG",@progbits,_ZL15flash_attn_tileILi256ELi256ELi2ELi8ELb0EEvPKcS1_S1_S1_S1_PKiPfP15HIP_vector_typeIfLj2EEffffjfiS5_IjLj3EEiiiiiiiiiiiliiliiiiil,comdat
.Lfunc_end5:
	.size	_ZL15flash_attn_tileILi256ELi256ELi2ELi8ELb0EEvPKcS1_S1_S1_S1_PKiPfP15HIP_vector_typeIfLj2EEffffjfiS5_IjLj3EEiiiiiiiiiiiliiliiiiil, .Lfunc_end5-_ZL15flash_attn_tileILi256ELi256ELi2ELi8ELb0EEvPKcS1_S1_S1_S1_PKiPfP15HIP_vector_typeIfLj2EEffffjfiS5_IjLj3EEiiiiiiiiiiiliiliiiiil
                                        ; -- End function
	.set _ZL15flash_attn_tileILi256ELi256ELi2ELi8ELb0EEvPKcS1_S1_S1_S1_PKiPfP15HIP_vector_typeIfLj2EEffffjfiS5_IjLj3EEiiiiiiiiiiiliiliiiiil.num_vgpr, 86
	.set _ZL15flash_attn_tileILi256ELi256ELi2ELi8ELb0EEvPKcS1_S1_S1_S1_PKiPfP15HIP_vector_typeIfLj2EEffffjfiS5_IjLj3EEiiiiiiiiiiiliiliiiiil.num_agpr, 0
	.set _ZL15flash_attn_tileILi256ELi256ELi2ELi8ELb0EEvPKcS1_S1_S1_S1_PKiPfP15HIP_vector_typeIfLj2EEffffjfiS5_IjLj3EEiiiiiiiiiiiliiliiiiil.numbered_sgpr, 41
	.set _ZL15flash_attn_tileILi256ELi256ELi2ELi8ELb0EEvPKcS1_S1_S1_S1_PKiPfP15HIP_vector_typeIfLj2EEffffjfiS5_IjLj3EEiiiiiiiiiiiliiliiiiil.num_named_barrier, 0
	.set _ZL15flash_attn_tileILi256ELi256ELi2ELi8ELb0EEvPKcS1_S1_S1_S1_PKiPfP15HIP_vector_typeIfLj2EEffffjfiS5_IjLj3EEiiiiiiiiiiiliiliiiiil.private_seg_size, 0
	.set _ZL15flash_attn_tileILi256ELi256ELi2ELi8ELb0EEvPKcS1_S1_S1_S1_PKiPfP15HIP_vector_typeIfLj2EEffffjfiS5_IjLj3EEiiiiiiiiiiiliiliiiiil.uses_vcc, 1
	.set _ZL15flash_attn_tileILi256ELi256ELi2ELi8ELb0EEvPKcS1_S1_S1_S1_PKiPfP15HIP_vector_typeIfLj2EEffffjfiS5_IjLj3EEiiiiiiiiiiiliiliiiiil.uses_flat_scratch, 0
	.set _ZL15flash_attn_tileILi256ELi256ELi2ELi8ELb0EEvPKcS1_S1_S1_S1_PKiPfP15HIP_vector_typeIfLj2EEffffjfiS5_IjLj3EEiiiiiiiiiiiliiliiiiil.has_dyn_sized_stack, 0
	.set _ZL15flash_attn_tileILi256ELi256ELi2ELi8ELb0EEvPKcS1_S1_S1_S1_PKiPfP15HIP_vector_typeIfLj2EEffffjfiS5_IjLj3EEiiiiiiiiiiiliiliiiiil.has_recursion, 0
	.set _ZL15flash_attn_tileILi256ELi256ELi2ELi8ELb0EEvPKcS1_S1_S1_S1_PKiPfP15HIP_vector_typeIfLj2EEffffjfiS5_IjLj3EEiiiiiiiiiiiliiliiiiil.has_indirect_call, 0
	.section	.AMDGPU.csdata,"",@progbits
; Kernel info:
; codeLenInByte = 9600
; TotalNumSgprs: 43
; NumVgprs: 86
; ScratchSize: 0
; MemoryBound: 0
; FloatMode: 240
; IeeeMode: 1
; LDSByteSize: 26112 bytes/workgroup (compile time only)
; SGPRBlocks: 0
; VGPRBlocks: 5
; NumSGPRsForWavesPerEU: 43
; NumVGPRsForWavesPerEU: 86
; NamedBarCnt: 0
; Occupancy: 10
; WaveLimiterHint : 1
; COMPUTE_PGM_RSRC2:SCRATCH_EN: 0
; COMPUTE_PGM_RSRC2:USER_SGPR: 2
; COMPUTE_PGM_RSRC2:TRAP_HANDLER: 0
; COMPUTE_PGM_RSRC2:TGID_X_EN: 1
; COMPUTE_PGM_RSRC2:TGID_Y_EN: 1
; COMPUTE_PGM_RSRC2:TGID_Z_EN: 1
; COMPUTE_PGM_RSRC2:TIDIG_COMP_CNT: 1
	.section	.text._ZL25flash_attn_mask_to_KV_maxILi2EEvPK7__half2Piiii,"axG",@progbits,_ZL25flash_attn_mask_to_KV_maxILi2EEvPK7__half2Piiii,comdat
	.globl	_ZL25flash_attn_mask_to_KV_maxILi2EEvPK7__half2Piiii ; -- Begin function _ZL25flash_attn_mask_to_KV_maxILi2EEvPK7__half2Piiii
	.p2align	8
	.type	_ZL25flash_attn_mask_to_KV_maxILi2EEvPK7__half2Piiii,@function
_ZL25flash_attn_mask_to_KV_maxILi2EEvPK7__half2Piiii: ; @_ZL25flash_attn_mask_to_KV_maxILi2EEvPK7__half2Piiii
; %bb.0:
	s_load_b128 s[4:7], s[0:1], 0x0
	s_mov_b32 s2, exec_lo
	v_cmpx_gt_u32_e32 32, v0
; %bb.1:
	v_dual_mov_b32 v2, 1 :: v_dual_lshlrev_b32 v1, 2, v0
	ds_store_b32 v1, v2
; %bb.2:
	s_or_b32 exec_lo, exec_lo, s2
	s_clause 0x1
	s_load_b96 s[8:10], s[0:1], 0x10
	s_load_b32 s11, s[0:1], 0x20
	s_wait_xcnt 0x0
	s_bfe_u32 s1, ttmp6, 0x4000c
	s_bfe_u32 s2, ttmp6, 0x40010
	s_add_co_i32 s1, s1, 1
	s_add_co_i32 s2, s2, 1
	s_and_b32 s0, ttmp6, 15
	s_bfe_u32 s3, ttmp6, 0x40004
	s_mul_i32 s1, ttmp9, s1
	s_mul_i32 s2, ttmp7, s2
	s_getreg_b32 s12, hwreg(HW_REG_IB_STS2, 6, 4)
	s_add_co_i32 s0, s0, s1
	s_add_co_i32 s3, s3, s2
	s_cmp_eq_u32 s12, 0
	v_dual_lshrrev_b32 v1, 3, v0 :: v_dual_bitop2_b32 v2, 31, v0 bitop3:0x40
	s_cselect_b32 s1, ttmp9, s0
	s_cselect_b32 s12, ttmp7, s3
	s_wait_dscnt 0x0
	s_barrier_signal -1
	s_wait_kmcnt 0x0
	s_mul_i32 s0, s1, s9
	s_mul_i32 s2, s10, s12
	s_lshl_b32 s0, s0, 1
	s_barrier_wait -1
	s_add_co_i32 s2, s2, s0
	v_cmp_eq_u32_e64 s0, 0, v2
	s_ashr_i32 s3, s2, 31
	v_lshlrev_b32_e32 v2, 2, v2
	s_lshl_b64 s[2:3], s[2:3], 2
	s_delay_alu instid0(SALU_CYCLE_1)
	s_add_nc_u64 s[2:3], s[4:5], s[2:3]
	s_lshl_b32 s5, s8, 8
	s_branch .LBB6_4
.LBB6_3:                                ;   in Loop: Header=BB6_4 Depth=1
	s_or_b32 exec_lo, exec_lo, s8
	s_wait_dscnt 0x0
	s_barrier_signal -1
	s_barrier_wait -1
	ds_load_b32 v3, v2
	s_wait_dscnt 0x0
	s_barrier_signal -1
	s_barrier_wait -1
	v_cmp_ne_u32_e32 vcc_lo, 0, v3
	s_cmp_lg_u32 vcc_lo, exec_lo
	s_cselect_b32 s8, -1, 0
	s_delay_alu instid0(SALU_CYCLE_1)
	s_and_b32 vcc_lo, exec_lo, s8
	s_cbranch_vccnz .LBB6_12
.LBB6_4:                                ; =>This Inner Loop Header: Depth=1
	s_mov_b32 s4, s5
	s_addk_co_i32 s5, 0xff00
	s_delay_alu instid0(SALU_CYCLE_1)
	s_cmp_lt_i32 s5, 0
	s_cbranch_scc1 .LBB6_11
; %bb.5:                                ;   in Loop: Header=BB6_4 Depth=1
	s_lshr_b32 s8, s5, 1
	s_delay_alu instid0(SALU_CYCLE_1) | instskip(SKIP_4) | instid1(VALU_DEP_2)
	v_add_nc_u32_e32 v3, s8, v0
	global_load_b32 v4, v3, s[2:3] scale_offset
	s_wait_loadcnt 0x0
	v_lshrrev_b32_e32 v5, 16, v4
	v_cmp_class_f16_e64 s8, v4, 0x204
	v_cmp_class_f16_e64 s10, v5, 0x204
	s_and_b32 s13, s8, s10
	s_mov_b32 s10, 0
	s_and_saveexec_b32 s8, s13
	s_cbranch_execz .LBB6_9
; %bb.6:                                ;   in Loop: Header=BB6_4 Depth=1
	v_add_nc_u32_e32 v3, s9, v3
	global_load_b32 v3, v3, s[2:3] scale_offset
	s_wait_loadcnt 0x0
	v_cmp_class_f16_e64 s14, v3, 0x204
	s_and_saveexec_b32 s13, s14
; %bb.7:                                ;   in Loop: Header=BB6_4 Depth=1
	v_lshrrev_b32_e32 v3, 16, v3
	s_delay_alu instid0(VALU_DEP_1)
	v_cmp_class_f16_e64 s10, v3, 0x204
	s_and_b32 s10, s10, exec_lo
; %bb.8:                                ;   in Loop: Header=BB6_4 Depth=1
	s_or_b32 exec_lo, exec_lo, s13
	s_delay_alu instid0(SALU_CYCLE_1)
	s_and_b32 s10, s10, exec_lo
.LBB6_9:                                ;   in Loop: Header=BB6_4 Depth=1
	s_or_b32 exec_lo, exec_lo, s8
	v_cndmask_b32_e64 v3, 0, 1, s10
	s_mov_b32 s13, exec_lo
	s_delay_alu instid0(VALU_DEP_1)
	v_cmp_ne_u32_e32 vcc_lo, 0, v3
	s_and_saveexec_b32 s8, s0
	s_cbranch_execz .LBB6_3
; %bb.10:                               ;   in Loop: Header=BB6_4 Depth=1
	s_cmp_eq_u32 vcc_lo, s13
	s_cselect_b32 s10, -1, 0
	s_delay_alu instid0(SALU_CYCLE_1)
	v_cndmask_b32_e64 v3, 0, 1, s10
	ds_store_b32 v1, v3
	s_branch .LBB6_3
.LBB6_11:                               ;   in Loop: Header=BB6_4 Depth=1
	s_cbranch_execz .LBB6_4
.LBB6_12:
	s_mov_b32 s0, exec_lo
	v_cmpx_eq_u32_e32 0, v0
	s_cbranch_execz .LBB6_14
; %bb.13:
	s_mul_i32 s0, s11, s12
	v_mov_b32_e32 v1, s4
	s_add_co_i32 s0, s0, s1
	s_delay_alu instid0(SALU_CYCLE_1)
	v_mov_b32_e32 v0, s0
	global_store_b32 v0, v1, s[6:7] scale_offset
.LBB6_14:
	s_endpgm
	.section	.rodata,"a",@progbits
	.p2align	6, 0x0
	.amdhsa_kernel _ZL25flash_attn_mask_to_KV_maxILi2EEvPK7__half2Piiii
		.amdhsa_group_segment_fixed_size 128
		.amdhsa_private_segment_fixed_size 0
		.amdhsa_kernarg_size 288
		.amdhsa_user_sgpr_count 2
		.amdhsa_user_sgpr_dispatch_ptr 0
		.amdhsa_user_sgpr_queue_ptr 0
		.amdhsa_user_sgpr_kernarg_segment_ptr 1
		.amdhsa_user_sgpr_dispatch_id 0
		.amdhsa_user_sgpr_kernarg_preload_length 0
		.amdhsa_user_sgpr_kernarg_preload_offset 0
		.amdhsa_user_sgpr_private_segment_size 0
		.amdhsa_wavefront_size32 1
		.amdhsa_uses_dynamic_stack 0
		.amdhsa_enable_private_segment 0
		.amdhsa_system_sgpr_workgroup_id_x 1
		.amdhsa_system_sgpr_workgroup_id_y 1
		.amdhsa_system_sgpr_workgroup_id_z 0
		.amdhsa_system_sgpr_workgroup_info 0
		.amdhsa_system_vgpr_workitem_id 0
		.amdhsa_next_free_vgpr 6
		.amdhsa_next_free_sgpr 15
		.amdhsa_named_barrier_count 0
		.amdhsa_reserve_vcc 1
		.amdhsa_float_round_mode_32 0
		.amdhsa_float_round_mode_16_64 0
		.amdhsa_float_denorm_mode_32 3
		.amdhsa_float_denorm_mode_16_64 3
		.amdhsa_fp16_overflow 0
		.amdhsa_memory_ordered 1
		.amdhsa_forward_progress 1
		.amdhsa_inst_pref_size 5
		.amdhsa_round_robin_scheduling 0
		.amdhsa_exception_fp_ieee_invalid_op 0
		.amdhsa_exception_fp_denorm_src 0
		.amdhsa_exception_fp_ieee_div_zero 0
		.amdhsa_exception_fp_ieee_overflow 0
		.amdhsa_exception_fp_ieee_underflow 0
		.amdhsa_exception_fp_ieee_inexact 0
		.amdhsa_exception_int_div_zero 0
	.end_amdhsa_kernel
	.section	.text._ZL25flash_attn_mask_to_KV_maxILi2EEvPK7__half2Piiii,"axG",@progbits,_ZL25flash_attn_mask_to_KV_maxILi2EEvPK7__half2Piiii,comdat
.Lfunc_end6:
	.size	_ZL25flash_attn_mask_to_KV_maxILi2EEvPK7__half2Piiii, .Lfunc_end6-_ZL25flash_attn_mask_to_KV_maxILi2EEvPK7__half2Piiii
                                        ; -- End function
	.set _ZL25flash_attn_mask_to_KV_maxILi2EEvPK7__half2Piiii.num_vgpr, 6
	.set _ZL25flash_attn_mask_to_KV_maxILi2EEvPK7__half2Piiii.num_agpr, 0
	.set _ZL25flash_attn_mask_to_KV_maxILi2EEvPK7__half2Piiii.numbered_sgpr, 15
	.set _ZL25flash_attn_mask_to_KV_maxILi2EEvPK7__half2Piiii.num_named_barrier, 0
	.set _ZL25flash_attn_mask_to_KV_maxILi2EEvPK7__half2Piiii.private_seg_size, 0
	.set _ZL25flash_attn_mask_to_KV_maxILi2EEvPK7__half2Piiii.uses_vcc, 1
	.set _ZL25flash_attn_mask_to_KV_maxILi2EEvPK7__half2Piiii.uses_flat_scratch, 0
	.set _ZL25flash_attn_mask_to_KV_maxILi2EEvPK7__half2Piiii.has_dyn_sized_stack, 0
	.set _ZL25flash_attn_mask_to_KV_maxILi2EEvPK7__half2Piiii.has_recursion, 0
	.set _ZL25flash_attn_mask_to_KV_maxILi2EEvPK7__half2Piiii.has_indirect_call, 0
	.section	.AMDGPU.csdata,"",@progbits
; Kernel info:
; codeLenInByte = 548
; TotalNumSgprs: 17
; NumVgprs: 6
; ScratchSize: 0
; MemoryBound: 0
; FloatMode: 240
; IeeeMode: 1
; LDSByteSize: 128 bytes/workgroup (compile time only)
; SGPRBlocks: 0
; VGPRBlocks: 0
; NumSGPRsForWavesPerEU: 17
; NumVGPRsForWavesPerEU: 6
; NamedBarCnt: 0
; Occupancy: 16
; WaveLimiterHint : 0
; COMPUTE_PGM_RSRC2:SCRATCH_EN: 0
; COMPUTE_PGM_RSRC2:USER_SGPR: 2
; COMPUTE_PGM_RSRC2:TRAP_HANDLER: 0
; COMPUTE_PGM_RSRC2:TGID_X_EN: 1
; COMPUTE_PGM_RSRC2:TGID_Y_EN: 1
; COMPUTE_PGM_RSRC2:TGID_Z_EN: 0
; COMPUTE_PGM_RSRC2:TIDIG_COMP_CNT: 0
	.section	.text._ZL33flash_attn_stream_k_fixup_uniformILi256ELi2ELi8EEvPfPK15HIP_vector_typeIfLj2EEiiiiiiS1_IjLj3EES5_S5_,"axG",@progbits,_ZL33flash_attn_stream_k_fixup_uniformILi256ELi2ELi8EEvPfPK15HIP_vector_typeIfLj2EEiiiiiiS1_IjLj3EES5_S5_,comdat
	.globl	_ZL33flash_attn_stream_k_fixup_uniformILi256ELi2ELi8EEvPfPK15HIP_vector_typeIfLj2EEiiiiiiS1_IjLj3EES5_S5_ ; -- Begin function _ZL33flash_attn_stream_k_fixup_uniformILi256ELi2ELi8EEvPfPK15HIP_vector_typeIfLj2EEiiiiiiS1_IjLj3EES5_S5_
	.p2align	8
	.type	_ZL33flash_attn_stream_k_fixup_uniformILi256ELi2ELi8EEvPfPK15HIP_vector_typeIfLj2EEiiiiiiS1_IjLj3EES5_S5_,@function
_ZL33flash_attn_stream_k_fixup_uniformILi256ELi2ELi8EEvPfPK15HIP_vector_typeIfLj2EEiiiiiiS1_IjLj3EES5_S5_: ; @_ZL33flash_attn_stream_k_fixup_uniformILi256ELi2ELi8EEvPfPK15HIP_vector_typeIfLj2EEiiiiiiS1_IjLj3EES5_S5_
; %bb.0:
	s_load_b256 s[4:11], s[0:1], 0x1c
	s_bfe_u32 s2, ttmp6, 0x40014
	s_lshr_b32 s3, ttmp7, 16
	s_add_co_i32 s2, s2, 1
	s_bfe_u32 s13, ttmp6, 0x40010
	s_mul_i32 s2, s3, s2
	s_bfe_u32 s12, ttmp6, 0x40008
	s_and_b32 s15, ttmp7, 0xffff
	s_add_co_i32 s13, s13, 1
	s_bfe_u32 s14, ttmp6, 0x4000c
	s_add_co_i32 s12, s12, s2
	s_mul_i32 s2, s15, s13
	s_bfe_u32 s13, ttmp6, 0x40004
	s_add_co_i32 s14, s14, 1
	s_add_co_i32 s13, s13, s2
	s_and_b32 s2, ttmp6, 15
	s_mul_i32 s14, ttmp9, s14
	s_getreg_b32 s20, hwreg(HW_REG_IB_STS2, 6, 4)
	s_add_co_i32 s2, s2, s14
	s_load_b128 s[16:19], s[0:1], 0x3c
	s_cmp_eq_u32 s20, 0
	s_cselect_b32 s14, ttmp9, s2
	s_cselect_b32 s13, s15, s13
	s_wait_kmcnt 0x0
	s_mul_hi_u32 s2, s7, s14
	s_cselect_b32 s12, s3, s12
	s_add_co_i32 s2, s14, s2
	s_delay_alu instid0(SALU_CYCLE_1) | instskip(NEXT) | instid1(SALU_CYCLE_1)
	s_lshr_b32 s7, s2, s8
	s_mul_i32 s2, s7, s9
	s_delay_alu instid0(SALU_CYCLE_1) | instskip(NEXT) | instid1(SALU_CYCLE_1)
	s_sub_co_i32 s8, s14, s2
	s_mul_hi_u32 s2, s8, s10
	s_delay_alu instid0(SALU_CYCLE_1) | instskip(SKIP_2) | instid1(SALU_CYCLE_1)
	s_add_co_i32 s9, s8, s2
	s_load_b64 s[2:3], s[0:1], 0x10
	s_lshr_b32 s15, s9, s11
	s_mul_i32 s9, s15, s16
	s_delay_alu instid0(SALU_CYCLE_1) | instskip(NEXT) | instid1(SALU_CYCLE_1)
	s_sub_co_i32 s8, s8, s9
	s_mul_hi_u32 s9, s8, s17
	s_delay_alu instid0(SALU_CYCLE_1) | instskip(NEXT) | instid1(SALU_CYCLE_1)
	s_add_co_i32 s9, s8, s9
	s_lshr_b32 s9, s9, s18
	s_delay_alu instid0(SALU_CYCLE_1) | instskip(SKIP_2) | instid1(SALU_CYCLE_1)
	s_mul_i32 s10, s9, s19
	s_lshl_b32 s17, s9, 3
	s_sub_co_i32 s16, s8, s10
	s_lshl_b32 s8, s16, 1
	s_delay_alu instid0(SALU_CYCLE_1) | instskip(SKIP_4) | instid1(SALU_CYCLE_1)
	s_add_co_i32 s8, s8, s13
	s_wait_kmcnt 0x0
	s_cmp_lt_i32 s8, s2
	s_cselect_b32 s8, -1, 0
	s_add_co_i32 s9, s17, s12
	s_cmp_lt_i32 s9, s5
	s_cselect_b32 s9, -1, 0
	s_delay_alu instid0(SALU_CYCLE_1) | instskip(NEXT) | instid1(SALU_CYCLE_1)
	s_and_b32 s8, s8, s9
	s_and_not1_b32 vcc_lo, exec_lo, s8
	s_cbranch_vccnz .LBB7_6
; %bb.1:
	s_mul_i32 s2, s7, s2
	s_load_b128 s[8:11], s[0:1], 0x0
	s_wait_xcnt 0x0
	s_add_co_i32 s0, s2, s13
	s_mul_i32 s15, s15, s5
	s_mul_i32 s0, s0, s3
	;; [unrolled: 1-line block ×3, first 2 shown]
	s_add_co_i32 s0, s0, s12
	s_lshl_b32 s1, s1, 9
	s_add_co_i32 s0, s0, s15
	s_mul_i32 s7, s6, s14
	s_add_co_i32 s0, s0, s17
	s_lshl_b32 s5, s13, 3
	s_lshl_b32 s0, s0, 8
	s_add_co_i32 s15, s7, s6
	s_add_co_i32 s1, s1, s0
	;; [unrolled: 1-line block ×3, first 2 shown]
	v_or_b32_e32 v4, s1, v0
	s_lshl_b32 s1, s15, 4
	s_add_co_i32 s2, s15, -2
	s_add_co_i32 s0, s0, s1
	s_delay_alu instid0(SALU_CYCLE_1)
	s_add_co_i32 s0, s0, -16
	s_wait_kmcnt 0x0
	global_load_b32 v3, v4, s[8:9] scale_offset
	s_ashr_i32 s1, s0, 31
	v_ashrrev_i32_e32 v5, 31, v4
	s_lshl_b64 s[0:1], s[0:1], 3
	s_cmp_lt_i32 s2, s7
	s_add_nc_u64 s[0:1], s[10:11], s[0:1]
	s_load_b32 s16, s[0:1], 0x4
	s_cbranch_scc1 .LBB7_4
; %bb.2:
	s_wait_xcnt 0x0
	s_load_b32 s0, s[0:1], 0x0
	s_add_co_i32 s14, s14, 1
	s_lshl_b32 s3, s13, 11
	s_wait_xcnt 0x0
	s_mul_i32 s1, s6, s14
	s_lshl_b32 s6, s12, 8
	s_lshl_b32 s13, s1, 12
	s_add_co_i32 s6, s6, s3
	s_lshl_b32 s1, s1, 4
	s_add_co_i32 s6, s6, s13
	s_lshl_b32 s2, s4, 6
	s_wait_kmcnt 0x0
	v_dual_mov_b32 v2, s16 :: v_dual_bitop2_b32 v0, s6, v0 bitop3:0x54
	s_add_co_i32 s1, s12, s1
	s_lshl_b32 s4, s4, 4
	s_ashr_i32 s3, s2, 31
	s_add_co_i32 s1, s1, s4
	v_add_nc_u32_e32 v0, 0xffffe000, v0
	s_lshl_b64 s[2:3], s[2:3], 2
	s_add_co_i32 s4, s1, s5
	s_add_nc_u64 s[2:3], s[10:11], s[2:3]
	s_add_co_i32 s1, s15, -1
	s_sub_co_i32 s4, s4, 32
.LBB7_3:                                ; =>This Inner Loop Header: Depth=1
	global_load_b32 v7, v0, s[2:3] scale_offset
	s_ashr_i32 s5, s4, 31
	v_max_num_f32_e64 v1, s0, s0
	s_lshl_b64 s[12:13], s[4:5], 3
	s_delay_alu instid0(SALU_CYCLE_1) | instskip(SKIP_1) | instid1(VALU_DEP_1)
	s_add_nc_u64 s[12:13], s[10:11], s[12:13]
	s_load_b64 s[12:13], s[12:13], 0x0
	v_readfirstlane_b32 s5, v1
	v_add_nc_u32_e32 v0, 0xfffff000, v0
	s_wait_kmcnt 0x0
	v_max_num_f32_e64 v1, s12, s12
	s_delay_alu instid0(VALU_DEP_1) | instskip(SKIP_1) | instid1(SALU_CYCLE_3)
	v_readfirstlane_b32 s6, v1
	s_max_num_f32 s5, s5, s6
	s_sub_f32 s0, s0, s5
	s_sub_f32 s6, s12, s5
	s_delay_alu instid0(SALU_CYCLE_2) | instskip(NEXT) | instid1(SALU_CYCLE_2)
	s_mul_f32 s12, s0, 0x3fb8aa3b
	s_mul_f32 s14, s6, 0x3fb8aa3b
	s_delay_alu instid0(SALU_CYCLE_2)
	s_xor_b32 s15, s12, 0x80000000
	s_rndne_f32 s16, s12
	s_fmamk_f32 s15, s0, 0x3fb8aa3b, s15
	s_cmp_nlt_f32 s0, 0xc2ce8ed0
	s_rndne_f32 s17, s14
	s_sub_f32 s12, s12, s16
	s_fmamk_f32 s15, s0, 0x32a5705f, s15
	s_cselect_b32 vcc_lo, -1, 0
	s_cmp_ngt_f32 s0, 0x42b17218
	s_delay_alu instid0(SALU_CYCLE_1) | instskip(SKIP_2) | instid1(SALU_CYCLE_1)
	s_add_f32 s12, s12, s15
	s_cvt_i32_f32 s15, s16
	s_sub_f32 s16, s14, s17
	v_s_exp_f32 s12, s12
	v_nop
	s_delay_alu instid0(TRANS32_DEP_1) | instskip(SKIP_1) | instid1(VALU_DEP_1)
	v_ldexp_f32 v1, s12, s15
	s_cvt_i32_f32 s12, s17
	v_cndmask_b32_e32 v1, 0, v1, vcc_lo
	s_cselect_b32 vcc_lo, -1, 0
	s_cmp_ge_f32 s0, 0xc1a00000
	s_delay_alu instid0(VALU_DEP_1)
	v_cndmask_b32_e32 v1, 0x7f800000, v1, vcc_lo
	s_cselect_b32 vcc_lo, -1, 0
	s_xor_b32 s0, s14, 0x80000000
	s_cmp_nlt_f32 s6, 0xc2ce8ed0
	s_fmamk_f32 s0, s6, 0x3fb8aa3b, s0
	v_cndmask_b32_e32 v10, 0, v1, vcc_lo
	s_delay_alu instid0(SALU_CYCLE_2) | instskip(NEXT) | instid1(SALU_CYCLE_3)
	s_fmamk_f32 s0, s6, 0x32a5705f, s0
	s_add_f32 s0, s16, s0
	s_delay_alu instid0(SALU_CYCLE_3) | instskip(SKIP_1) | instid1(TRANS32_DEP_1)
	v_s_exp_f32 s0, s0
	v_nop
	v_ldexp_f32 v6, s0, s12
	s_cselect_b32 s0, -1, 0
	s_cmp_ngt_f32 s6, 0x42b17218
	s_delay_alu instid0(VALU_DEP_1) | instskip(SKIP_2) | instid1(VALU_DEP_1)
	v_cndmask_b32_e64 v6, 0, v6, s0
	s_cselect_b32 s0, -1, 0
	s_cmp_ge_f32 s6, 0xc1a00000
	v_cndmask_b32_e64 v8, 0x7f800000, v6, s0
	s_cselect_b32 s0, -1, 0
	v_mov_b32_e32 v6, s13
	s_add_co_i32 s1, s1, -1
	s_add_co_i32 s4, s4, -16
	v_cndmask_b32_e64 v8, 0, v8, s0
	s_cmp_le_i32 s1, s7
	s_mov_b32 s0, s5
	s_wait_loadcnt 0x0
	s_delay_alu instid0(VALU_DEP_1) | instskip(NEXT) | instid1(VALU_DEP_1)
	v_pk_mul_f32 v[6:7], v[6:7], v[8:9] op_sel_hi:[1,0]
	v_pk_fma_f32 v[2:3], v[2:3], v[10:11], v[6:7] op_sel_hi:[1,0,1]
	s_cbranch_scc0 .LBB7_3
	s_branch .LBB7_5
.LBB7_4:
	s_wait_kmcnt 0x0
	v_mov_b32_e32 v2, s16
.LBB7_5:
	v_lshl_add_u64 v[0:1], v[4:5], 2, s[8:9]
	s_wait_loadcnt 0x0
	s_delay_alu instid0(VALU_DEP_2) | instskip(NEXT) | instid1(VALU_DEP_1)
	v_div_scale_f32 v4, null, v2, v2, v3
	v_rcp_f32_e32 v5, v4
	v_nop
	s_delay_alu instid0(TRANS32_DEP_1) | instskip(NEXT) | instid1(VALU_DEP_1)
	v_fma_f32 v6, -v4, v5, 1.0
	v_fmac_f32_e32 v5, v6, v5
	v_div_scale_f32 v6, vcc_lo, v3, v2, v3
	s_delay_alu instid0(VALU_DEP_1) | instskip(NEXT) | instid1(VALU_DEP_1)
	v_mul_f32_e32 v7, v6, v5
	v_fma_f32 v8, -v4, v7, v6
	s_delay_alu instid0(VALU_DEP_1) | instskip(NEXT) | instid1(VALU_DEP_1)
	v_fmac_f32_e32 v7, v8, v5
	v_fma_f32 v4, -v4, v7, v6
	s_delay_alu instid0(VALU_DEP_1) | instskip(NEXT) | instid1(VALU_DEP_1)
	v_div_fmas_f32 v4, v4, v5, v7
	v_div_fixup_f32 v2, v4, v2, v3
	global_store_b32 v[0:1], v2, off
.LBB7_6:
	s_endpgm
	.section	.rodata,"a",@progbits
	.p2align	6, 0x0
	.amdhsa_kernel _ZL33flash_attn_stream_k_fixup_uniformILi256ELi2ELi8EEvPfPK15HIP_vector_typeIfLj2EEiiiiiiS1_IjLj3EES5_S5_
		.amdhsa_group_segment_fixed_size 0
		.amdhsa_private_segment_fixed_size 0
		.amdhsa_kernarg_size 76
		.amdhsa_user_sgpr_count 2
		.amdhsa_user_sgpr_dispatch_ptr 0
		.amdhsa_user_sgpr_queue_ptr 0
		.amdhsa_user_sgpr_kernarg_segment_ptr 1
		.amdhsa_user_sgpr_dispatch_id 0
		.amdhsa_user_sgpr_kernarg_preload_length 0
		.amdhsa_user_sgpr_kernarg_preload_offset 0
		.amdhsa_user_sgpr_private_segment_size 0
		.amdhsa_wavefront_size32 1
		.amdhsa_uses_dynamic_stack 0
		.amdhsa_enable_private_segment 0
		.amdhsa_system_sgpr_workgroup_id_x 1
		.amdhsa_system_sgpr_workgroup_id_y 1
		.amdhsa_system_sgpr_workgroup_id_z 1
		.amdhsa_system_sgpr_workgroup_info 0
		.amdhsa_system_vgpr_workitem_id 0
		.amdhsa_next_free_vgpr 12
		.amdhsa_next_free_sgpr 21
		.amdhsa_named_barrier_count 0
		.amdhsa_reserve_vcc 1
		.amdhsa_float_round_mode_32 0
		.amdhsa_float_round_mode_16_64 0
		.amdhsa_float_denorm_mode_32 3
		.amdhsa_float_denorm_mode_16_64 3
		.amdhsa_fp16_overflow 0
		.amdhsa_memory_ordered 1
		.amdhsa_forward_progress 1
		.amdhsa_inst_pref_size 9
		.amdhsa_round_robin_scheduling 0
		.amdhsa_exception_fp_ieee_invalid_op 0
		.amdhsa_exception_fp_denorm_src 0
		.amdhsa_exception_fp_ieee_div_zero 0
		.amdhsa_exception_fp_ieee_overflow 0
		.amdhsa_exception_fp_ieee_underflow 0
		.amdhsa_exception_fp_ieee_inexact 0
		.amdhsa_exception_int_div_zero 0
	.end_amdhsa_kernel
	.section	.text._ZL33flash_attn_stream_k_fixup_uniformILi256ELi2ELi8EEvPfPK15HIP_vector_typeIfLj2EEiiiiiiS1_IjLj3EES5_S5_,"axG",@progbits,_ZL33flash_attn_stream_k_fixup_uniformILi256ELi2ELi8EEvPfPK15HIP_vector_typeIfLj2EEiiiiiiS1_IjLj3EES5_S5_,comdat
.Lfunc_end7:
	.size	_ZL33flash_attn_stream_k_fixup_uniformILi256ELi2ELi8EEvPfPK15HIP_vector_typeIfLj2EEiiiiiiS1_IjLj3EES5_S5_, .Lfunc_end7-_ZL33flash_attn_stream_k_fixup_uniformILi256ELi2ELi8EEvPfPK15HIP_vector_typeIfLj2EEiiiiiiS1_IjLj3EES5_S5_
                                        ; -- End function
	.set _ZL33flash_attn_stream_k_fixup_uniformILi256ELi2ELi8EEvPfPK15HIP_vector_typeIfLj2EEiiiiiiS1_IjLj3EES5_S5_.num_vgpr, 12
	.set _ZL33flash_attn_stream_k_fixup_uniformILi256ELi2ELi8EEvPfPK15HIP_vector_typeIfLj2EEiiiiiiS1_IjLj3EES5_S5_.num_agpr, 0
	.set _ZL33flash_attn_stream_k_fixup_uniformILi256ELi2ELi8EEvPfPK15HIP_vector_typeIfLj2EEiiiiiiS1_IjLj3EES5_S5_.numbered_sgpr, 21
	.set _ZL33flash_attn_stream_k_fixup_uniformILi256ELi2ELi8EEvPfPK15HIP_vector_typeIfLj2EEiiiiiiS1_IjLj3EES5_S5_.num_named_barrier, 0
	.set _ZL33flash_attn_stream_k_fixup_uniformILi256ELi2ELi8EEvPfPK15HIP_vector_typeIfLj2EEiiiiiiS1_IjLj3EES5_S5_.private_seg_size, 0
	.set _ZL33flash_attn_stream_k_fixup_uniformILi256ELi2ELi8EEvPfPK15HIP_vector_typeIfLj2EEiiiiiiS1_IjLj3EES5_S5_.uses_vcc, 1
	.set _ZL33flash_attn_stream_k_fixup_uniformILi256ELi2ELi8EEvPfPK15HIP_vector_typeIfLj2EEiiiiiiS1_IjLj3EES5_S5_.uses_flat_scratch, 0
	.set _ZL33flash_attn_stream_k_fixup_uniformILi256ELi2ELi8EEvPfPK15HIP_vector_typeIfLj2EEiiiiiiS1_IjLj3EES5_S5_.has_dyn_sized_stack, 0
	.set _ZL33flash_attn_stream_k_fixup_uniformILi256ELi2ELi8EEvPfPK15HIP_vector_typeIfLj2EEiiiiiiS1_IjLj3EES5_S5_.has_recursion, 0
	.set _ZL33flash_attn_stream_k_fixup_uniformILi256ELi2ELi8EEvPfPK15HIP_vector_typeIfLj2EEiiiiiiS1_IjLj3EES5_S5_.has_indirect_call, 0
	.section	.AMDGPU.csdata,"",@progbits
; Kernel info:
; codeLenInByte = 1092
; TotalNumSgprs: 23
; NumVgprs: 12
; ScratchSize: 0
; MemoryBound: 0
; FloatMode: 240
; IeeeMode: 1
; LDSByteSize: 0 bytes/workgroup (compile time only)
; SGPRBlocks: 0
; VGPRBlocks: 0
; NumSGPRsForWavesPerEU: 23
; NumVGPRsForWavesPerEU: 12
; NamedBarCnt: 0
; Occupancy: 16
; WaveLimiterHint : 0
; COMPUTE_PGM_RSRC2:SCRATCH_EN: 0
; COMPUTE_PGM_RSRC2:USER_SGPR: 2
; COMPUTE_PGM_RSRC2:TRAP_HANDLER: 0
; COMPUTE_PGM_RSRC2:TGID_X_EN: 1
; COMPUTE_PGM_RSRC2:TGID_Y_EN: 1
; COMPUTE_PGM_RSRC2:TGID_Z_EN: 1
; COMPUTE_PGM_RSRC2:TIDIG_COMP_CNT: 0
	.section	.text._ZL33flash_attn_stream_k_fixup_generalILi256ELi2ELi8EEvPfPK15HIP_vector_typeIfLj2EEiiiiS1_IjLj3EES5_S5_S5_,"axG",@progbits,_ZL33flash_attn_stream_k_fixup_generalILi256ELi2ELi8EEvPfPK15HIP_vector_typeIfLj2EEiiiiS1_IjLj3EES5_S5_S5_,comdat
	.globl	_ZL33flash_attn_stream_k_fixup_generalILi256ELi2ELi8EEvPfPK15HIP_vector_typeIfLj2EEiiiiS1_IjLj3EES5_S5_S5_ ; -- Begin function _ZL33flash_attn_stream_k_fixup_generalILi256ELi2ELi8EEvPfPK15HIP_vector_typeIfLj2EEiiiiS1_IjLj3EES5_S5_S5_
	.p2align	8
	.type	_ZL33flash_attn_stream_k_fixup_generalILi256ELi2ELi8EEvPfPK15HIP_vector_typeIfLj2EEiiiiS1_IjLj3EES5_S5_S5_,@function
_ZL33flash_attn_stream_k_fixup_generalILi256ELi2ELi8EEvPfPK15HIP_vector_typeIfLj2EEiiiiS1_IjLj3EES5_S5_S5_: ; @_ZL33flash_attn_stream_k_fixup_generalILi256ELi2ELi8EEvPfPK15HIP_vector_typeIfLj2EEiiiiS1_IjLj3EES5_S5_S5_
; %bb.0:
	s_clause 0x1
	s_load_b128 s[4:7], s[0:1], 0x10
	s_load_b32 s16, s[0:1], 0x50
	s_bfe_u32 s2, ttmp6, 0x4000c
	s_and_b32 s3, ttmp6, 15
	s_add_co_i32 s2, s2, 1
	s_getreg_b32 s15, hwreg(HW_REG_IB_STS2, 6, 4)
	s_mul_i32 s2, ttmp9, s2
	s_mov_b32 s17, 0
	s_add_co_i32 s3, s3, s2
	s_cmp_eq_u32 s15, 0
	s_cselect_b32 s2, ttmp9, s3
	s_delay_alu instid0(SALU_CYCLE_1) | instskip(SKIP_3) | instid1(SALU_CYCLE_1)
	s_ashr_i32 s3, s2, 31
	s_wait_kmcnt 0x0
	s_ashr_i32 s19, s7, 31
	s_mov_b32 s18, s7
	s_mul_u64 s[8:9], s[18:19], s[2:3]
	s_delay_alu instid0(SALU_CYCLE_1) | instskip(NEXT) | instid1(SALU_CYCLE_1)
	s_and_b64 s[10:11], s[8:9], 0xffffffff00000000
	s_cmp_lg_u64 s[10:11], 0
	s_cbranch_scc0 .LBB8_21
; %bb.1:
	s_add_nc_u64 s[10:11], s[16:17], 0
	s_mov_b32 s23, s17
	s_xor_b64 s[10:11], s[10:11], 0
	s_mov_b32 s27, s17
	s_cvt_f32_u32 s3, s10
	s_cvt_f32_u32 s7, s11
	s_sub_nc_u64 s[20:21], 0, s[10:11]
	s_delay_alu instid0(SALU_CYCLE_2) | instskip(NEXT) | instid1(SALU_CYCLE_3)
	s_fmamk_f32 s3, s7, 0x4f800000, s3
	v_s_rcp_f32 s3, s3
	s_delay_alu instid0(TRANS32_DEP_1) | instskip(NEXT) | instid1(SALU_CYCLE_3)
	s_mul_f32 s3, s3, 0x5f7ffffc
	s_mul_f32 s7, s3, 0x2f800000
	s_delay_alu instid0(SALU_CYCLE_3) | instskip(NEXT) | instid1(SALU_CYCLE_3)
	s_trunc_f32 s7, s7
	s_fmamk_f32 s3, s7, 0xcf800000, s3
	s_cvt_u32_f32 s13, s7
	s_delay_alu instid0(SALU_CYCLE_2) | instskip(NEXT) | instid1(SALU_CYCLE_3)
	s_cvt_u32_f32 s12, s3
	s_mul_u64 s[24:25], s[20:21], s[12:13]
	s_delay_alu instid0(SALU_CYCLE_1)
	s_mul_hi_u32 s29, s12, s25
	s_mul_i32 s28, s12, s25
	s_mul_hi_u32 s22, s12, s24
	s_mul_i32 s7, s13, s24
	s_add_nc_u64 s[22:23], s[22:23], s[28:29]
	s_mul_hi_u32 s3, s13, s24
	s_mul_hi_u32 s14, s13, s25
	s_add_co_u32 s7, s22, s7
	s_add_co_ci_u32 s26, s23, s3
	s_mul_i32 s24, s13, s25
	s_add_co_ci_u32 s25, s14, 0
	s_delay_alu instid0(SALU_CYCLE_1) | instskip(SKIP_3) | instid1(SALU_CYCLE_1)
	s_add_nc_u64 s[22:23], s[26:27], s[24:25]
	s_mov_b32 s25, s17
	s_add_co_u32 s12, s12, s22
	s_cselect_b32 s3, -1, 0
	s_cmp_lg_u32 s3, 0
	s_add_co_ci_u32 s13, s13, s23
	s_mov_b32 s23, s17
	s_mul_u64 s[20:21], s[20:21], s[12:13]
	s_delay_alu instid0(SALU_CYCLE_1)
	s_mul_hi_u32 s27, s12, s21
	s_mul_i32 s26, s12, s21
	s_mul_hi_u32 s22, s12, s20
	s_mul_i32 s7, s13, s20
	s_add_nc_u64 s[22:23], s[22:23], s[26:27]
	s_mul_hi_u32 s3, s13, s20
	s_mul_hi_u32 s14, s13, s21
	s_add_co_u32 s7, s22, s7
	s_add_co_ci_u32 s24, s23, s3
	s_mul_i32 s20, s13, s21
	s_add_co_ci_u32 s21, s14, 0
	s_mov_b32 s23, s17
	s_add_nc_u64 s[20:21], s[24:25], s[20:21]
	s_delay_alu instid0(SALU_CYCLE_1) | instskip(SKIP_1) | instid1(SALU_CYCLE_1)
	s_add_co_u32 s3, s12, s20
	s_cselect_b32 s7, -1, 0
	s_cmp_lg_u32 s7, 0
	s_add_co_ci_u32 s7, s13, s21
	s_ashr_i32 s12, s9, 31
	s_delay_alu instid0(SALU_CYCLE_1) | instskip(NEXT) | instid1(SALU_CYCLE_1)
	s_mov_b32 s13, s12
	s_add_nc_u64 s[20:21], s[8:9], s[12:13]
	s_delay_alu instid0(SALU_CYCLE_1) | instskip(NEXT) | instid1(SALU_CYCLE_1)
	s_xor_b64 s[20:21], s[20:21], s[12:13]
	s_mul_hi_u32 s27, s20, s7
	s_mul_i32 s26, s20, s7
	s_mul_hi_u32 s22, s20, s3
	s_mul_hi_u32 s14, s21, s3
	s_mul_i32 s3, s21, s3
	s_add_nc_u64 s[22:23], s[22:23], s[26:27]
	s_mul_hi_u32 s9, s21, s7
	s_add_co_u32 s3, s22, s3
	s_add_co_ci_u32 s24, s23, s14
	s_mul_i32 s26, s21, s7
	s_add_co_ci_u32 s27, s9, 0
	s_delay_alu instid0(SALU_CYCLE_1) | instskip(NEXT) | instid1(SALU_CYCLE_1)
	s_add_nc_u64 s[22:23], s[24:25], s[26:27]
	s_and_b64 s[24:25], s[22:23], 0xffffffff00000000
	s_delay_alu instid0(SALU_CYCLE_1) | instskip(NEXT) | instid1(SALU_CYCLE_1)
	s_or_b32 s24, s24, s22
	s_mul_u64 s[22:23], s[10:11], s[24:25]
	s_add_nc_u64 s[26:27], s[24:25], 1
	s_sub_co_u32 s3, s20, s22
	s_cselect_b32 s7, -1, 0
	s_sub_co_i32 s9, s21, s23
	s_cmp_lg_u32 s7, 0
	s_add_nc_u64 s[28:29], s[24:25], 2
	s_sub_co_ci_u32 s9, s9, s11
	s_sub_co_u32 s14, s3, s10
	s_cselect_b32 s20, -1, 0
	s_delay_alu instid0(SALU_CYCLE_1) | instskip(SKIP_1) | instid1(SALU_CYCLE_1)
	s_cmp_lg_u32 s20, 0
	s_sub_co_ci_u32 s9, s9, 0
	s_cmp_ge_u32 s9, s11
	s_cselect_b32 s20, -1, 0
	s_cmp_ge_u32 s14, s10
	s_cselect_b32 s14, -1, 0
	s_cmp_eq_u32 s9, s11
	s_cselect_b32 s9, s14, s20
	s_delay_alu instid0(SALU_CYCLE_1) | instskip(SKIP_4) | instid1(SALU_CYCLE_1)
	s_cmp_lg_u32 s9, 0
	s_cselect_b32 s9, s28, s26
	s_cselect_b32 s14, s29, s27
	s_cmp_lg_u32 s7, 0
	s_sub_co_ci_u32 s7, s21, s23
	s_cmp_ge_u32 s7, s11
	s_cselect_b32 s20, -1, 0
	s_cmp_ge_u32 s3, s10
	s_cselect_b32 s3, -1, 0
	s_cmp_eq_u32 s7, s11
	s_cselect_b32 s3, s3, s20
	s_delay_alu instid0(SALU_CYCLE_1) | instskip(SKIP_4) | instid1(SALU_CYCLE_1)
	s_cmp_lg_u32 s3, 0
	s_mov_b32 s3, s17
	s_cselect_b32 s11, s14, s25
	s_cselect_b32 s10, s9, s24
	s_xor_b64 s[12:13], s[12:13], 0
	s_xor_b64 s[10:11], s[10:11], s[12:13]
	s_delay_alu instid0(SALU_CYCLE_1)
	s_sub_nc_u64 s[20:21], s[10:11], s[12:13]
	s_and_not1_b32 vcc_lo, exec_lo, s3
	s_cbranch_vccnz .LBB8_3
.LBB8_2:
	v_cvt_f32_u32_e32 v1, s16
	s_sub_co_i32 s7, 0, s16
	s_mov_b32 s21, 0
	s_delay_alu instid0(VALU_DEP_1) | instskip(SKIP_1) | instid1(TRANS32_DEP_1)
	v_rcp_iflag_f32_e32 v1, v1
	v_nop
	v_mul_f32_e32 v1, 0x4f7ffffe, v1
	s_delay_alu instid0(VALU_DEP_1) | instskip(NEXT) | instid1(VALU_DEP_1)
	v_cvt_u32_f32_e32 v1, v1
	v_readfirstlane_b32 s3, v1
	s_mul_i32 s7, s7, s3
	s_delay_alu instid0(SALU_CYCLE_1) | instskip(NEXT) | instid1(SALU_CYCLE_1)
	s_mul_hi_u32 s7, s3, s7
	s_add_co_i32 s3, s3, s7
	s_delay_alu instid0(SALU_CYCLE_1) | instskip(NEXT) | instid1(SALU_CYCLE_1)
	s_mul_hi_u32 s3, s8, s3
	s_mul_i32 s7, s3, s16
	s_delay_alu instid0(SALU_CYCLE_1)
	s_sub_co_i32 s7, s8, s7
	s_add_co_i32 s8, s3, 1
	s_sub_co_i32 s9, s7, s16
	s_cmp_ge_u32 s7, s16
	s_cselect_b32 s3, s8, s3
	s_cselect_b32 s7, s9, s7
	s_add_co_i32 s8, s3, 1
	s_cmp_ge_u32 s7, s16
	s_cselect_b32 s20, s8, s3
.LBB8_3:
	s_add_co_i32 s8, s2, 1
	s_delay_alu instid0(SALU_CYCLE_1) | instskip(NEXT) | instid1(SALU_CYCLE_1)
	s_ashr_i32 s9, s8, 31
	s_mul_u64 s[8:9], s[18:19], s[8:9]
	s_delay_alu instid0(SALU_CYCLE_1) | instskip(NEXT) | instid1(SALU_CYCLE_1)
	s_and_b64 s[10:11], s[8:9], 0xffffffff00000000
	s_cmp_lg_u64 s[10:11], 0
	s_cbranch_scc0 .LBB8_22
; %bb.4:
	s_add_nc_u64 s[10:11], s[16:17], 0
	s_delay_alu instid0(SALU_CYCLE_1) | instskip(SKIP_4) | instid1(SALU_CYCLE_2)
	s_xor_b64 s[12:13], s[10:11], 0
	s_mov_b32 s11, 0
	s_cvt_f32_u32 s3, s12
	s_cvt_f32_u32 s7, s13
	s_sub_nc_u64 s[24:25], 0, s[12:13]
	s_fmamk_f32 s3, s7, 0x4f800000, s3
	s_delay_alu instid0(SALU_CYCLE_3) | instskip(NEXT) | instid1(TRANS32_DEP_1)
	v_s_rcp_f32 s3, s3
	s_mul_f32 s3, s3, 0x5f7ffffc
	s_delay_alu instid0(SALU_CYCLE_3) | instskip(NEXT) | instid1(SALU_CYCLE_3)
	s_mul_f32 s7, s3, 0x2f800000
	s_trunc_f32 s7, s7
	s_delay_alu instid0(SALU_CYCLE_3) | instskip(SKIP_1) | instid1(SALU_CYCLE_2)
	s_fmamk_f32 s3, s7, 0xcf800000, s3
	s_cvt_u32_f32 s23, s7
	s_cvt_u32_f32 s22, s3
	s_delay_alu instid0(SALU_CYCLE_3) | instskip(NEXT) | instid1(SALU_CYCLE_1)
	s_mul_u64 s[26:27], s[24:25], s[22:23]
	s_mul_hi_u32 s29, s22, s27
	s_mul_i32 s28, s22, s27
	s_mul_hi_u32 s10, s22, s26
	s_mul_i32 s7, s23, s26
	s_add_nc_u64 s[28:29], s[10:11], s[28:29]
	s_mul_hi_u32 s3, s23, s26
	s_mul_hi_u32 s14, s23, s27
	s_add_co_u32 s7, s28, s7
	s_add_co_ci_u32 s10, s29, s3
	s_mul_i32 s26, s23, s27
	s_add_co_ci_u32 s27, s14, 0
	s_delay_alu instid0(SALU_CYCLE_1) | instskip(NEXT) | instid1(SALU_CYCLE_1)
	s_add_nc_u64 s[26:27], s[10:11], s[26:27]
	s_add_co_u32 s22, s22, s26
	s_cselect_b32 s3, -1, 0
	s_delay_alu instid0(SALU_CYCLE_1) | instskip(SKIP_1) | instid1(SALU_CYCLE_1)
	s_cmp_lg_u32 s3, 0
	s_add_co_ci_u32 s23, s23, s27
	s_mul_u64 s[24:25], s[24:25], s[22:23]
	s_delay_alu instid0(SALU_CYCLE_1)
	s_mul_hi_u32 s27, s22, s25
	s_mul_i32 s26, s22, s25
	s_mul_hi_u32 s10, s22, s24
	s_mul_i32 s7, s23, s24
	s_add_nc_u64 s[26:27], s[10:11], s[26:27]
	s_mul_hi_u32 s3, s23, s24
	s_mul_hi_u32 s14, s23, s25
	s_add_co_u32 s7, s26, s7
	s_add_co_ci_u32 s10, s27, s3
	s_mul_i32 s24, s23, s25
	s_add_co_ci_u32 s25, s14, 0
	s_delay_alu instid0(SALU_CYCLE_1) | instskip(NEXT) | instid1(SALU_CYCLE_1)
	s_add_nc_u64 s[24:25], s[10:11], s[24:25]
	s_add_co_u32 s3, s22, s24
	s_cselect_b32 s7, -1, 0
	s_delay_alu instid0(SALU_CYCLE_1) | instskip(SKIP_2) | instid1(SALU_CYCLE_1)
	s_cmp_lg_u32 s7, 0
	s_add_co_ci_u32 s7, s23, s25
	s_ashr_i32 s22, s9, 31
	s_mov_b32 s23, s22
	s_delay_alu instid0(SALU_CYCLE_1) | instskip(NEXT) | instid1(SALU_CYCLE_1)
	s_add_nc_u64 s[24:25], s[8:9], s[22:23]
	s_xor_b64 s[24:25], s[24:25], s[22:23]
	s_delay_alu instid0(SALU_CYCLE_1)
	s_mul_hi_u32 s27, s24, s7
	s_mul_i32 s26, s24, s7
	s_mul_hi_u32 s10, s24, s3
	s_mul_hi_u32 s14, s25, s3
	s_mul_i32 s3, s25, s3
	s_add_nc_u64 s[26:27], s[10:11], s[26:27]
	s_mul_hi_u32 s9, s25, s7
	s_add_co_u32 s3, s26, s3
	s_add_co_ci_u32 s10, s27, s14
	s_mul_i32 s28, s25, s7
	s_add_co_ci_u32 s29, s9, 0
	s_delay_alu instid0(SALU_CYCLE_1) | instskip(NEXT) | instid1(SALU_CYCLE_1)
	s_add_nc_u64 s[26:27], s[10:11], s[28:29]
	s_and_b64 s[28:29], s[26:27], 0xffffffff00000000
	s_delay_alu instid0(SALU_CYCLE_1) | instskip(NEXT) | instid1(SALU_CYCLE_1)
	s_or_b32 s28, s28, s26
	s_mul_u64 s[26:27], s[12:13], s[28:29]
	s_add_nc_u64 s[30:31], s[28:29], 1
	s_sub_co_u32 s3, s24, s26
	s_cselect_b32 s7, -1, 0
	s_sub_co_i32 s9, s25, s27
	s_cmp_lg_u32 s7, 0
	s_add_nc_u64 s[34:35], s[28:29], 2
	s_sub_co_ci_u32 s9, s9, s13
	s_sub_co_u32 s10, s3, s12
	s_cselect_b32 s14, -1, 0
	s_delay_alu instid0(SALU_CYCLE_1) | instskip(SKIP_1) | instid1(SALU_CYCLE_1)
	s_cmp_lg_u32 s14, 0
	s_sub_co_ci_u32 s9, s9, 0
	s_cmp_ge_u32 s9, s13
	s_cselect_b32 s14, -1, 0
	s_cmp_ge_u32 s10, s12
	s_cselect_b32 s10, -1, 0
	s_cmp_eq_u32 s9, s13
	s_cselect_b32 s9, s10, s14
	s_delay_alu instid0(SALU_CYCLE_1) | instskip(SKIP_4) | instid1(SALU_CYCLE_1)
	s_cmp_lg_u32 s9, 0
	s_cselect_b32 s9, s34, s30
	s_cselect_b32 s10, s35, s31
	s_cmp_lg_u32 s7, 0
	s_sub_co_ci_u32 s7, s25, s27
	s_cmp_ge_u32 s7, s13
	s_cselect_b32 s14, -1, 0
	s_cmp_ge_u32 s3, s12
	s_cselect_b32 s3, -1, 0
	s_cmp_eq_u32 s7, s13
	s_cselect_b32 s3, s3, s14
	s_delay_alu instid0(SALU_CYCLE_1) | instskip(SKIP_3) | instid1(SALU_CYCLE_1)
	s_cmp_lg_u32 s3, 0
	s_cselect_b32 s13, s10, s29
	s_cselect_b32 s12, s9, s28
	s_xor_b64 s[22:23], s[22:23], 0
	s_xor_b64 s[12:13], s[12:13], s[22:23]
	s_delay_alu instid0(SALU_CYCLE_1)
	s_sub_nc_u64 s[24:25], s[12:13], s[22:23]
	s_load_b96 s[12:14], s[0:1], 0x44
	s_cbranch_execnz .LBB8_6
.LBB8_5:
	v_cvt_f32_u32_e32 v1, s16
	s_sub_co_i32 s7, 0, s16
	s_delay_alu instid0(VALU_DEP_1) | instskip(SKIP_1) | instid1(TRANS32_DEP_1)
	v_rcp_iflag_f32_e32 v1, v1
	v_nop
	v_mul_f32_e32 v1, 0x4f7ffffe, v1
	s_delay_alu instid0(VALU_DEP_1) | instskip(NEXT) | instid1(VALU_DEP_1)
	v_cvt_u32_f32_e32 v1, v1
	v_readfirstlane_b32 s3, v1
	s_mul_i32 s7, s7, s3
	s_delay_alu instid0(SALU_CYCLE_1) | instskip(NEXT) | instid1(SALU_CYCLE_1)
	s_mul_hi_u32 s7, s3, s7
	s_add_co_i32 s3, s3, s7
	s_delay_alu instid0(SALU_CYCLE_1) | instskip(NEXT) | instid1(SALU_CYCLE_1)
	s_mul_hi_u32 s3, s8, s3
	s_mul_i32 s7, s3, s16
	s_delay_alu instid0(SALU_CYCLE_1)
	s_sub_co_i32 s7, s8, s7
	s_add_co_i32 s8, s3, 1
	s_sub_co_i32 s9, s7, s16
	s_cmp_ge_u32 s7, s16
	s_cselect_b32 s3, s8, s3
	s_cselect_b32 s7, s9, s7
	s_add_co_i32 s8, s3, 1
	s_cmp_ge_u32 s7, s16
	s_cselect_b32 s24, s8, s3
.LBB8_6:
	s_delay_alu instid0(SALU_CYCLE_1)
	s_cmp_eq_u32 s20, s24
	s_mov_b64 s[8:9], 0xffffffff
	s_cselect_b32 s3, -1, 0
	s_and_b64 s[8:9], s[20:21], s[8:9]
	s_mov_b32 s23, 0
	s_wait_kmcnt 0x0
	s_mov_b32 s22, s12
	s_mov_b32 s25, s23
	s_mul_u64 s[10:11], s[8:9], s[22:23]
	s_delay_alu instid0(SALU_CYCLE_1) | instskip(SKIP_2) | instid1(SALU_CYCLE_1)
	s_add_co_i32 s7, s11, s20
	s_mul_u64 s[10:11], s[24:25], s[22:23]
	s_lshr_b32 s12, s7, s13
	s_mul_i32 s7, s12, s14
	s_delay_alu instid0(SALU_CYCLE_1) | instskip(SKIP_2) | instid1(SALU_CYCLE_1)
	s_cmp_eq_u32 s7, s20
	s_cselect_b32 s7, -1, 0
	s_add_co_i32 s10, s11, s24
	s_lshr_b32 s10, s10, s13
	s_delay_alu instid0(SALU_CYCLE_1)
	s_cmp_eq_u32 s12, s10
	s_mul_i32 s10, s10, s14
	s_cselect_b32 s11, -1, 0
	s_cmp_lg_u32 s10, s24
	s_cselect_b32 s10, -1, 0
	s_or_b32 s3, s3, s7
	s_and_b32 s10, s11, s10
	s_delay_alu instid0(SALU_CYCLE_1) | instskip(NEXT) | instid1(SALU_CYCLE_1)
	s_or_b32 s3, s3, s10
	s_and_b32 vcc_lo, exec_lo, s3
	s_cbranch_vccnz .LBB8_24
; %bb.7:
	s_load_b256 s[24:31], s[0:1], 0x20
	s_bfe_u32 s7, ttmp6, 0x40014
	s_bfe_u32 s33, ttmp6, 0x40010
	s_lshr_b32 s3, ttmp7, 16
	s_add_co_i32 s7, s7, 1
	s_and_b32 s21, ttmp7, 0xffff
	s_add_co_i32 s33, s33, 1
	s_bfe_u32 s10, ttmp6, 0x40008
	s_mul_i32 s7, s3, s7
	s_bfe_u32 s34, ttmp6, 0x40004
	s_mul_i32 s33, s21, s33
	s_mov_b32 s11, s23
	s_add_co_i32 s35, s10, s7
	s_add_co_i32 s34, s34, s33
	s_cmp_eq_u32 s15, 0
	s_cselect_b32 s7, s21, s34
	s_cselect_b32 s3, s3, s35
	s_wait_kmcnt 0x0
	s_mov_b32 s10, s24
	s_delay_alu instid0(SALU_CYCLE_1) | instskip(NEXT) | instid1(SALU_CYCLE_1)
	s_mul_u64 s[8:9], s[8:9], s[10:11]
	s_add_co_i32 s8, s9, s20
	s_load_b32 s9, s[0:1], 0x40
	s_lshr_b32 s8, s8, s25
	s_delay_alu instid0(SALU_CYCLE_1) | instskip(NEXT) | instid1(SALU_CYCLE_1)
	s_mul_i32 s10, s8, s26
	s_sub_co_i32 s10, s20, s10
	s_delay_alu instid0(SALU_CYCLE_1) | instskip(NEXT) | instid1(SALU_CYCLE_1)
	s_mul_hi_u32 s11, s10, s27
	s_add_co_i32 s11, s10, s11
	s_delay_alu instid0(SALU_CYCLE_1) | instskip(NEXT) | instid1(SALU_CYCLE_1)
	s_lshr_b32 s15, s11, s28
	s_mul_i32 s11, s15, s29
	s_delay_alu instid0(SALU_CYCLE_1) | instskip(NEXT) | instid1(SALU_CYCLE_1)
	s_sub_co_i32 s10, s10, s11
	s_mul_hi_u32 s11, s10, s30
	s_delay_alu instid0(SALU_CYCLE_1) | instskip(NEXT) | instid1(SALU_CYCLE_1)
	s_add_co_i32 s11, s10, s11
	s_lshr_b32 s26, s11, s31
	s_mov_b32 s11, s23
	s_wait_kmcnt 0x0
	s_mul_i32 s9, s26, s9
	s_delay_alu instid0(SALU_CYCLE_1) | instskip(NEXT) | instid1(SALU_CYCLE_1)
	s_sub_co_i32 s10, s10, s9
	s_mul_u64 s[24:25], s[10:11], s[22:23]
	s_lshl_b32 s24, s26, 3
	s_add_co_i32 s9, s10, s25
	s_delay_alu instid0(SALU_CYCLE_1) | instskip(NEXT) | instid1(SALU_CYCLE_1)
	s_lshr_b32 s21, s9, s13
	s_lshl_b32 s9, s21, 1
	s_delay_alu instid0(SALU_CYCLE_1) | instskip(NEXT) | instid1(SALU_CYCLE_1)
	s_add_co_i32 s9, s9, s7
	s_cmp_lt_i32 s9, s4
	s_cselect_b32 s9, -1, 0
	s_add_co_i32 s10, s24, s3
	s_delay_alu instid0(SALU_CYCLE_1) | instskip(SKIP_1) | instid1(SALU_CYCLE_1)
	s_cmp_lt_i32 s10, s6
	s_cselect_b32 s10, -1, 0
	s_and_b32 s9, s9, s10
	s_delay_alu instid0(SALU_CYCLE_1)
	s_and_not1_b32 vcc_lo, exec_lo, s9
	s_cbranch_vccnz .LBB8_24
; %bb.8:
	s_mul_i32 s4, s8, s4
	s_load_b128 s[8:11], s[0:1], 0x0
	s_wait_xcnt 0x0
	s_add_co_i32 s0, s4, s7
	s_mul_i32 s15, s15, s6
	s_mul_i32 s0, s0, s5
	s_mul_i32 s1, s5, s21
	s_add_co_i32 s0, s0, s3
	s_lshl_b32 s1, s1, 9
	s_add_co_i32 s0, s0, s15
	s_lshl_b32 s15, s7, 3
	s_add_co_i32 s0, s0, s24
	s_add_co_i32 s15, s15, s3
	s_lshl_b32 s0, s0, 8
	v_lshl_or_b32 v6, s15, 8, v0
	s_add_co_i32 s1, s1, s0
	v_cvt_f32_u32_e32 v4, s16
	v_or_b32_e32 v2, s1, v0
	s_add_nc_u64 s[0:1], s[16:17], 0
	s_lshl_b32 s24, s16, 6
	s_xor_b64 s[6:7], s[0:1], 0
	s_lshl_b32 s0, s2, 4
	s_cvt_f32_u32 s3, s6
	s_add_co_i32 s0, s15, s0
	s_cvt_f32_u32 s4, s7
	s_ashr_i32 s1, s0, 31
	v_rcp_iflag_f32_e32 v4, v4
	s_lshl_b64 s[0:1], s[0:1], 3
	s_fmamk_f32 s3, s4, 0x4f800000, s3
	s_wait_kmcnt 0x0
	s_add_nc_u64 s[0:1], s[10:11], s[0:1]
	s_mov_b32 s25, 0
	s_load_b64 s[28:29], s[0:1], 0x0
	v_s_rcp_f32 s3, s3
	s_wait_xcnt 0x0
	s_lshl_b64 s[0:1], s[24:25], 2
	s_add_co_i32 s36, s2, -1
	s_add_nc_u64 s[26:27], s[10:11], s[0:1]
	s_sub_nc_u64 s[34:35], 0, s[6:7]
	v_mul_f32_e32 v4, 0x4f7ffffe, v4
	s_delay_alu instid0(TRANS32_DEP_1) | instskip(NEXT) | instid1(VALU_DEP_1)
	s_mul_f32 s3, s3, 0x5f7ffffc
	v_cvt_u32_f32_e32 v7, v4
	s_delay_alu instid0(SALU_CYCLE_2) | instskip(NEXT) | instid1(SALU_CYCLE_3)
	s_mul_f32 s4, s3, 0x2f800000
	s_trunc_f32 s4, s4
	s_wait_kmcnt 0x0
	v_mov_b32_e32 v0, s29
	global_load_b32 v1, v2, s[8:9] scale_offset
	v_ashrrev_i32_e32 v3, 31, v2
	s_fmamk_f32 s0, s4, 0xcf800000, s3
	s_cvt_u32_f32 s31, s4
	s_wait_xcnt 0x0
	s_delay_alu instid0(VALU_DEP_1)
	v_lshl_add_u64 v[2:3], v[2:3], 2, s[8:9]
	s_cvt_u32_f32 s30, s0
	s_mov_b64 s[8:9], 0xffffffff
.LBB8_9:                                ; =>This Inner Loop Header: Depth=1
	s_ashr_i32 s37, s36, 31
                                        ; implicit-def: $sgpr40_sgpr41
	s_delay_alu instid0(SALU_CYCLE_1) | instskip(NEXT) | instid1(SALU_CYCLE_1)
	s_mul_u64 s[0:1], s[36:37], s[18:19]
	s_and_b64 s[2:3], s[0:1], 0xffffffff00000000
	s_delay_alu instid0(SALU_CYCLE_1)
	s_cmp_lg_u64 s[2:3], 0
	s_mov_b32 s2, -1
	s_cbranch_scc0 .LBB8_11
; %bb.10:                               ;   in Loop: Header=BB8_9 Depth=1
	s_mul_u64 s[2:3], s[34:35], s[30:31]
	s_delay_alu instid0(SALU_CYCLE_1)
	s_mul_hi_u32 s5, s30, s3
	s_mul_i32 s4, s30, s3
	s_mul_hi_u32 s24, s30, s2
	s_mul_hi_u32 s17, s31, s2
	s_add_nc_u64 s[4:5], s[24:25], s[4:5]
	s_mul_i32 s2, s31, s2
	s_mul_hi_u32 s21, s31, s3
	s_add_co_u32 s2, s4, s2
	s_add_co_ci_u32 s24, s5, s17
	s_add_co_ci_u32 s5, s21, 0
	s_mul_i32 s4, s31, s3
	s_delay_alu instid0(SALU_CYCLE_1) | instskip(NEXT) | instid1(SALU_CYCLE_1)
	s_add_nc_u64 s[2:3], s[24:25], s[4:5]
	s_add_co_u32 s2, s30, s2
	s_cselect_b32 s4, -1, 0
	s_delay_alu instid0(SALU_CYCLE_1) | instskip(SKIP_1) | instid1(SALU_CYCLE_1)
	s_cmp_lg_u32 s4, 0
	s_add_co_ci_u32 s3, s31, s3
	s_mul_u64 s[4:5], s[34:35], s[2:3]
	s_delay_alu instid0(SALU_CYCLE_1)
	s_mul_hi_u32 s39, s2, s5
	s_mul_i32 s38, s2, s5
	s_mul_hi_u32 s24, s2, s4
	s_mul_hi_u32 s17, s3, s4
	s_mul_i32 s4, s3, s4
	s_add_nc_u64 s[38:39], s[24:25], s[38:39]
	s_mul_hi_u32 s21, s3, s5
	s_add_co_u32 s4, s38, s4
	s_add_co_ci_u32 s24, s39, s17
	s_mul_i32 s4, s3, s5
	s_add_co_ci_u32 s5, s21, 0
	s_delay_alu instid0(SALU_CYCLE_1) | instskip(NEXT) | instid1(SALU_CYCLE_1)
	s_add_nc_u64 s[4:5], s[24:25], s[4:5]
	s_add_co_u32 s17, s2, s4
	s_cselect_b32 s2, -1, 0
	s_delay_alu instid0(SALU_CYCLE_1) | instskip(SKIP_2) | instid1(SALU_CYCLE_1)
	s_cmp_lg_u32 s2, 0
	s_add_co_ci_u32 s21, s3, s5
	s_ashr_i32 s2, s1, 31
	s_mov_b32 s3, s2
	s_delay_alu instid0(SALU_CYCLE_1) | instskip(NEXT) | instid1(SALU_CYCLE_1)
	s_add_nc_u64 s[4:5], s[0:1], s[2:3]
	s_xor_b64 s[4:5], s[4:5], s[2:3]
	s_delay_alu instid0(SALU_CYCLE_1)
	s_mul_hi_u32 s39, s4, s21
	s_mul_i32 s38, s4, s21
	s_mul_hi_u32 s24, s4, s17
	s_mul_hi_u32 s29, s5, s17
	s_mul_i32 s17, s5, s17
	s_add_nc_u64 s[38:39], s[24:25], s[38:39]
	s_mul_hi_u32 s1, s5, s21
	s_add_co_u32 s17, s38, s17
	s_add_co_ci_u32 s24, s39, s29
	s_mul_i32 s40, s5, s21
	s_add_co_ci_u32 s41, s1, 0
	s_delay_alu instid0(SALU_CYCLE_1) | instskip(NEXT) | instid1(SALU_CYCLE_1)
	s_add_nc_u64 s[38:39], s[24:25], s[40:41]
	s_and_b64 s[40:41], s[38:39], 0xffffffff00000000
	s_delay_alu instid0(SALU_CYCLE_1) | instskip(NEXT) | instid1(SALU_CYCLE_1)
	s_or_b32 s40, s40, s38
	s_mul_u64 s[38:39], s[6:7], s[40:41]
	s_add_nc_u64 s[42:43], s[40:41], 1
	s_sub_co_u32 s1, s4, s38
	s_cselect_b32 s4, -1, 0
	s_sub_co_i32 s17, s5, s39
	s_cmp_lg_u32 s4, 0
	s_add_nc_u64 s[44:45], s[40:41], 2
	s_sub_co_ci_u32 s17, s17, s7
	s_sub_co_u32 s21, s1, s6
	s_cselect_b32 s24, -1, 0
	s_delay_alu instid0(SALU_CYCLE_1) | instskip(SKIP_1) | instid1(SALU_CYCLE_1)
	s_cmp_lg_u32 s24, 0
	s_sub_co_ci_u32 s17, s17, 0
	s_cmp_ge_u32 s17, s7
	s_cselect_b32 s24, -1, 0
	s_cmp_ge_u32 s21, s6
	s_cselect_b32 s21, -1, 0
	s_cmp_eq_u32 s17, s7
	s_cselect_b32 s17, s21, s24
	s_delay_alu instid0(SALU_CYCLE_1) | instskip(SKIP_4) | instid1(SALU_CYCLE_1)
	s_cmp_lg_u32 s17, 0
	s_cselect_b32 s17, s44, s42
	s_cselect_b32 s21, s45, s43
	s_cmp_lg_u32 s4, 0
	s_sub_co_ci_u32 s4, s5, s39
	s_cmp_ge_u32 s4, s7
	s_cselect_b32 s5, -1, 0
	s_cmp_ge_u32 s1, s6
	s_cselect_b32 s1, -1, 0
	s_cmp_eq_u32 s4, s7
	s_cselect_b32 s1, s1, s5
	s_delay_alu instid0(SALU_CYCLE_1) | instskip(SKIP_3) | instid1(SALU_CYCLE_1)
	s_cmp_lg_u32 s1, 0
	s_cselect_b32 s5, s21, s41
	s_cselect_b32 s4, s17, s40
	s_xor_b64 s[2:3], s[2:3], 0
	s_xor_b64 s[4:5], s[4:5], s[2:3]
	s_delay_alu instid0(SALU_CYCLE_1)
	s_sub_nc_u64 s[40:41], s[4:5], s[2:3]
	s_mov_b32 s2, 0
.LBB8_11:                               ;   in Loop: Header=BB8_9 Depth=1
	s_delay_alu instid0(SALU_CYCLE_1)
	s_and_not1_b32 vcc_lo, exec_lo, s2
	s_cbranch_vccnz .LBB8_13
; %bb.12:                               ;   in Loop: Header=BB8_9 Depth=1
	v_readfirstlane_b32 s1, v7
	s_sub_co_i32 s2, 0, s16
	s_delay_alu instid0(SALU_CYCLE_1) | instskip(NEXT) | instid1(SALU_CYCLE_1)
	s_mul_i32 s2, s2, s1
	s_mul_hi_u32 s2, s1, s2
	s_delay_alu instid0(SALU_CYCLE_1) | instskip(NEXT) | instid1(SALU_CYCLE_1)
	s_add_co_i32 s1, s1, s2
	s_mul_hi_u32 s1, s0, s1
	s_delay_alu instid0(SALU_CYCLE_1) | instskip(NEXT) | instid1(SALU_CYCLE_1)
	s_mul_i32 s2, s1, s16
	s_sub_co_i32 s0, s0, s2
	s_add_co_i32 s2, s1, 1
	s_sub_co_i32 s3, s0, s16
	s_cmp_ge_u32 s0, s16
	s_cselect_b32 s1, s2, s1
	s_cselect_b32 s0, s3, s0
	s_add_co_i32 s2, s1, 1
	s_cmp_ge_u32 s0, s16
	s_cselect_b32 s24, s2, s1
	s_delay_alu instid0(SALU_CYCLE_1)
	s_mov_b64 s[40:41], s[24:25]
.LBB8_13:                               ;   in Loop: Header=BB8_9 Depth=1
	s_delay_alu instid0(SALU_CYCLE_1)
	s_cmp_lg_u32 s20, s40
	s_mov_b32 s0, -1
                                        ; implicit-def: $vgpr4_vgpr5
                                        ; implicit-def: $sgpr24
                                        ; implicit-def: $sgpr17
                                        ; implicit-def: $sgpr21
                                        ; implicit-def: $sgpr29
	s_cbranch_scc0 .LBB8_18
; %bb.14:                               ;   in Loop: Header=BB8_9 Depth=1
	s_add_co_i32 s0, s36, s16
	v_max_num_f32_e64 v4, s28, s28
	s_lshl_b32 s0, s0, 4
	s_mov_b32 s29, s20
	s_add_co_i32 s0, s0, s15
	s_load_b64 s[38:39], s[10:11], s0 offset:0x0 scale_offset
	s_wait_xcnt 0x0
	v_readfirstlane_b32 s0, v4
	s_wait_kmcnt 0x0
	v_max_num_f32_e64 v5, s38, s38
	s_delay_alu instid0(VALU_DEP_1) | instskip(SKIP_1) | instid1(SALU_CYCLE_3)
	v_readfirstlane_b32 s1, v5
	s_max_num_f32 s17, s0, s1
	s_sub_f32 s33, s28, s17
	s_sub_f32 s37, s38, s17
	s_delay_alu instid0(SALU_CYCLE_2)
	s_cmp_nlt_f32 s33, 0xc2ce8ed0
	s_cselect_b32 s1, -1, 0
	s_cmp_ngt_f32 s33, 0x42b17218
	s_cselect_b32 s2, -1, 0
	s_cmp_ge_f32 s33, 0xc1a00000
	s_cselect_b32 s0, -1, 0
	s_cmp_nlt_f32 s37, 0xc2ce8ed0
	s_cselect_b32 s3, -1, 0
	s_cmp_ngt_f32 s37, 0x42b17218
	s_cselect_b32 s4, -1, 0
	s_cmp_ge_f32 s37, 0xc1a00000
	s_cselect_b32 s5, -1, 0
	s_and_b64 s[42:43], s[40:41], s[8:9]
	s_delay_alu instid0(SALU_CYCLE_1) | instskip(NEXT) | instid1(SALU_CYCLE_1)
	s_mul_u64 s[42:43], s[42:43], s[22:23]
	s_add_co_i32 s21, s43, s40
	s_delay_alu instid0(SALU_CYCLE_1) | instskip(NEXT) | instid1(SALU_CYCLE_1)
	s_lshr_b32 s21, s21, s13
	s_mul_i32 s24, s21, s14
	s_delay_alu instid0(SALU_CYCLE_1) | instskip(SKIP_3) | instid1(SALU_CYCLE_1)
	s_cmp_eq_u32 s24, s40
	s_cselect_b32 s24, -1, 0
	s_cmp_lt_u32 s21, s12
	s_cselect_b32 s21, -1, 0
	s_or_b32 s21, s21, s24
	s_mov_b32 s24, -1
	s_and_b32 vcc_lo, exec_lo, s21
	s_mov_b32 s21, s36
	s_cbranch_vccnz .LBB8_16
; %bb.15:                               ;   in Loop: Header=BB8_9 Depth=1
	s_add_co_i32 s21, s36, -1
	s_mov_b32 s24, 0
	s_mov_b32 s29, s40
.LBB8_16:                               ;   in Loop: Header=BB8_9 Depth=1
	v_lshl_add_u32 v4, s36, 12, v6
	s_mul_f32 s40, s33, 0x3fb8aa3b
	s_mul_f32 s38, s37, 0x3fb8aa3b
	s_delay_alu instid0(SALU_CYCLE_2)
	s_xor_b32 s42, s40, 0x80000000
	global_load_b32 v5, v4, s[26:27] scale_offset
	s_fmamk_f32 s42, s33, 0x3fb8aa3b, s42
	s_rndne_f32 s44, s40
	s_xor_b32 s41, s38, 0x80000000
	s_rndne_f32 s43, s38
	s_fmamk_f32 s33, s33, 0x32a5705f, s42
	s_sub_f32 s40, s40, s44
	s_fmamk_f32 s41, s37, 0x3fb8aa3b, s41
	s_sub_f32 s38, s38, s43
	s_delay_alu instid0(SALU_CYCLE_1) | instskip(NEXT) | instid1(SALU_CYCLE_1)
	s_add_f32 s33, s40, s33
	s_fmamk_f32 s37, s37, 0x32a5705f, s41
	s_cvt_i32_f32 s40, s44
	s_delay_alu instid0(SALU_CYCLE_1) | instskip(NEXT) | instid1(SALU_CYCLE_1)
	v_s_exp_f32 s33, s33
	s_add_f32 s37, s38, s37
	s_cvt_i32_f32 s38, s43
	s_delay_alu instid0(SALU_CYCLE_2) | instskip(NEXT) | instid1(TRANS32_DEP_2)
	v_s_exp_f32 s37, s37
	v_ldexp_f32 v8, s33, s40
	s_wait_xcnt 0x0
	s_delay_alu instid0(TRANS32_DEP_1) | instskip(NEXT) | instid1(VALU_DEP_2)
	v_ldexp_f32 v4, s37, s38
	v_cndmask_b32_e64 v8, 0, v8, s1
	s_delay_alu instid0(VALU_DEP_1) | instskip(NEXT) | instid1(VALU_DEP_1)
	v_cndmask_b32_e64 v9, 0x7f800000, v8, s2
	v_dual_cndmask_b32 v4, 0, v4, s3 :: v_dual_cndmask_b32 v10, 0, v9, s0
	s_delay_alu instid0(VALU_DEP_1) | instskip(NEXT) | instid1(VALU_DEP_1)
	v_cndmask_b32_e64 v4, 0x7f800000, v4, s4
	v_dual_cndmask_b32 v8, 0, v4, s5 :: v_dual_mov_b32 v4, s39
	s_wait_loadcnt 0x0
	s_delay_alu instid0(VALU_DEP_1) | instskip(NEXT) | instid1(VALU_DEP_1)
	v_pk_mul_f32 v[4:5], v[4:5], v[8:9] op_sel_hi:[1,0]
	v_pk_fma_f32 v[4:5], v[0:1], v[10:11], v[4:5] op_sel_hi:[1,0,1]
	s_cbranch_execz .LBB8_19
.LBB8_17:                               ;   in Loop: Header=BB8_9 Depth=1
	s_and_not1_b32 vcc_lo, exec_lo, s24
	s_cbranch_vccnz .LBB8_20
	s_branch .LBB8_23
.LBB8_18:                               ;   in Loop: Header=BB8_9 Depth=1
	s_and_not1_b32 vcc_lo, exec_lo, s0
	s_cbranch_vccnz .LBB8_17
.LBB8_19:                               ;   in Loop: Header=BB8_9 Depth=1
	s_wait_loadcnt 0x0
	v_mov_b64_e32 v[4:5], v[0:1]
	s_add_co_i32 s21, s36, -1
	s_mov_b32 s29, s20
	s_mov_b32 s17, s28
	s_cbranch_execz .LBB8_23
.LBB8_20:                               ;   in Loop: Header=BB8_9 Depth=1
	s_wait_loadcnt 0x0
	s_delay_alu instid0(VALU_DEP_1)
	v_mov_b64_e32 v[0:1], v[4:5]
	s_mov_b32 s20, s29
	s_mov_b32 s36, s21
	;; [unrolled: 1-line block ×3, first 2 shown]
	s_branch .LBB8_9
.LBB8_21:
                                        ; implicit-def: $sgpr20_sgpr21
	s_branch .LBB8_2
.LBB8_22:
                                        ; implicit-def: $sgpr24_sgpr25
	s_load_b96 s[12:14], s[0:1], 0x44
	s_branch .LBB8_5
.LBB8_23:
	s_delay_alu instid0(VALU_DEP_1) | instskip(SKIP_1) | instid1(VALU_DEP_1)
	v_div_scale_f32 v0, null, v4, v4, v5
	s_wait_loadcnt 0x0
	v_rcp_f32_e32 v1, v0
	v_nop
	s_delay_alu instid0(TRANS32_DEP_1) | instskip(NEXT) | instid1(VALU_DEP_1)
	v_fma_f32 v6, -v0, v1, 1.0
	v_fmac_f32_e32 v1, v6, v1
	v_div_scale_f32 v6, vcc_lo, v5, v4, v5
	s_delay_alu instid0(VALU_DEP_1) | instskip(NEXT) | instid1(VALU_DEP_1)
	v_mul_f32_e32 v7, v6, v1
	v_fma_f32 v8, -v0, v7, v6
	s_delay_alu instid0(VALU_DEP_1) | instskip(NEXT) | instid1(VALU_DEP_1)
	v_fmac_f32_e32 v7, v8, v1
	v_fma_f32 v0, -v0, v7, v6
	s_delay_alu instid0(VALU_DEP_1) | instskip(NEXT) | instid1(VALU_DEP_1)
	v_div_fmas_f32 v0, v0, v1, v7
	v_div_fixup_f32 v0, v0, v4, v5
	global_store_b32 v[2:3], v0, off
.LBB8_24:
	s_endpgm
	.section	.rodata,"a",@progbits
	.p2align	6, 0x0
	.amdhsa_kernel _ZL33flash_attn_stream_k_fixup_generalILi256ELi2ELi8EEvPfPK15HIP_vector_typeIfLj2EEiiiiS1_IjLj3EES5_S5_S5_
		.amdhsa_group_segment_fixed_size 0
		.amdhsa_private_segment_fixed_size 0
		.amdhsa_kernarg_size 336
		.amdhsa_user_sgpr_count 2
		.amdhsa_user_sgpr_dispatch_ptr 0
		.amdhsa_user_sgpr_queue_ptr 0
		.amdhsa_user_sgpr_kernarg_segment_ptr 1
		.amdhsa_user_sgpr_dispatch_id 0
		.amdhsa_user_sgpr_kernarg_preload_length 0
		.amdhsa_user_sgpr_kernarg_preload_offset 0
		.amdhsa_user_sgpr_private_segment_size 0
		.amdhsa_wavefront_size32 1
		.amdhsa_uses_dynamic_stack 0
		.amdhsa_enable_private_segment 0
		.amdhsa_system_sgpr_workgroup_id_x 1
		.amdhsa_system_sgpr_workgroup_id_y 1
		.amdhsa_system_sgpr_workgroup_id_z 1
		.amdhsa_system_sgpr_workgroup_info 0
		.amdhsa_system_vgpr_workitem_id 0
		.amdhsa_next_free_vgpr 12
		.amdhsa_next_free_sgpr 46
		.amdhsa_named_barrier_count 0
		.amdhsa_reserve_vcc 1
		.amdhsa_float_round_mode_32 0
		.amdhsa_float_round_mode_16_64 0
		.amdhsa_float_denorm_mode_32 3
		.amdhsa_float_denorm_mode_16_64 3
		.amdhsa_fp16_overflow 0
		.amdhsa_memory_ordered 1
		.amdhsa_forward_progress 1
		.amdhsa_inst_pref_size 27
		.amdhsa_round_robin_scheduling 0
		.amdhsa_exception_fp_ieee_invalid_op 0
		.amdhsa_exception_fp_denorm_src 0
		.amdhsa_exception_fp_ieee_div_zero 0
		.amdhsa_exception_fp_ieee_overflow 0
		.amdhsa_exception_fp_ieee_underflow 0
		.amdhsa_exception_fp_ieee_inexact 0
		.amdhsa_exception_int_div_zero 0
	.end_amdhsa_kernel
	.section	.text._ZL33flash_attn_stream_k_fixup_generalILi256ELi2ELi8EEvPfPK15HIP_vector_typeIfLj2EEiiiiS1_IjLj3EES5_S5_S5_,"axG",@progbits,_ZL33flash_attn_stream_k_fixup_generalILi256ELi2ELi8EEvPfPK15HIP_vector_typeIfLj2EEiiiiS1_IjLj3EES5_S5_S5_,comdat
.Lfunc_end8:
	.size	_ZL33flash_attn_stream_k_fixup_generalILi256ELi2ELi8EEvPfPK15HIP_vector_typeIfLj2EEiiiiS1_IjLj3EES5_S5_S5_, .Lfunc_end8-_ZL33flash_attn_stream_k_fixup_generalILi256ELi2ELi8EEvPfPK15HIP_vector_typeIfLj2EEiiiiS1_IjLj3EES5_S5_S5_
                                        ; -- End function
	.set _ZL33flash_attn_stream_k_fixup_generalILi256ELi2ELi8EEvPfPK15HIP_vector_typeIfLj2EEiiiiS1_IjLj3EES5_S5_S5_.num_vgpr, 12
	.set _ZL33flash_attn_stream_k_fixup_generalILi256ELi2ELi8EEvPfPK15HIP_vector_typeIfLj2EEiiiiS1_IjLj3EES5_S5_S5_.num_agpr, 0
	.set _ZL33flash_attn_stream_k_fixup_generalILi256ELi2ELi8EEvPfPK15HIP_vector_typeIfLj2EEiiiiS1_IjLj3EES5_S5_S5_.numbered_sgpr, 46
	.set _ZL33flash_attn_stream_k_fixup_generalILi256ELi2ELi8EEvPfPK15HIP_vector_typeIfLj2EEiiiiS1_IjLj3EES5_S5_S5_.num_named_barrier, 0
	.set _ZL33flash_attn_stream_k_fixup_generalILi256ELi2ELi8EEvPfPK15HIP_vector_typeIfLj2EEiiiiS1_IjLj3EES5_S5_S5_.private_seg_size, 0
	.set _ZL33flash_attn_stream_k_fixup_generalILi256ELi2ELi8EEvPfPK15HIP_vector_typeIfLj2EEiiiiS1_IjLj3EES5_S5_S5_.uses_vcc, 1
	.set _ZL33flash_attn_stream_k_fixup_generalILi256ELi2ELi8EEvPfPK15HIP_vector_typeIfLj2EEiiiiS1_IjLj3EES5_S5_S5_.uses_flat_scratch, 0
	.set _ZL33flash_attn_stream_k_fixup_generalILi256ELi2ELi8EEvPfPK15HIP_vector_typeIfLj2EEiiiiS1_IjLj3EES5_S5_S5_.has_dyn_sized_stack, 0
	.set _ZL33flash_attn_stream_k_fixup_generalILi256ELi2ELi8EEvPfPK15HIP_vector_typeIfLj2EEiiiiS1_IjLj3EES5_S5_S5_.has_recursion, 0
	.set _ZL33flash_attn_stream_k_fixup_generalILi256ELi2ELi8EEvPfPK15HIP_vector_typeIfLj2EEiiiiS1_IjLj3EES5_S5_S5_.has_indirect_call, 0
	.section	.AMDGPU.csdata,"",@progbits
; Kernel info:
; codeLenInByte = 3360
; TotalNumSgprs: 48
; NumVgprs: 12
; ScratchSize: 0
; MemoryBound: 0
; FloatMode: 240
; IeeeMode: 1
; LDSByteSize: 0 bytes/workgroup (compile time only)
; SGPRBlocks: 0
; VGPRBlocks: 0
; NumSGPRsForWavesPerEU: 48
; NumVGPRsForWavesPerEU: 12
; NamedBarCnt: 0
; Occupancy: 16
; WaveLimiterHint : 0
; COMPUTE_PGM_RSRC2:SCRATCH_EN: 0
; COMPUTE_PGM_RSRC2:USER_SGPR: 2
; COMPUTE_PGM_RSRC2:TRAP_HANDLER: 0
; COMPUTE_PGM_RSRC2:TGID_X_EN: 1
; COMPUTE_PGM_RSRC2:TGID_Y_EN: 1
; COMPUTE_PGM_RSRC2:TGID_Z_EN: 1
; COMPUTE_PGM_RSRC2:TIDIG_COMP_CNT: 0
	.section	.text._ZL15flash_attn_tileILi256ELi256ELi1ELi8ELb0EEvPKcS1_S1_S1_S1_PKiPfP15HIP_vector_typeIfLj2EEffffjfiS5_IjLj3EEiiiiiiiiiiiliiliiiiil,"axG",@progbits,_ZL15flash_attn_tileILi256ELi256ELi1ELi8ELb0EEvPKcS1_S1_S1_S1_PKiPfP15HIP_vector_typeIfLj2EEffffjfiS5_IjLj3EEiiiiiiiiiiiliiliiiiil,comdat
	.globl	_ZL15flash_attn_tileILi256ELi256ELi1ELi8ELb0EEvPKcS1_S1_S1_S1_PKiPfP15HIP_vector_typeIfLj2EEffffjfiS5_IjLj3EEiiiiiiiiiiiliiliiiiil ; -- Begin function _ZL15flash_attn_tileILi256ELi256ELi1ELi8ELb0EEvPKcS1_S1_S1_S1_PKiPfP15HIP_vector_typeIfLj2EEffffjfiS5_IjLj3EEiiiiiiiiiiiliiliiiiil
	.p2align	8
	.type	_ZL15flash_attn_tileILi256ELi256ELi1ELi8ELb0EEvPKcS1_S1_S1_S1_PKiPfP15HIP_vector_typeIfLj2EEffffjfiS5_IjLj3EEiiiiiiiiiiiliiliiiiil,@function
_ZL15flash_attn_tileILi256ELi256ELi1ELi8ELb0EEvPKcS1_S1_S1_S1_PKiPfP15HIP_vector_typeIfLj2EEffffjfiS5_IjLj3EEiiiiiiiiiiiliiliiiiil: ; @_ZL15flash_attn_tileILi256ELi256ELi1ELi8ELb0EEvPKcS1_S1_S1_S1_PKiPfP15HIP_vector_typeIfLj2EEffffjfiS5_IjLj3EEiiiiiiiiiiiliiliiiiil
; %bb.0:
	s_clause 0x1
	s_load_b128 s[20:23], s[0:1], 0x5c
	s_load_b64 s[30:31], s[0:1], 0x80
	s_bfe_u32 s5, ttmp6, 0x40014
	s_lshr_b32 s4, ttmp7, 16
	s_add_co_i32 s5, s5, 1
	s_bfe_u32 s6, ttmp6, 0x40008
	s_mul_i32 s5, s4, s5
	s_getreg_b32 s27, hwreg(HW_REG_IB_STS2, 6, 4)
	s_add_co_i32 s6, s6, s5
	s_load_b64 s[36:37], s[0:1], 0xb8
	s_mov_b64 s[34:35], 0
	s_wait_kmcnt 0x0
	s_ashr_i32 s2, s23, 31
	s_delay_alu instid0(SALU_CYCLE_1) | instskip(NEXT) | instid1(SALU_CYCLE_1)
	s_lshr_b32 s2, s2, 29
	s_add_co_i32 s2, s23, s2
	s_delay_alu instid0(SALU_CYCLE_1) | instskip(NEXT) | instid1(SALU_CYCLE_1)
	s_ashr_i32 s2, s2, 3
	s_cvt_f32_u32 s3, s2
	s_sub_co_i32 s7, 0, s2
	s_delay_alu instid0(SALU_CYCLE_2) | instskip(SKIP_1) | instid1(TRANS32_DEP_1)
	v_rcp_iflag_f32_e32 v1, s3
	v_nop
	v_readfirstlane_b32 s3, v1
	s_mul_f32 s3, s3, 0x4f7ffffe
	s_delay_alu instid0(SALU_CYCLE_3) | instskip(NEXT) | instid1(SALU_CYCLE_3)
	s_cvt_u32_f32 s3, s3
	s_mul_i32 s7, s7, s3
	s_delay_alu instid0(SALU_CYCLE_1) | instskip(NEXT) | instid1(SALU_CYCLE_1)
	s_mul_hi_u32 s7, s3, s7
	s_add_co_i32 s3, s3, s7
	s_cmp_eq_u32 s27, 0
	s_cselect_b32 s4, s4, s6
	s_delay_alu instid0(SALU_CYCLE_1) | instskip(NEXT) | instid1(SALU_CYCLE_1)
	s_mul_hi_u32 s3, s4, s3
	s_mul_i32 s5, s3, s2
	s_add_co_i32 s6, s3, 1
	s_sub_co_i32 s5, s4, s5
	s_delay_alu instid0(SALU_CYCLE_1)
	s_sub_co_i32 s7, s5, s2
	s_cmp_ge_u32 s5, s2
	s_cselect_b32 s3, s6, s3
	s_cselect_b32 s5, s7, s5
	s_add_co_i32 s6, s3, 1
	s_cmp_ge_u32 s5, s2
	s_cselect_b32 s28, s6, s3
	s_abs_i32 s2, s31
	s_abs_i32 s7, s23
	s_cvt_f32_u32 s3, s2
	s_sub_co_i32 s5, 0, s2
	s_lshl_b32 s4, s4, 3
	s_mul_i32 s6, s28, s23
	v_rcp_iflag_f32_e32 v1, s3
	s_sub_co_i32 s33, s4, s6
	s_xor_b32 s4, s23, s31
	s_delay_alu instid0(SALU_CYCLE_1) | instskip(SKIP_1) | instid1(TRANS32_DEP_1)
	s_ashr_i32 s24, s4, 31
	v_nop
	v_readfirstlane_b32 s3, v1
	s_mul_f32 s3, s3, 0x4f7ffffe
	s_delay_alu instid0(SALU_CYCLE_3) | instskip(NEXT) | instid1(SALU_CYCLE_3)
	s_cvt_u32_f32 s3, s3
	s_mul_i32 s5, s5, s3
	s_delay_alu instid0(SALU_CYCLE_1) | instskip(NEXT) | instid1(SALU_CYCLE_1)
	s_mul_hi_u32 s5, s3, s5
	s_add_co_i32 s3, s3, s5
	s_delay_alu instid0(SALU_CYCLE_1) | instskip(NEXT) | instid1(SALU_CYCLE_1)
	s_mul_hi_u32 s3, s7, s3
	s_mul_i32 s5, s3, s2
	s_delay_alu instid0(SALU_CYCLE_1)
	s_sub_co_i32 s4, s7, s5
	s_add_co_i32 s5, s3, 1
	s_sub_co_i32 s6, s4, s2
	s_cmp_ge_u32 s4, s2
	s_cselect_b32 s3, s5, s3
	s_cselect_b32 s4, s6, s4
	s_add_co_i32 s5, s3, 1
	s_cmp_ge_u32 s4, s2
	s_cselect_b32 s2, s5, s3
	s_load_b512 s[4:19], s[0:1], 0x0
	s_xor_b32 s2, s2, s24
	s_mov_b32 s3, 0
	s_sub_co_i32 s29, s2, s24
	s_delay_alu instid0(SALU_CYCLE_1) | instskip(NEXT) | instid1(SALU_CYCLE_1)
	s_abs_i32 s40, s29
	s_cvt_f32_u32 s2, s40
	s_delay_alu instid0(SALU_CYCLE_3) | instskip(SKIP_1) | instid1(TRANS32_DEP_1)
	v_rcp_iflag_f32_e32 v1, s2
	v_nop
	v_readfirstlane_b32 s2, v1
	s_wait_kmcnt 0x0
	s_cmp_eq_u64 s[10:11], 0
	s_cbranch_scc1 .LBB9_2
; %bb.1:
	s_abs_i32 s26, s36
	s_abs_i32 s31, s28
	s_cvt_f32_u32 s24, s26
	s_sub_co_i32 s25, 0, s26
	s_delay_alu instid0(SALU_CYCLE_2) | instskip(SKIP_1) | instid1(TRANS32_DEP_1)
	v_rcp_iflag_f32_e32 v1, s24
	v_nop
	v_readfirstlane_b32 s24, v1
	s_mul_f32 s24, s24, 0x4f7ffffe
	s_delay_alu instid0(SALU_CYCLE_3) | instskip(NEXT) | instid1(SALU_CYCLE_3)
	s_cvt_u32_f32 s24, s24
	s_mul_i32 s25, s25, s24
	s_delay_alu instid0(SALU_CYCLE_1) | instskip(NEXT) | instid1(SALU_CYCLE_1)
	s_mul_hi_u32 s25, s24, s25
	s_add_co_i32 s24, s24, s25
	s_delay_alu instid0(SALU_CYCLE_1) | instskip(SKIP_2) | instid1(SALU_CYCLE_1)
	s_mul_hi_u32 s34, s31, s24
	s_load_b64 s[24:25], s[0:1], 0xc8
	s_mul_i32 s34, s34, s26
	s_sub_co_i32 s31, s31, s34
	s_ashr_i32 s34, s28, 31
	s_sub_co_i32 s35, s31, s26
	s_cmp_ge_u32 s31, s26
	s_cselect_b32 s31, s35, s31
	s_delay_alu instid0(SALU_CYCLE_1) | instskip(SKIP_2) | instid1(SALU_CYCLE_1)
	s_sub_co_i32 s35, s31, s26
	s_cmp_ge_u32 s31, s26
	s_cselect_b32 s26, s35, s31
	s_xor_b32 s26, s26, s34
	s_delay_alu instid0(SALU_CYCLE_1) | instskip(NEXT) | instid1(SALU_CYCLE_1)
	s_sub_co_i32 s34, s26, s34
	s_ashr_i32 s35, s34, 31
	s_wait_kmcnt 0x0
	s_mul_u64 s[24:25], s[24:25], s[34:35]
	s_delay_alu instid0(SALU_CYCLE_1)
	s_add_nc_u64 s[34:35], s[10:11], s[24:25]
.LBB9_2:
	s_bfe_u32 s10, ttmp6, 0x4000c
	v_dual_lshrrev_b32 v1, 10, v0 :: v_dual_mov_b32 v3, 0
	s_add_co_i32 s10, s10, 1
	s_and_b32 s11, ttmp6, 15
	s_mul_i32 s10, ttmp9, s10
	s_delay_alu instid0(VALU_DEP_1) | instskip(SKIP_4) | instid1(SALU_CYCLE_1)
	v_bfe_u32 v1, v1, 2, 8
	s_add_co_i32 s11, s11, s10
	s_cmp_eq_u32 s27, 0
	s_load_b96 s[24:26], s[0:1], 0x70
	s_cselect_b32 s10, ttmp9, s11
	v_dual_mov_b32 v21, v3 :: v_dual_add_nc_u32 v66, s10, v1
	v_dual_mov_b32 v9, v3 :: v_dual_mov_b32 v11, v3
	s_delay_alu instid0(VALU_DEP_2) | instskip(NEXT) | instid1(VALU_DEP_1)
	v_mul_hi_u32 v1, s20, v66
	v_add_nc_u32_e32 v1, v66, v1
	s_wait_kmcnt 0x0
	s_mul_i32 s20, s33, s25
	s_ashr_i32 s39, s25, 31
	s_mov_b32 s38, s25
	s_ashr_i32 s25, s24, 31
	v_lshrrev_b32_e32 v1, s21, v1
	s_lshr_b64 s[24:25], s[24:25], 2
	s_ashr_i32 s21, s20, 31
	s_delay_alu instid0(VALU_DEP_1) | instskip(NEXT) | instid1(VALU_DEP_1)
	v_mul_lo_u32 v1, v1, s22
	v_sub_nc_u32_e32 v2, v66, v1
	v_bfe_u32 v1, v0, 10, 10
	s_delay_alu instid0(VALU_DEP_1) | instskip(NEXT) | instid1(VALU_DEP_3)
	v_lshlrev_b32_e32 v26, 1, v1
	v_mul_u64_e32 v[4:5], s[24:25], v[2:3]
	s_lshr_b64 s[24:25], s[38:39], 2
	s_delay_alu instid0(VALU_DEP_2) | instskip(SKIP_1) | instid1(VALU_DEP_2)
	v_and_b32_e32 v20, 6, v26
	v_bitop3_b32 v8, v26, 7, 1 bitop3:0xc8
	v_mul_u64_e32 v[6:7], s[24:25], v[20:21]
	s_delay_alu instid0(VALU_DEP_2)
	v_mul_u64_e32 v[8:9], s[24:25], v[8:9]
	s_mul_i32 s24, s28, s26
	v_and_b32_e32 v21, 0x3ff, v0
	s_ashr_i32 s25, s24, 31
	s_cmp_eq_u64 s[14:15], 0
	s_add_nc_u64 s[4:5], s[4:5], s[24:25]
	s_delay_alu instid0(SALU_CYCLE_1) | instskip(SKIP_3) | instid1(VALU_DEP_1)
	s_add_nc_u64 s[4:5], s[4:5], s[20:21]
	v_dual_lshlrev_b32 v10, 4, v21 :: v_dual_lshlrev_b32 v68, 3, v21
	v_lshl_add_u64 v[4:5], v[4:5], 2, s[4:5]
	s_load_b32 s4, s[0:1], 0x40
	v_add_nc_u64_e32 v[10:11], v[4:5], v[10:11]
	s_delay_alu instid0(VALU_DEP_1)
	v_lshl_add_u64 v[22:23], v[6:7], 2, v[10:11]
	v_lshl_add_u64 v[24:25], v[8:9], 2, v[10:11]
	s_clause 0x3
	global_load_b128 v[4:7], v[22:23], off
	global_load_b128 v[8:11], v[22:23], off offset:512
	global_load_b128 v[12:15], v[24:25], off
	global_load_b128 v[16:19], v[24:25], off offset:512
	s_wait_xcnt 0x2
	v_or_b32_e32 v22, 1, v26
	v_add_nc_u32_e32 v3, 0x4200, v68
	s_wait_loadcnt 0x2
	s_wait_kmcnt 0x0
	v_fma_mixlo_f16 v8, s4, v8, 0
	v_fma_mixlo_f16 v4, s4, v4, 0
	;; [unrolled: 1-line block ×5, first 2 shown]
	v_lshlrev_b32_e32 v0, 10, v1
	v_fma_mixlo_f16 v9, s4, v9, 0
	v_fma_mixlo_f16 v10, s4, v10, 0
	;; [unrolled: 1-line block ×3, first 2 shown]
	s_wait_loadcnt 0x1
	v_fma_mixlo_f16 v12, s4, v12, 0
	v_fma_mixlo_f16 v13, s4, v13, 0
	s_wait_loadcnt 0x0
	v_fma_mixlo_f16 v16, s4, v16, 0
	v_fma_mixlo_f16 v17, s4, v17, 0
	v_lshlrev_b32_e32 v5, 16, v5
	v_and_b32_e32 v4, 0xffff, v4
	v_dual_lshlrev_b32 v7, 16, v7 :: v_dual_add_nc_u32 v23, v3, v0
	v_and_b32_e32 v6, 0xffff, v6
	v_dual_lshlrev_b32 v9, 16, v9 :: v_dual_lshlrev_b32 v11, 16, v11
	v_and_b32_e32 v8, 0xffff, v8
	v_fma_mixlo_f16 v14, s4, v14, 0
	v_fma_mixlo_f16 v15, s4, v15, 0
	;; [unrolled: 1-line block ×4, first 2 shown]
	v_and_b32_e32 v10, 0xffff, v10
	s_delay_alu instid0(VALU_DEP_4) | instskip(SKIP_1) | instid1(VALU_DEP_4)
	v_dual_lshlrev_b32 v13, 16, v13 :: v_dual_lshlrev_b32 v15, 16, v15
	v_and_b32_e32 v12, 0xffff, v12
	v_dual_lshlrev_b32 v17, 16, v17 :: v_dual_lshlrev_b32 v19, 16, v19
	v_and_b32_e32 v16, 0xffff, v16
	v_or_b32_e32 v4, v5, v4
	v_or3_b32 v5, v7, v6, 0
	v_or_b32_e32 v6, v9, v8
	v_and_b32_e32 v14, 0xffff, v14
	v_and_b32_e32 v18, 0xffff, v18
	v_or3_b32 v7, v11, v10, 0
	v_or_b32_e32 v8, v13, v12
	v_or_b32_e32 v10, v17, v16
	v_or3_b32 v4, 0, 0, v4
	v_or3_b32 v6, 0, 0, v6
	v_lshl_add_u32 v3, v22, 9, v3
	v_or3_b32 v9, v15, v14, 0
	v_or3_b32 v11, v19, v18, 0
	v_or3_b32 v8, 0, 0, v8
	v_or3_b32 v10, 0, 0, v10
	ds_store_2addr_b64 v23, v[4:5], v[6:7] offset1:32
	ds_store_2addr_b64 v3, v[8:9], v[10:11] offset1:32
	s_wait_dscnt 0x0
	s_barrier_signal -1
	s_barrier_wait -1
	s_cbranch_scc1 .LBB9_4
; %bb.3:
	s_load_b32 s4, s[0:1], 0xd0
	s_wait_kmcnt 0x0
	s_mul_i32 s4, s4, s28
	s_delay_alu instid0(SALU_CYCLE_1)
	s_add_co_i32 s4, s4, s10
	s_load_b32 s30, s[14:15], s4 offset:0x0 scale_offset
.LBB9_4:
	s_wait_xcnt 0x0
	s_bfe_u32 s4, ttmp6, 0x40010
	s_and_b32 s5, ttmp7, 0xffff
	s_add_co_i32 s4, s4, 1
	s_bfe_u32 s10, ttmp6, 0x40004
	s_mul_i32 s4, s5, s4
	v_lshlrev_b32_e32 v67, 2, v21
	s_add_co_i32 s10, s10, s4
	s_cmp_eq_u32 s27, 0
	v_mbcnt_lo_u32_b32 v69, -1, 0
	s_cselect_b32 s31, s5, s10
	s_mov_b32 s5, 0
	s_lshl_b32 s4, s31, 5
	s_wait_kmcnt 0x0
	s_cmp_lt_i32 s4, s30
	s_cbranch_scc1 .LBB9_7
; %bb.5:
	v_mbcnt_lo_u32_b32 v3, -1, 0
	s_delay_alu instid0(VALU_DEP_1)
	v_dual_mov_b32 v71, 32 :: v_dual_bitop2_b32 v80, 16, v3 bitop3:0x14
	v_xor_b32_e32 v77, 8, v3
	v_xor_b32_e32 v76, 4, v3
	;; [unrolled: 1-line block ×4, first 2 shown]
	s_and_not1_b32 vcc_lo, exec_lo, s5
	s_cbranch_vccz .LBB9_8
; %bb.6:
	v_dual_mov_b32 v39, 0 :: v_dual_mov_b32 v105, 0
	v_dual_mov_b32 v59, 0xfeffffff :: v_dual_mov_b32 v58, 0xfeffffff
	s_delay_alu instid0(VALU_DEP_2)
	v_dual_mov_b32 v108, 0 :: v_dual_mov_b32 v38, v39
	v_dual_mov_b32 v107, 0 :: v_dual_mov_b32 v106, 0
	;; [unrolled: 1-line block ×4, first 2 shown]
	s_branch .LBB9_11
.LBB9_7:
                                        ; implicit-def: $vgpr3
                                        ; implicit-def: $vgpr71
                                        ; implicit-def: $vgpr80
                                        ; implicit-def: $vgpr77
                                        ; implicit-def: $vgpr76
                                        ; implicit-def: $vgpr74
                                        ; implicit-def: $vgpr72
.LBB9_8:
	s_clause 0x1
	s_load_b64 s[20:21], s[0:1], 0x8c
	s_load_b128 s[24:27], s[0:1], 0x98
	s_mul_f32 s2, s2, 0x4f7ffffe
	s_sub_co_i32 s5, 0, s40
	s_mov_b32 s11, s3
	s_ashr_i32 s14, s33, 31
	s_cvt_u32_f32 s10, s2
	s_abs_i32 s2, s33
	s_ashr_i32 s15, s29, 31
	s_ashr_i32 s29, s28, 31
	s_mul_i32 s5, s5, s10
	s_xor_b32 s15, s14, s15
	s_mul_hi_u32 s5, s10, s5
	s_load_b64 s[38:39], s[0:1], 0xa8
	s_add_co_i32 s10, s10, s5
	s_ashr_i32 s5, s37, 1
	s_mul_u64 s[10:11], s[2:3], s[10:11]
	v_mad_u32 v84, v2, s5, v21
	s_mul_i32 s3, s11, s40
	v_lshl_add_u32 v85, v1, 7, 0x5200
	s_wait_kmcnt 0x0
	s_ashr_i32 s14, s20, 2
	s_sub_co_i32 s2, s2, s3
	v_mul_lo_u32 v22, s14, v1
	s_ashr_i32 s10, s26, 2
	s_add_co_i32 s3, s11, 1
	s_sub_co_i32 s36, s2, s40
	s_cmp_ge_u32 s2, s40
	v_mul_lo_u32 v30, s10, v1
	s_cselect_b32 s3, s3, s11
	s_cselect_b32 s2, s36, s2
	s_add_co_i32 s11, s3, 1
	s_cmp_ge_u32 s2, s40
	v_mul_u32_u24_e32 v81, 0x210, v21
	s_cselect_b32 s11, s11, s3
	s_and_b32 s36, s20, -4
	s_delay_alu instid0(SALU_CYCLE_1)
	v_dual_lshlrev_b32 v24, 2, v67 :: v_dual_add_nc_u32 v26, s36, v22
	s_mul_u64 s[2:3], s[24:25], s[28:29]
	s_mul_u64 s[24:25], s[38:39], s[28:29]
	s_add_nc_u64 s[2:3], s[6:7], s[2:3]
	s_xor_b32 s6, s11, s15
	v_add_nc_u32_e32 v28, s36, v26
	s_and_b32 s11, s26, -4
	v_ashrrev_i32_e32 v23, 31, v22
	v_mad_u32_u24 v70, 0x210, v1, v24
	v_lshl_add_u32 v83, v1, 9, v24
	v_dual_mov_b32 v25, 0 :: v_dual_add_nc_u32 v32, s36, v28
	s_sub_co_i32 s7, s6, s15
	s_delay_alu instid0(VALU_DEP_3) | instskip(SKIP_1) | instid1(VALU_DEP_2)
	v_add_nc_u32_e32 v78, 0x3180, v70
	s_mul_i32 s6, s7, s21
	v_add_nc_u32_e32 v34, s36, v32
	s_mul_i32 s20, s7, s27
	v_dual_mov_b32 v38, v25 :: v_dual_add_nc_u32 v73, 0x2100, v70
	v_dual_mov_b32 v102, v25 :: v_dual_add_nc_u32 v75, 0x2940, v70
	s_delay_alu instid0(VALU_DEP_3) | instskip(SKIP_3) | instid1(VALU_DEP_4)
	v_add_nc_u32_e32 v40, s36, v34
	v_add_nc_u32_e32 v36, s11, v30
	v_dual_mov_b32 v104, v25 :: v_dual_add_nc_u32 v79, 0x39c0, v70
	v_dual_ashrrev_i32 v27, 31, v26 :: v_dual_ashrrev_i32 v29, 31, v28
	v_add_nc_u32_e32 v44, s36, v40
	s_delay_alu instid0(VALU_DEP_4) | instskip(SKIP_2) | instid1(VALU_DEP_3)
	v_add_nc_u32_e32 v42, s11, v36
	v_dual_ashrrev_i32 v33, 31, v32 :: v_dual_ashrrev_i32 v35, 31, v34
	v_dual_mov_b32 v39, v25 :: v_dual_add_nc_u32 v82, 0x4200, v0
	v_dual_add_nc_u32 v46, s11, v42 :: v_dual_add_nc_u32 v48, s36, v44
	v_ashrrev_i32_e32 v41, 31, v40
	v_dual_ashrrev_i32 v45, 31, v44 :: v_dual_ashrrev_i32 v31, 31, v30
	s_delay_alu instid0(VALU_DEP_3) | instskip(SKIP_2) | instid1(VALU_DEP_3)
	v_dual_add_nc_u32 v50, s11, v46 :: v_dual_ashrrev_i32 v49, 31, v48
	v_dual_mov_b32 v71, 32 :: v_dual_add_nc_u32 v86, 0x800, v83
	v_ashrrev_i32_e32 v47, 31, v46
	v_dual_add_nc_u32 v52, s11, v50 :: v_dual_ashrrev_i32 v37, 31, v36
	v_ashrrev_i32_e32 v43, 31, v42
	v_dual_mov_b32 v106, v25 :: v_dual_add_nc_u32 v87, 0x1000, v83
	s_delay_alu instid0(VALU_DEP_3) | instskip(SKIP_2) | instid1(VALU_DEP_3)
	v_add_nc_u32_e32 v54, s11, v52
	v_dual_mov_b32 v103, v25 :: v_dual_add_nc_u32 v88, 0x1800, v83
	v_dual_mov_b32 v108, v25 :: v_dual_add_nc_u32 v89, 0x2000, v83
	v_dual_add_nc_u32 v56, s11, v54 :: v_dual_ashrrev_i32 v55, 31, v54
	v_dual_ashrrev_i32 v51, 31, v50 :: v_dual_ashrrev_i32 v53, 31, v52
	v_dual_mov_b32 v101, v25 :: v_dual_add_nc_u32 v90, 0x2800, v83
	s_delay_alu instid0(VALU_DEP_3)
	v_dual_mov_b32 v58, 0xfeffffff :: v_dual_ashrrev_i32 v57, 31, v56
	v_mov_b32_e32 v59, 0xfeffffff
	v_add_nc_u32_e32 v91, 0x3000, v83
	v_dual_mov_b32 v107, v25 :: v_dual_add_nc_u32 v92, 0x3800, v83
	v_dual_add_nc_u32 v93, v85, v67 :: v_dual_bitop2_b32 v80, 16, v69 bitop3:0x14
	v_dual_mov_b32 v105, v25 :: v_dual_bitop2_b32 v77, 8, v69 bitop3:0x14
	v_xor_b32_e32 v76, 4, v69
	v_xor_b32_e32 v74, 2, v69
	;; [unrolled: 1-line block ×3, first 2 shown]
	v_add_nc_u32_e32 v94, 0x800, v68
	v_add_nc_u32_e32 v95, 0x1000, v68
	;; [unrolled: 1-line block ×7, first 2 shown]
	s_add_nc_u64 s[8:9], s[8:9], s[24:25]
	s_ashr_i32 s7, s6, 31
	s_ashr_i32 s21, s20, 31
	s_add_nc_u64 s[6:7], s[2:3], s[6:7]
	s_add_nc_u64 s[8:9], s[8:9], s[20:21]
	s_ashr_i32 s15, s14, 31
	s_ashr_i32 s11, s10, 31
	s_add_nc_u64 s[20:21], s[0:1], 0xd0
.LBB9_9:                                ; =>This Inner Loop Header: Depth=1
	v_cmp_gt_i32_e32 vcc_lo, 32, v80
	v_mov_b32_e32 v19, v58
	s_ashr_i32 s5, s4, 31
	v_dual_mov_b32 v111, 0 :: v_dual_mov_b32 v112, 0
	v_cndmask_b32_e32 v0, v69, v80, vcc_lo
	v_cmp_gt_i32_e32 vcc_lo, 32, v77
	s_mul_u64 s[2:3], s[4:5], s[14:15]
	s_mul_u64 s[24:25], s[4:5], s[10:11]
	s_lshl_b64 s[2:3], s[2:3], 2
	s_lshl_b64 s[24:25], s[24:25], 2
	v_cndmask_b32_e32 v1, v69, v77, vcc_lo
	v_cmp_gt_i32_e32 vcc_lo, 32, v76
	s_add_nc_u64 s[26:27], s[6:7], s[2:3]
	s_add_nc_u64 s[2:3], s[8:9], s[24:25]
	v_lshl_add_u64 v[8:9], v[28:29], 2, s[26:27]
	v_lshl_add_u64 v[10:11], v[32:33], 2, s[26:27]
	v_cndmask_b32_e32 v2, v69, v76, vcc_lo
	v_cmp_gt_i32_e32 vcc_lo, 32, v74
	v_dual_lshlrev_b32 v65, 2, v0 :: v_dual_lshlrev_b32 v64, 2, v1
	v_lshl_add_u64 v[0:1], v[22:23], 2, s[26:27]
	v_lshl_add_u64 v[12:13], v[34:35], 2, s[26:27]
	v_cndmask_b32_e32 v3, v69, v74, vcc_lo
	v_cmp_gt_i32_e32 vcc_lo, 32, v72
	v_lshl_add_u64 v[14:15], v[40:41], 2, s[26:27]
	v_add_nc_u64_e32 v[0:1], v[0:1], v[24:25]
	v_lshl_add_u64 v[16:17], v[44:45], 2, s[26:27]
	v_lshl_add_u64 v[60:61], v[48:49], 2, s[26:27]
	v_dual_cndmask_b32 v4, v69, v72 :: v_dual_lshlrev_b32 v63, 2, v2
	v_lshlrev_b32_e32 v62, 2, v3
	v_lshl_add_u64 v[2:3], v[26:27], 2, s[26:27]
	v_dual_mov_b32 v18, v59 :: v_dual_add_nc_u32 v59, s4, v84
	s_delay_alu instid0(VALU_DEP_4) | instskip(NEXT) | instid1(VALU_DEP_3)
	v_dual_max_num_f32 v109, v19, v19 :: v_dual_lshlrev_b32 v58, 2, v4
	v_add_nc_u64_e32 v[4:5], v[2:3], v[24:25]
	s_clause 0x1
	global_load_b128 v[0:3], v[0:1], off
	global_load_b128 v[4:7], v[4:5], off
	v_max_num_f32_e32 v110, v18, v18
	s_wait_loadcnt 0x1
	ds_store_b128 v70, v[0:3]
	v_add_nc_u64_e32 v[0:1], v[8:9], v[24:25]
	v_add_nc_u64_e32 v[8:9], v[10:11], v[24:25]
	v_add_nc_u32_e32 v2, 0x840, v70
	v_lshl_add_u64 v[10:11], v[36:37], 2, s[2:3]
	s_wait_loadcnt 0x0
	ds_store_b128 v2, v[4:7]
	s_clause 0x1
	global_load_b128 v[0:3], v[0:1], off
	global_load_b128 v[4:7], v[8:9], off
	s_wait_xcnt 0x0
	v_add_nc_u32_e32 v8, 0x1080, v70
	v_add_nc_u64_e32 v[116:117], v[10:11], v[24:25]
	s_wait_loadcnt 0x1
	ds_store_b128 v8, v[0:3]
	v_add_nc_u64_e32 v[0:1], v[12:13], v[24:25]
	v_add_nc_u64_e32 v[12:13], v[14:15], v[24:25]
	v_add_nc_u32_e32 v2, 0x18c0, v70
	v_add_nc_u64_e32 v[14:15], v[16:17], v[24:25]
	v_add_nc_u64_e32 v[16:17], v[60:61], v[24:25]
	v_lshl_add_u64 v[8:9], v[30:31], 2, s[2:3]
	v_lshl_add_u64 v[60:61], v[56:57], 2, s[2:3]
	s_wait_loadcnt 0x0
	ds_store_b128 v2, v[4:7]
	s_clause 0x1
	global_load_b128 v[0:3], v[0:1], off
	global_load_b128 v[4:7], v[12:13], off
	v_add_nc_u64_e32 v[114:115], v[8:9], v[24:25]
	v_add_nc_u64_e32 v[60:61], v[60:61], v[24:25]
	s_wait_loadcnt 0x1
	ds_store_b128 v73, v[0:3]
	s_clause 0x1
	global_load_b128 v[0:3], v[14:15], off
	global_load_b128 v[12:15], v[16:17], off
	s_wait_loadcnt 0x2
	ds_store_b128 v75, v[4:7]
	s_wait_loadcnt 0x1
	ds_store_b128 v78, v[0:3]
	;; [unrolled: 2-line block ×3, first 2 shown]
	s_wait_dscnt 0x0
	s_barrier_signal -1
	s_barrier_wait -1
	ds_load_b128 v[0:3], v81
	ds_load_b128 v[4:7], v82
	ds_load_b128 v[12:15], v82 offset:512
	s_wait_dscnt 0x1
	;;#ASMSTART
	v_dot2_f32_f16 v111, v0, v4, v111
	;;#ASMEND
	;;#ASMSTART
	v_dot2_f32_f16 v111, v1, v5, v111
	;;#ASMEND
	;;#ASMSTART
	v_dot2_f32_f16 v111, v2, v6, v111
	;;#ASMEND
	;;#ASMSTART
	v_dot2_f32_f16 v111, v3, v7, v111
	;;#ASMEND
	s_wait_dscnt 0x0
	;;#ASMSTART
	v_dot2_f32_f16 v112, v0, v12, v112
	;;#ASMEND
	;;#ASMSTART
	v_dot2_f32_f16 v112, v1, v13, v112
	;;#ASMEND
	;;#ASMSTART
	v_dot2_f32_f16 v112, v2, v14, v112
	;;#ASMEND
	;;#ASMSTART
	v_dot2_f32_f16 v112, v3, v15, v112
	;;#ASMEND
	ds_load_b128 v[0:3], v81 offset:16
	ds_load_b128 v[4:7], v82 offset:16
	ds_load_b128 v[12:15], v82 offset:528
	s_wait_dscnt 0x1
	;;#ASMSTART
	v_dot2_f32_f16 v111, v0, v4, v111
	;;#ASMEND
	;;#ASMSTART
	v_dot2_f32_f16 v111, v1, v5, v111
	;;#ASMEND
	;;#ASMSTART
	v_dot2_f32_f16 v111, v2, v6, v111
	;;#ASMEND
	;;#ASMSTART
	v_dot2_f32_f16 v111, v3, v7, v111
	;;#ASMEND
	s_wait_dscnt 0x0
	;;#ASMSTART
	v_dot2_f32_f16 v112, v0, v12, v112
	;;#ASMEND
	;;#ASMSTART
	v_dot2_f32_f16 v112, v1, v13, v112
	;;#ASMEND
	;;#ASMSTART
	v_dot2_f32_f16 v112, v2, v14, v112
	;;#ASMEND
	;;#ASMSTART
	v_dot2_f32_f16 v112, v3, v15, v112
	;;#ASMEND
	ds_load_b128 v[0:3], v81 offset:32
	ds_load_b128 v[4:7], v82 offset:32
	ds_load_b128 v[12:15], v82 offset:544
	s_wait_dscnt 0x1
	;;#ASMSTART
	v_dot2_f32_f16 v111, v0, v4, v111
	;;#ASMEND
	;;#ASMSTART
	v_dot2_f32_f16 v111, v1, v5, v111
	;;#ASMEND
	;;#ASMSTART
	v_dot2_f32_f16 v111, v2, v6, v111
	;;#ASMEND
	;;#ASMSTART
	v_dot2_f32_f16 v111, v3, v7, v111
	;;#ASMEND
	s_wait_dscnt 0x0
	;;#ASMSTART
	v_dot2_f32_f16 v112, v0, v12, v112
	;;#ASMEND
	;;#ASMSTART
	v_dot2_f32_f16 v112, v1, v13, v112
	;;#ASMEND
	;;#ASMSTART
	v_dot2_f32_f16 v112, v2, v14, v112
	;;#ASMEND
	;;#ASMSTART
	v_dot2_f32_f16 v112, v3, v15, v112
	;;#ASMEND
	ds_load_b128 v[0:3], v81 offset:48
	ds_load_b128 v[4:7], v82 offset:48
	ds_load_b128 v[12:15], v82 offset:560
	s_wait_dscnt 0x1
	;;#ASMSTART
	v_dot2_f32_f16 v111, v0, v4, v111
	;;#ASMEND
	;;#ASMSTART
	v_dot2_f32_f16 v111, v1, v5, v111
	;;#ASMEND
	;;#ASMSTART
	v_dot2_f32_f16 v111, v2, v6, v111
	;;#ASMEND
	;;#ASMSTART
	v_dot2_f32_f16 v111, v3, v7, v111
	;;#ASMEND
	s_wait_dscnt 0x0
	;;#ASMSTART
	v_dot2_f32_f16 v112, v0, v12, v112
	;;#ASMEND
	;;#ASMSTART
	v_dot2_f32_f16 v112, v1, v13, v112
	;;#ASMEND
	;;#ASMSTART
	v_dot2_f32_f16 v112, v2, v14, v112
	;;#ASMEND
	;;#ASMSTART
	v_dot2_f32_f16 v112, v3, v15, v112
	;;#ASMEND
	ds_load_b128 v[0:3], v81 offset:64
	ds_load_b128 v[4:7], v82 offset:64
	ds_load_b128 v[12:15], v82 offset:576
	s_wait_dscnt 0x1
	;;#ASMSTART
	v_dot2_f32_f16 v111, v0, v4, v111
	;;#ASMEND
	;;#ASMSTART
	v_dot2_f32_f16 v111, v1, v5, v111
	;;#ASMEND
	;;#ASMSTART
	v_dot2_f32_f16 v111, v2, v6, v111
	;;#ASMEND
	;;#ASMSTART
	v_dot2_f32_f16 v111, v3, v7, v111
	;;#ASMEND
	s_wait_dscnt 0x0
	;;#ASMSTART
	v_dot2_f32_f16 v112, v0, v12, v112
	;;#ASMEND
	;;#ASMSTART
	v_dot2_f32_f16 v112, v1, v13, v112
	;;#ASMEND
	;;#ASMSTART
	v_dot2_f32_f16 v112, v2, v14, v112
	;;#ASMEND
	;;#ASMSTART
	v_dot2_f32_f16 v112, v3, v15, v112
	;;#ASMEND
	ds_load_b128 v[0:3], v81 offset:80
	ds_load_b128 v[4:7], v82 offset:80
	ds_load_b128 v[12:15], v82 offset:592
	s_wait_dscnt 0x1
	;;#ASMSTART
	v_dot2_f32_f16 v111, v0, v4, v111
	;;#ASMEND
	;;#ASMSTART
	v_dot2_f32_f16 v111, v1, v5, v111
	;;#ASMEND
	;;#ASMSTART
	v_dot2_f32_f16 v111, v2, v6, v111
	;;#ASMEND
	;;#ASMSTART
	v_dot2_f32_f16 v111, v3, v7, v111
	;;#ASMEND
	s_wait_dscnt 0x0
	;;#ASMSTART
	v_dot2_f32_f16 v112, v0, v12, v112
	;;#ASMEND
	;;#ASMSTART
	v_dot2_f32_f16 v112, v1, v13, v112
	;;#ASMEND
	;;#ASMSTART
	v_dot2_f32_f16 v112, v2, v14, v112
	;;#ASMEND
	;;#ASMSTART
	v_dot2_f32_f16 v112, v3, v15, v112
	;;#ASMEND
	ds_load_b128 v[0:3], v81 offset:96
	ds_load_b128 v[4:7], v82 offset:96
	ds_load_b128 v[12:15], v82 offset:608
	s_wait_dscnt 0x1
	;;#ASMSTART
	v_dot2_f32_f16 v111, v0, v4, v111
	;;#ASMEND
	;;#ASMSTART
	v_dot2_f32_f16 v111, v1, v5, v111
	;;#ASMEND
	;;#ASMSTART
	v_dot2_f32_f16 v111, v2, v6, v111
	;;#ASMEND
	;;#ASMSTART
	v_dot2_f32_f16 v111, v3, v7, v111
	;;#ASMEND
	s_wait_dscnt 0x0
	;;#ASMSTART
	v_dot2_f32_f16 v112, v0, v12, v112
	;;#ASMEND
	;;#ASMSTART
	v_dot2_f32_f16 v112, v1, v13, v112
	;;#ASMEND
	;;#ASMSTART
	v_dot2_f32_f16 v112, v2, v14, v112
	;;#ASMEND
	;;#ASMSTART
	v_dot2_f32_f16 v112, v3, v15, v112
	;;#ASMEND
	ds_load_b128 v[0:3], v81 offset:112
	ds_load_b128 v[4:7], v82 offset:112
	ds_load_b128 v[12:15], v82 offset:624
	s_wait_dscnt 0x1
	;;#ASMSTART
	v_dot2_f32_f16 v111, v0, v4, v111
	;;#ASMEND
	;;#ASMSTART
	v_dot2_f32_f16 v111, v1, v5, v111
	;;#ASMEND
	;;#ASMSTART
	v_dot2_f32_f16 v111, v2, v6, v111
	;;#ASMEND
	;;#ASMSTART
	v_dot2_f32_f16 v111, v3, v7, v111
	;;#ASMEND
	s_wait_dscnt 0x0
	;;#ASMSTART
	v_dot2_f32_f16 v112, v0, v12, v112
	;;#ASMEND
	;;#ASMSTART
	v_dot2_f32_f16 v112, v1, v13, v112
	;;#ASMEND
	;;#ASMSTART
	v_dot2_f32_f16 v112, v2, v14, v112
	;;#ASMEND
	;;#ASMSTART
	v_dot2_f32_f16 v112, v3, v15, v112
	;;#ASMEND
	ds_load_b128 v[0:3], v81 offset:128
	ds_load_b128 v[4:7], v82 offset:128
	ds_load_b128 v[12:15], v82 offset:640
	s_wait_dscnt 0x1
	;;#ASMSTART
	v_dot2_f32_f16 v111, v0, v4, v111
	;;#ASMEND
	;;#ASMSTART
	v_dot2_f32_f16 v111, v1, v5, v111
	;;#ASMEND
	;;#ASMSTART
	v_dot2_f32_f16 v111, v2, v6, v111
	;;#ASMEND
	;;#ASMSTART
	v_dot2_f32_f16 v111, v3, v7, v111
	;;#ASMEND
	s_wait_dscnt 0x0
	;;#ASMSTART
	v_dot2_f32_f16 v112, v0, v12, v112
	;;#ASMEND
	;;#ASMSTART
	v_dot2_f32_f16 v112, v1, v13, v112
	;;#ASMEND
	;;#ASMSTART
	v_dot2_f32_f16 v112, v2, v14, v112
	;;#ASMEND
	;;#ASMSTART
	v_dot2_f32_f16 v112, v3, v15, v112
	;;#ASMEND
	ds_load_b128 v[0:3], v81 offset:144
	ds_load_b128 v[4:7], v82 offset:144
	ds_load_b128 v[12:15], v82 offset:656
	s_wait_dscnt 0x1
	;;#ASMSTART
	v_dot2_f32_f16 v111, v0, v4, v111
	;;#ASMEND
	;;#ASMSTART
	v_dot2_f32_f16 v111, v1, v5, v111
	;;#ASMEND
	;;#ASMSTART
	v_dot2_f32_f16 v111, v2, v6, v111
	;;#ASMEND
	;;#ASMSTART
	v_dot2_f32_f16 v111, v3, v7, v111
	;;#ASMEND
	s_wait_dscnt 0x0
	;;#ASMSTART
	v_dot2_f32_f16 v112, v0, v12, v112
	;;#ASMEND
	;;#ASMSTART
	v_dot2_f32_f16 v112, v1, v13, v112
	;;#ASMEND
	;;#ASMSTART
	v_dot2_f32_f16 v112, v2, v14, v112
	;;#ASMEND
	;;#ASMSTART
	v_dot2_f32_f16 v112, v3, v15, v112
	;;#ASMEND
	ds_load_b128 v[0:3], v81 offset:160
	ds_load_b128 v[4:7], v82 offset:160
	ds_load_b128 v[12:15], v82 offset:672
	s_wait_dscnt 0x1
	;;#ASMSTART
	v_dot2_f32_f16 v111, v0, v4, v111
	;;#ASMEND
	;;#ASMSTART
	v_dot2_f32_f16 v111, v1, v5, v111
	;;#ASMEND
	;;#ASMSTART
	v_dot2_f32_f16 v111, v2, v6, v111
	;;#ASMEND
	;;#ASMSTART
	v_dot2_f32_f16 v111, v3, v7, v111
	;;#ASMEND
	s_wait_dscnt 0x0
	;;#ASMSTART
	v_dot2_f32_f16 v112, v0, v12, v112
	;;#ASMEND
	;;#ASMSTART
	v_dot2_f32_f16 v112, v1, v13, v112
	;;#ASMEND
	;;#ASMSTART
	v_dot2_f32_f16 v112, v2, v14, v112
	;;#ASMEND
	;;#ASMSTART
	v_dot2_f32_f16 v112, v3, v15, v112
	;;#ASMEND
	ds_load_b128 v[0:3], v81 offset:176
	ds_load_b128 v[4:7], v82 offset:176
	ds_load_b128 v[12:15], v82 offset:688
	s_wait_dscnt 0x1
	;;#ASMSTART
	v_dot2_f32_f16 v111, v0, v4, v111
	;;#ASMEND
	;;#ASMSTART
	v_dot2_f32_f16 v111, v1, v5, v111
	;;#ASMEND
	;;#ASMSTART
	v_dot2_f32_f16 v111, v2, v6, v111
	;;#ASMEND
	;;#ASMSTART
	v_dot2_f32_f16 v111, v3, v7, v111
	;;#ASMEND
	s_wait_dscnt 0x0
	;;#ASMSTART
	v_dot2_f32_f16 v112, v0, v12, v112
	;;#ASMEND
	;;#ASMSTART
	v_dot2_f32_f16 v112, v1, v13, v112
	;;#ASMEND
	;;#ASMSTART
	v_dot2_f32_f16 v112, v2, v14, v112
	;;#ASMEND
	;;#ASMSTART
	v_dot2_f32_f16 v112, v3, v15, v112
	;;#ASMEND
	ds_load_b128 v[0:3], v81 offset:192
	ds_load_b128 v[4:7], v82 offset:192
	ds_load_b128 v[12:15], v82 offset:704
	s_wait_dscnt 0x1
	;;#ASMSTART
	v_dot2_f32_f16 v111, v0, v4, v111
	;;#ASMEND
	;;#ASMSTART
	v_dot2_f32_f16 v111, v1, v5, v111
	;;#ASMEND
	;;#ASMSTART
	v_dot2_f32_f16 v111, v2, v6, v111
	;;#ASMEND
	;;#ASMSTART
	v_dot2_f32_f16 v111, v3, v7, v111
	;;#ASMEND
	s_wait_dscnt 0x0
	;;#ASMSTART
	v_dot2_f32_f16 v112, v0, v12, v112
	;;#ASMEND
	;;#ASMSTART
	v_dot2_f32_f16 v112, v1, v13, v112
	;;#ASMEND
	;;#ASMSTART
	v_dot2_f32_f16 v112, v2, v14, v112
	;;#ASMEND
	;;#ASMSTART
	v_dot2_f32_f16 v112, v3, v15, v112
	;;#ASMEND
	ds_load_b128 v[0:3], v81 offset:208
	ds_load_b128 v[4:7], v82 offset:208
	ds_load_b128 v[12:15], v82 offset:720
	s_wait_dscnt 0x1
	;;#ASMSTART
	v_dot2_f32_f16 v111, v0, v4, v111
	;;#ASMEND
	;;#ASMSTART
	v_dot2_f32_f16 v111, v1, v5, v111
	;;#ASMEND
	;;#ASMSTART
	v_dot2_f32_f16 v111, v2, v6, v111
	;;#ASMEND
	;;#ASMSTART
	v_dot2_f32_f16 v111, v3, v7, v111
	;;#ASMEND
	s_wait_dscnt 0x0
	;;#ASMSTART
	v_dot2_f32_f16 v112, v0, v12, v112
	;;#ASMEND
	;;#ASMSTART
	v_dot2_f32_f16 v112, v1, v13, v112
	;;#ASMEND
	;;#ASMSTART
	v_dot2_f32_f16 v112, v2, v14, v112
	;;#ASMEND
	;;#ASMSTART
	v_dot2_f32_f16 v112, v3, v15, v112
	;;#ASMEND
	ds_load_b128 v[0:3], v81 offset:224
	ds_load_b128 v[4:7], v82 offset:224
	ds_load_b128 v[12:15], v82 offset:736
	s_wait_dscnt 0x1
	;;#ASMSTART
	v_dot2_f32_f16 v111, v0, v4, v111
	;;#ASMEND
	;;#ASMSTART
	v_dot2_f32_f16 v111, v1, v5, v111
	;;#ASMEND
	;;#ASMSTART
	v_dot2_f32_f16 v111, v2, v6, v111
	;;#ASMEND
	;;#ASMSTART
	v_dot2_f32_f16 v111, v3, v7, v111
	;;#ASMEND
	s_wait_dscnt 0x0
	;;#ASMSTART
	v_dot2_f32_f16 v112, v0, v12, v112
	;;#ASMEND
	;;#ASMSTART
	v_dot2_f32_f16 v112, v1, v13, v112
	;;#ASMEND
	;;#ASMSTART
	v_dot2_f32_f16 v112, v2, v14, v112
	;;#ASMEND
	;;#ASMSTART
	v_dot2_f32_f16 v112, v3, v15, v112
	;;#ASMEND
	ds_load_b128 v[0:3], v81 offset:240
	ds_load_b128 v[4:7], v82 offset:240
	ds_load_b128 v[12:15], v82 offset:752
	s_wait_dscnt 0x1
	;;#ASMSTART
	v_dot2_f32_f16 v111, v0, v4, v111
	;;#ASMEND
	;;#ASMSTART
	v_dot2_f32_f16 v111, v1, v5, v111
	;;#ASMEND
	;;#ASMSTART
	v_dot2_f32_f16 v111, v2, v6, v111
	;;#ASMEND
	;;#ASMSTART
	v_dot2_f32_f16 v111, v3, v7, v111
	;;#ASMEND
	s_wait_dscnt 0x0
	;;#ASMSTART
	v_dot2_f32_f16 v112, v0, v12, v112
	;;#ASMEND
	;;#ASMSTART
	v_dot2_f32_f16 v112, v1, v13, v112
	;;#ASMEND
	;;#ASMSTART
	v_dot2_f32_f16 v112, v2, v14, v112
	;;#ASMEND
	;;#ASMSTART
	v_dot2_f32_f16 v112, v3, v15, v112
	;;#ASMEND
	ds_load_b128 v[0:3], v81 offset:256
	ds_load_b128 v[4:7], v82 offset:256
	ds_load_b128 v[12:15], v82 offset:768
	s_wait_dscnt 0x1
	;;#ASMSTART
	v_dot2_f32_f16 v111, v0, v4, v111
	;;#ASMEND
	;;#ASMSTART
	v_dot2_f32_f16 v111, v1, v5, v111
	;;#ASMEND
	;;#ASMSTART
	v_dot2_f32_f16 v111, v2, v6, v111
	;;#ASMEND
	;;#ASMSTART
	v_dot2_f32_f16 v111, v3, v7, v111
	;;#ASMEND
	s_wait_dscnt 0x0
	;;#ASMSTART
	v_dot2_f32_f16 v112, v0, v12, v112
	;;#ASMEND
	;;#ASMSTART
	v_dot2_f32_f16 v112, v1, v13, v112
	;;#ASMEND
	;;#ASMSTART
	v_dot2_f32_f16 v112, v2, v14, v112
	;;#ASMEND
	;;#ASMSTART
	v_dot2_f32_f16 v112, v3, v15, v112
	;;#ASMEND
	ds_load_b128 v[0:3], v81 offset:272
	ds_load_b128 v[4:7], v82 offset:272
	ds_load_b128 v[12:15], v82 offset:784
	s_wait_dscnt 0x1
	;;#ASMSTART
	v_dot2_f32_f16 v111, v0, v4, v111
	;;#ASMEND
	;;#ASMSTART
	v_dot2_f32_f16 v111, v1, v5, v111
	;;#ASMEND
	;;#ASMSTART
	v_dot2_f32_f16 v111, v2, v6, v111
	;;#ASMEND
	;;#ASMSTART
	v_dot2_f32_f16 v111, v3, v7, v111
	;;#ASMEND
	s_wait_dscnt 0x0
	;;#ASMSTART
	v_dot2_f32_f16 v112, v0, v12, v112
	;;#ASMEND
	;;#ASMSTART
	v_dot2_f32_f16 v112, v1, v13, v112
	;;#ASMEND
	;;#ASMSTART
	v_dot2_f32_f16 v112, v2, v14, v112
	;;#ASMEND
	;;#ASMSTART
	v_dot2_f32_f16 v112, v3, v15, v112
	;;#ASMEND
	ds_load_b128 v[0:3], v81 offset:288
	ds_load_b128 v[4:7], v82 offset:288
	ds_load_b128 v[12:15], v82 offset:800
	s_wait_dscnt 0x1
	;;#ASMSTART
	v_dot2_f32_f16 v111, v0, v4, v111
	;;#ASMEND
	;;#ASMSTART
	v_dot2_f32_f16 v111, v1, v5, v111
	;;#ASMEND
	;;#ASMSTART
	v_dot2_f32_f16 v111, v2, v6, v111
	;;#ASMEND
	;;#ASMSTART
	v_dot2_f32_f16 v111, v3, v7, v111
	;;#ASMEND
	s_wait_dscnt 0x0
	;;#ASMSTART
	v_dot2_f32_f16 v112, v0, v12, v112
	;;#ASMEND
	;;#ASMSTART
	v_dot2_f32_f16 v112, v1, v13, v112
	;;#ASMEND
	;;#ASMSTART
	v_dot2_f32_f16 v112, v2, v14, v112
	;;#ASMEND
	;;#ASMSTART
	v_dot2_f32_f16 v112, v3, v15, v112
	;;#ASMEND
	ds_load_b128 v[0:3], v81 offset:304
	ds_load_b128 v[4:7], v82 offset:304
	ds_load_b128 v[12:15], v82 offset:816
	s_wait_dscnt 0x1
	;;#ASMSTART
	v_dot2_f32_f16 v111, v0, v4, v111
	;;#ASMEND
	;;#ASMSTART
	v_dot2_f32_f16 v111, v1, v5, v111
	;;#ASMEND
	;;#ASMSTART
	v_dot2_f32_f16 v111, v2, v6, v111
	;;#ASMEND
	;;#ASMSTART
	v_dot2_f32_f16 v111, v3, v7, v111
	;;#ASMEND
	s_wait_dscnt 0x0
	;;#ASMSTART
	v_dot2_f32_f16 v112, v0, v12, v112
	;;#ASMEND
	;;#ASMSTART
	v_dot2_f32_f16 v112, v1, v13, v112
	;;#ASMEND
	;;#ASMSTART
	v_dot2_f32_f16 v112, v2, v14, v112
	;;#ASMEND
	;;#ASMSTART
	v_dot2_f32_f16 v112, v3, v15, v112
	;;#ASMEND
	ds_load_b128 v[0:3], v81 offset:320
	ds_load_b128 v[4:7], v82 offset:320
	ds_load_b128 v[12:15], v82 offset:832
	s_wait_dscnt 0x1
	;;#ASMSTART
	v_dot2_f32_f16 v111, v0, v4, v111
	;;#ASMEND
	;;#ASMSTART
	v_dot2_f32_f16 v111, v1, v5, v111
	;;#ASMEND
	;;#ASMSTART
	v_dot2_f32_f16 v111, v2, v6, v111
	;;#ASMEND
	;;#ASMSTART
	v_dot2_f32_f16 v111, v3, v7, v111
	;;#ASMEND
	s_wait_dscnt 0x0
	;;#ASMSTART
	v_dot2_f32_f16 v112, v0, v12, v112
	;;#ASMEND
	;;#ASMSTART
	v_dot2_f32_f16 v112, v1, v13, v112
	;;#ASMEND
	;;#ASMSTART
	v_dot2_f32_f16 v112, v2, v14, v112
	;;#ASMEND
	;;#ASMSTART
	v_dot2_f32_f16 v112, v3, v15, v112
	;;#ASMEND
	ds_load_b128 v[0:3], v81 offset:336
	ds_load_b128 v[4:7], v82 offset:336
	ds_load_b128 v[12:15], v82 offset:848
	s_wait_dscnt 0x1
	;;#ASMSTART
	v_dot2_f32_f16 v111, v0, v4, v111
	;;#ASMEND
	;;#ASMSTART
	v_dot2_f32_f16 v111, v1, v5, v111
	;;#ASMEND
	;;#ASMSTART
	v_dot2_f32_f16 v111, v2, v6, v111
	;;#ASMEND
	;;#ASMSTART
	v_dot2_f32_f16 v111, v3, v7, v111
	;;#ASMEND
	s_wait_dscnt 0x0
	;;#ASMSTART
	v_dot2_f32_f16 v112, v0, v12, v112
	;;#ASMEND
	;;#ASMSTART
	v_dot2_f32_f16 v112, v1, v13, v112
	;;#ASMEND
	;;#ASMSTART
	v_dot2_f32_f16 v112, v2, v14, v112
	;;#ASMEND
	;;#ASMSTART
	v_dot2_f32_f16 v112, v3, v15, v112
	;;#ASMEND
	ds_load_b128 v[0:3], v81 offset:352
	ds_load_b128 v[4:7], v82 offset:352
	ds_load_b128 v[12:15], v82 offset:864
	s_wait_dscnt 0x1
	;;#ASMSTART
	v_dot2_f32_f16 v111, v0, v4, v111
	;;#ASMEND
	;;#ASMSTART
	v_dot2_f32_f16 v111, v1, v5, v111
	;;#ASMEND
	;;#ASMSTART
	v_dot2_f32_f16 v111, v2, v6, v111
	;;#ASMEND
	;;#ASMSTART
	v_dot2_f32_f16 v111, v3, v7, v111
	;;#ASMEND
	s_wait_dscnt 0x0
	;;#ASMSTART
	v_dot2_f32_f16 v112, v0, v12, v112
	;;#ASMEND
	;;#ASMSTART
	v_dot2_f32_f16 v112, v1, v13, v112
	;;#ASMEND
	;;#ASMSTART
	v_dot2_f32_f16 v112, v2, v14, v112
	;;#ASMEND
	;;#ASMSTART
	v_dot2_f32_f16 v112, v3, v15, v112
	;;#ASMEND
	ds_load_b128 v[0:3], v81 offset:368
	ds_load_b128 v[4:7], v82 offset:368
	ds_load_b128 v[12:15], v82 offset:880
	s_wait_dscnt 0x1
	;;#ASMSTART
	v_dot2_f32_f16 v111, v0, v4, v111
	;;#ASMEND
	;;#ASMSTART
	v_dot2_f32_f16 v111, v1, v5, v111
	;;#ASMEND
	;;#ASMSTART
	v_dot2_f32_f16 v111, v2, v6, v111
	;;#ASMEND
	;;#ASMSTART
	v_dot2_f32_f16 v111, v3, v7, v111
	;;#ASMEND
	s_wait_dscnt 0x0
	;;#ASMSTART
	v_dot2_f32_f16 v112, v0, v12, v112
	;;#ASMEND
	;;#ASMSTART
	v_dot2_f32_f16 v112, v1, v13, v112
	;;#ASMEND
	;;#ASMSTART
	v_dot2_f32_f16 v112, v2, v14, v112
	;;#ASMEND
	;;#ASMSTART
	v_dot2_f32_f16 v112, v3, v15, v112
	;;#ASMEND
	ds_load_b128 v[0:3], v81 offset:384
	ds_load_b128 v[4:7], v82 offset:384
	ds_load_b128 v[12:15], v82 offset:896
	s_wait_dscnt 0x1
	;;#ASMSTART
	v_dot2_f32_f16 v111, v0, v4, v111
	;;#ASMEND
	;;#ASMSTART
	v_dot2_f32_f16 v111, v1, v5, v111
	;;#ASMEND
	;;#ASMSTART
	v_dot2_f32_f16 v111, v2, v6, v111
	;;#ASMEND
	;;#ASMSTART
	v_dot2_f32_f16 v111, v3, v7, v111
	;;#ASMEND
	s_wait_dscnt 0x0
	;;#ASMSTART
	v_dot2_f32_f16 v112, v0, v12, v112
	;;#ASMEND
	;;#ASMSTART
	v_dot2_f32_f16 v112, v1, v13, v112
	;;#ASMEND
	;;#ASMSTART
	v_dot2_f32_f16 v112, v2, v14, v112
	;;#ASMEND
	;;#ASMSTART
	v_dot2_f32_f16 v112, v3, v15, v112
	;;#ASMEND
	ds_load_b128 v[0:3], v81 offset:400
	ds_load_b128 v[4:7], v82 offset:400
	ds_load_b128 v[12:15], v82 offset:912
	s_wait_dscnt 0x1
	;;#ASMSTART
	v_dot2_f32_f16 v111, v0, v4, v111
	;;#ASMEND
	;;#ASMSTART
	v_dot2_f32_f16 v111, v1, v5, v111
	;;#ASMEND
	;;#ASMSTART
	v_dot2_f32_f16 v111, v2, v6, v111
	;;#ASMEND
	;;#ASMSTART
	v_dot2_f32_f16 v111, v3, v7, v111
	;;#ASMEND
	s_wait_dscnt 0x0
	;;#ASMSTART
	v_dot2_f32_f16 v112, v0, v12, v112
	;;#ASMEND
	;;#ASMSTART
	v_dot2_f32_f16 v112, v1, v13, v112
	;;#ASMEND
	;;#ASMSTART
	v_dot2_f32_f16 v112, v2, v14, v112
	;;#ASMEND
	;;#ASMSTART
	v_dot2_f32_f16 v112, v3, v15, v112
	;;#ASMEND
	ds_load_b128 v[0:3], v81 offset:416
	ds_load_b128 v[4:7], v82 offset:416
	ds_load_b128 v[12:15], v82 offset:928
	s_wait_dscnt 0x1
	;;#ASMSTART
	v_dot2_f32_f16 v111, v0, v4, v111
	;;#ASMEND
	;;#ASMSTART
	v_dot2_f32_f16 v111, v1, v5, v111
	;;#ASMEND
	;;#ASMSTART
	v_dot2_f32_f16 v111, v2, v6, v111
	;;#ASMEND
	;;#ASMSTART
	v_dot2_f32_f16 v111, v3, v7, v111
	;;#ASMEND
	s_wait_dscnt 0x0
	;;#ASMSTART
	v_dot2_f32_f16 v112, v0, v12, v112
	;;#ASMEND
	;;#ASMSTART
	v_dot2_f32_f16 v112, v1, v13, v112
	;;#ASMEND
	;;#ASMSTART
	v_dot2_f32_f16 v112, v2, v14, v112
	;;#ASMEND
	;;#ASMSTART
	v_dot2_f32_f16 v112, v3, v15, v112
	;;#ASMEND
	ds_load_b128 v[0:3], v81 offset:432
	ds_load_b128 v[4:7], v82 offset:432
	ds_load_b128 v[12:15], v82 offset:944
	s_wait_dscnt 0x1
	;;#ASMSTART
	v_dot2_f32_f16 v111, v0, v4, v111
	;;#ASMEND
	;;#ASMSTART
	v_dot2_f32_f16 v111, v1, v5, v111
	;;#ASMEND
	;;#ASMSTART
	v_dot2_f32_f16 v111, v2, v6, v111
	;;#ASMEND
	;;#ASMSTART
	v_dot2_f32_f16 v111, v3, v7, v111
	;;#ASMEND
	s_wait_dscnt 0x0
	;;#ASMSTART
	v_dot2_f32_f16 v112, v0, v12, v112
	;;#ASMEND
	;;#ASMSTART
	v_dot2_f32_f16 v112, v1, v13, v112
	;;#ASMEND
	;;#ASMSTART
	v_dot2_f32_f16 v112, v2, v14, v112
	;;#ASMEND
	;;#ASMSTART
	v_dot2_f32_f16 v112, v3, v15, v112
	;;#ASMEND
	ds_load_b128 v[0:3], v81 offset:448
	ds_load_b128 v[4:7], v82 offset:448
	ds_load_b128 v[12:15], v82 offset:960
	s_wait_dscnt 0x1
	;;#ASMSTART
	v_dot2_f32_f16 v111, v0, v4, v111
	;;#ASMEND
	;;#ASMSTART
	v_dot2_f32_f16 v111, v1, v5, v111
	;;#ASMEND
	;;#ASMSTART
	v_dot2_f32_f16 v111, v2, v6, v111
	;;#ASMEND
	;;#ASMSTART
	v_dot2_f32_f16 v111, v3, v7, v111
	;;#ASMEND
	s_wait_dscnt 0x0
	;;#ASMSTART
	v_dot2_f32_f16 v112, v0, v12, v112
	;;#ASMEND
	;;#ASMSTART
	v_dot2_f32_f16 v112, v1, v13, v112
	;;#ASMEND
	;;#ASMSTART
	v_dot2_f32_f16 v112, v2, v14, v112
	;;#ASMEND
	;;#ASMSTART
	v_dot2_f32_f16 v112, v3, v15, v112
	;;#ASMEND
	ds_load_b128 v[0:3], v81 offset:464
	ds_load_b128 v[4:7], v82 offset:464
	ds_load_b128 v[12:15], v82 offset:976
	s_wait_dscnt 0x1
	;;#ASMSTART
	v_dot2_f32_f16 v111, v0, v4, v111
	;;#ASMEND
	;;#ASMSTART
	v_dot2_f32_f16 v111, v1, v5, v111
	;;#ASMEND
	;;#ASMSTART
	v_dot2_f32_f16 v111, v2, v6, v111
	;;#ASMEND
	;;#ASMSTART
	v_dot2_f32_f16 v111, v3, v7, v111
	;;#ASMEND
	s_wait_dscnt 0x0
	;;#ASMSTART
	v_dot2_f32_f16 v112, v0, v12, v112
	;;#ASMEND
	;;#ASMSTART
	v_dot2_f32_f16 v112, v1, v13, v112
	;;#ASMEND
	;;#ASMSTART
	v_dot2_f32_f16 v112, v2, v14, v112
	;;#ASMEND
	;;#ASMSTART
	v_dot2_f32_f16 v112, v3, v15, v112
	;;#ASMEND
	ds_load_b128 v[0:3], v81 offset:480
	ds_load_b128 v[4:7], v82 offset:480
	ds_load_b128 v[12:15], v82 offset:992
	s_wait_dscnt 0x1
	;;#ASMSTART
	v_dot2_f32_f16 v111, v0, v4, v111
	;;#ASMEND
	;;#ASMSTART
	v_dot2_f32_f16 v111, v1, v5, v111
	;;#ASMEND
	;;#ASMSTART
	v_dot2_f32_f16 v111, v2, v6, v111
	;;#ASMEND
	;;#ASMSTART
	v_dot2_f32_f16 v111, v3, v7, v111
	;;#ASMEND
	s_wait_dscnt 0x0
	;;#ASMSTART
	v_dot2_f32_f16 v112, v0, v12, v112
	;;#ASMEND
	;;#ASMSTART
	v_dot2_f32_f16 v112, v1, v13, v112
	;;#ASMEND
	;;#ASMSTART
	v_dot2_f32_f16 v112, v2, v14, v112
	;;#ASMEND
	;;#ASMSTART
	v_dot2_f32_f16 v112, v3, v15, v112
	;;#ASMEND
	ds_load_b128 v[0:3], v81 offset:496
	ds_load_b128 v[12:15], v82 offset:496
	ds_load_b128 v[4:7], v82 offset:1008
	s_wait_dscnt 0x1
	;;#ASMSTART
	v_dot2_f32_f16 v111, v0, v12, v111
	;;#ASMEND
	;;#ASMSTART
	v_dot2_f32_f16 v111, v1, v13, v111
	;;#ASMEND
	;; [unrolled: 3-line block ×4, first 2 shown]
	s_wait_dscnt 0x0
	;;#ASMSTART
	v_dot2_f32_f16 v112, v0, v4, v112
	;;#ASMEND
	;;#ASMSTART
	v_dot2_f32_f16 v112, v1, v5, v112
	;;#ASMEND
	;; [unrolled: 3-line block ×4, first 2 shown]
	v_lshl_add_u64 v[2:3], v[50:51], 2, s[2:3]
	v_lshl_add_u64 v[12:13], v[42:43], 2, s[2:3]
	;; [unrolled: 1-line block ×5, first 2 shown]
	v_add_nc_u64_e32 v[10:11], v[2:3], v[24:25]
	global_load_u16 v2, v59, s[34:35] scale_offset
	v_add_nc_u64_e32 v[0:1], v[12:13], v[24:25]
	v_add_nc_u64_e32 v[12:13], v[4:5], v[24:25]
	;; [unrolled: 1-line block ×4, first 2 shown]
	s_wait_loadcnt 0x0
	s_barrier_signal -1
	s_barrier_wait -1
	v_cvt_f32_f16_e32 v2, v2
	s_delay_alu instid0(VALU_DEP_1) | instskip(NEXT) | instid1(VALU_DEP_1)
	v_add_f32_e32 v3, v112, v2
	v_add_f32_e32 v4, 0x40051340, v3
	s_delay_alu instid0(VALU_DEP_1) | instskip(NEXT) | instid1(VALU_DEP_1)
	v_dual_add_f32 v2, v111, v2 :: v_dual_max_num_f32 v4, v110, v4
	v_add_f32_e32 v5, 0x40051340, v2
	global_load_b128 v[110:113], v[116:117], off
	v_max_num_f32_e32 v14, v109, v5
	ds_bpermute_b32 v5, v65, v4
	s_wait_xcnt 0x1
	ds_bpermute_b32 v59, v65, v14
	s_wait_dscnt 0x0
	v_dual_max_num_f32 v5, v5, v5 :: v_dual_max_num_f32 v59, v59, v59
	s_delay_alu instid0(VALU_DEP_1)
	v_max_num_f32_e32 v15, v4, v5
	global_load_b128 v[4:7], v[114:115], off
	v_max_num_f32_e32 v14, v14, v59
	ds_bpermute_b32 v59, v64, v15
	ds_bpermute_b32 v64, v64, v14
	s_wait_dscnt 0x0
	v_dual_max_num_f32 v59, v59, v59 :: v_dual_max_num_f32 v64, v64, v64
	s_delay_alu instid0(VALU_DEP_1)
	v_dual_max_num_f32 v15, v15, v59 :: v_dual_max_num_f32 v14, v14, v64
	ds_bpermute_b32 v59, v63, v15
	ds_bpermute_b32 v63, v63, v14
	s_wait_dscnt 0x1
	v_max_num_f32_e32 v59, v59, v59
	s_wait_dscnt 0x0
	v_max_num_f32_e32 v63, v63, v63
	s_delay_alu instid0(VALU_DEP_2) | instskip(NEXT) | instid1(VALU_DEP_2)
	v_max_num_f32_e32 v15, v15, v59
	v_max_num_f32_e32 v14, v14, v63
	ds_bpermute_b32 v59, v62, v15
	ds_bpermute_b32 v62, v62, v14
	s_wait_dscnt 0x0
	v_max_num_f32_e32 v62, v62, v62
	s_delay_alu instid0(VALU_DEP_1) | instskip(NEXT) | instid1(VALU_DEP_1)
	v_dual_max_num_f32 v14, v14, v62 :: v_dual_max_num_f32 v59, v59, v59
	v_max_num_f32_e32 v15, v15, v59
	ds_bpermute_b32 v59, v58, v15
	ds_bpermute_b32 v58, v58, v14
	s_wait_dscnt 0x0
	v_dual_max_num_f32 v59, v59, v59 :: v_dual_max_num_f32 v58, v58, v58
	s_delay_alu instid0(VALU_DEP_1) | instskip(NEXT) | instid1(VALU_DEP_1)
	v_max_num_f32_e32 v58, v14, v58
	v_dual_sub_f32 v14, v2, v58 :: v_dual_max_num_f32 v59, v15, v59
	s_delay_alu instid0(VALU_DEP_1) | instskip(SKIP_1) | instid1(VALU_DEP_2)
	v_mul_f32_e32 v15, 0x3fb8aa3b, v14
	v_cmp_ngt_f32_e64 s2, 0xc2ce8ed0, v14
	v_fma_f32 v64, 0x3fb8aa3b, v14, -v15
	s_delay_alu instid0(VALU_DEP_1) | instskip(SKIP_1) | instid1(VALU_DEP_2)
	v_dual_fmac_f32 v64, 0x32a5705f, v14 :: v_dual_sub_f32 v3, v3, v59
	v_sub_f32_e32 v18, v18, v59
	v_mul_f32_e32 v2, 0x3fb8aa3b, v3
	v_cmp_ngt_f32_e32 vcc_lo, 0xc2ce8ed0, v3
	s_delay_alu instid0(VALU_DEP_2) | instskip(SKIP_1) | instid1(VALU_DEP_2)
	v_fma_f32 v62, 0x3fb8aa3b, v3, -v2
	v_rndne_f32_e32 v63, v2
	v_fmac_f32_e32 v62, 0x32a5705f, v3
	s_delay_alu instid0(VALU_DEP_2) | instskip(SKIP_1) | instid1(VALU_DEP_2)
	v_sub_f32_e32 v2, v2, v63
	v_cvt_i32_f32_e32 v63, v63
	v_add_f32_e32 v2, v2, v62
	v_rndne_f32_e32 v62, v15
	s_delay_alu instid0(VALU_DEP_2) | instskip(NEXT) | instid1(VALU_DEP_1)
	v_exp_f32_e32 v2, v2
	v_sub_f32_e32 v15, v15, v62
	v_cvt_i32_f32_e32 v62, v62
	s_delay_alu instid0(VALU_DEP_2) | instskip(NEXT) | instid1(TRANS32_DEP_1)
	v_add_f32_e32 v15, v15, v64
	v_ldexp_f32 v2, v2, v63
	v_sub_f32_e32 v64, v19, v58
	s_delay_alu instid0(VALU_DEP_3) | instskip(NEXT) | instid1(VALU_DEP_2)
	v_exp_f32_e32 v15, v15
	v_cndmask_b32_e32 v63, 0, v2, vcc_lo
	v_cmp_nlt_f32_e32 vcc_lo, 0x42b17218, v3
	global_load_b128 v[0:3], v[0:1], off
	v_ldexp_f32 v15, v15, v62
	v_cndmask_b32_e32 v63, 0x7f800000, v63, vcc_lo
	s_delay_alu instid0(VALU_DEP_2) | instskip(SKIP_1) | instid1(VALU_DEP_1)
	v_cndmask_b32_e64 v15, 0, v15, s2
	v_cmp_nlt_f32_e64 s2, 0x42b17218, v14
	v_cndmask_b32_e64 v62, 0x7f800000, v15, s2
	v_mul_f32_e32 v15, 0x3fb8aa3b, v64
	v_cmp_ngt_f32_e32 vcc_lo, 0xc2ce8ed0, v18
	v_cmp_ngt_f32_e64 s2, 0xc2ce8ed0, v64
	s_delay_alu instid0(VALU_DEP_4) | instskip(NEXT) | instid1(VALU_DEP_4)
	v_cvt_pk_f16_f32 v14, v62, v63
	v_fma_f32 v109, 0x3fb8aa3b, v64, -v15
	ds_store_b32 v93, v14
	s_wait_loadcnt 0x1
	ds_store_b128 v83, v[4:7]
	v_mul_f32_e32 v14, 0x3fb8aa3b, v18
	v_fmac_f32_e32 v109, 0x32a5705f, v64
	s_clause 0x1
	global_load_b128 v[4:7], v[8:9], off
	global_load_b128 v[8:11], v[10:11], off
	ds_store_b128 v86, v[110:113]
	v_fma_f32 v19, 0x3fb8aa3b, v18, -v14
	v_rndne_f32_e32 v65, v14
	s_delay_alu instid0(VALU_DEP_1) | instskip(SKIP_1) | instid1(VALU_DEP_2)
	v_dual_fmac_f32 v19, 0x32a5705f, v18 :: v_dual_sub_f32 v14, v14, v65
	v_cvt_i32_f32_e32 v65, v65
	v_add_f32_e32 v14, v14, v19
	v_rndne_f32_e32 v19, v15
	s_delay_alu instid0(VALU_DEP_2) | instskip(NEXT) | instid1(VALU_DEP_1)
	v_exp_f32_e32 v14, v14
	v_sub_f32_e32 v15, v15, v19
	v_cvt_i32_f32_e32 v19, v19
	s_delay_alu instid0(VALU_DEP_2) | instskip(NEXT) | instid1(TRANS32_DEP_1)
	v_add_f32_e32 v109, v15, v109
	v_ldexp_f32 v65, v14, v65
	global_load_b128 v[12:15], v[12:13], off
	v_exp_f32_e32 v109, v109
	v_cndmask_b32_e32 v65, 0, v65, vcc_lo
	v_cmp_nlt_f32_e32 vcc_lo, 0x42b17218, v18
	s_delay_alu instid0(TRANS32_DEP_1) | instskip(NEXT) | instid1(VALU_DEP_3)
	v_ldexp_f32 v109, v109, v19
	v_cndmask_b32_e32 v65, 0x7f800000, v65, vcc_lo
	global_load_b128 v[16:19], v[16:17], off
	v_cndmask_b32_e64 v109, 0, v109, s2
	v_cmp_nlt_f32_e64 s2, 0x42b17218, v64
	s_delay_alu instid0(VALU_DEP_1) | instskip(NEXT) | instid1(VALU_DEP_1)
	v_cndmask_b32_e64 v64, 0x7f800000, v109, s2
	v_pk_fma_f32 v[38:39], v[38:39], v[64:65], v[62:63]
	global_load_b128 v[60:63], v[60:61], off
	v_cvt_f16_f32_e32 v65, v65
	v_cvt_f16_f32_e32 v64, v64
	s_wait_loadcnt 0x5
	ds_store_b128 v87, v[0:3]
	s_wait_loadcnt 0x4
	ds_store_b128 v88, v[4:7]
	;; [unrolled: 2-line block ×6, first 2 shown]
	s_wait_dscnt 0x0
	s_barrier_signal -1
	s_barrier_wait -1
	ds_load_b128 v[4:7], v85
	v_and_b32_e32 v61, 0xffff, v65
	ds_load_2addr_b64 v[8:11], v68 offset1:32
	ds_load_2addr_b64 v[12:15], v68 offset0:64 offset1:96
	ds_load_2addr_b64 v[16:19], v68 offset0:128 offset1:160
	ds_load_b128 v[0:3], v85 offset:16
	v_and_b32_e32 v60, 0xffff, v64
	v_mul_u32_u24_e32 v64, 0x10001, v61
	s_delay_alu instid0(VALU_DEP_2) | instskip(NEXT) | instid1(VALU_DEP_2)
	v_mul_u32_u24_e32 v60, 0x10001, v60
	v_pk_mul_f16 v65, v104, v64
	v_pk_mul_f16 v103, v103, v64
	s_delay_alu instid0(VALU_DEP_3)
	v_pk_mul_f16 v61, v108, v60
	v_pk_mul_f16 v62, v107, v60
	;; [unrolled: 1-line block ×4, first 2 shown]
	s_wait_dscnt 0x4
	v_and_b32_e32 v104, 0xffff, v4
	v_lshrrev_b32_e32 v4, 16, v4
	v_and_b32_e32 v109, 0xffff, v7
	v_lshrrev_b32_e32 v7, 16, v7
	s_delay_alu instid0(VALU_DEP_4) | instskip(NEXT) | instid1(VALU_DEP_4)
	v_mul_u32_u24_e32 v104, 0x10001, v104
	v_mul_u32_u24_e32 v4, 0x10001, v4
	s_delay_alu instid0(VALU_DEP_3) | instskip(SKIP_1) | instid1(VALU_DEP_3)
	v_mul_u32_u24_e32 v7, 0x10001, v7
	s_wait_dscnt 0x3
	v_pk_fma_f16 v106, v9, v104, v61
	v_pk_mul_f16 v61, v8, v104
	v_pk_fma_f16 v107, v10, v104, v62
	v_pk_fma_f16 v108, v11, v104, v63
	;; [unrolled: 1-line block ×5, first 2 shown]
	v_pk_mul_f16 v4, v8, v4
	v_pk_fma_f16 v104, v105, v60, v61
	v_and_b32_e32 v105, 0xffff, v5
	v_lshrrev_b32_e32 v5, 16, v5
	ds_load_2addr_b64 v[8:11], v68 offset0:192 offset1:224
	v_pk_fma_f16 v4, v101, v64, v4
	ds_load_2addr_b64 v[60:63], v94 offset1:32
	v_mul_u32_u24_e32 v64, 0x10001, v105
	v_mul_u32_u24_e32 v5, 0x10001, v5
	s_wait_dscnt 0x4
	s_delay_alu instid0(VALU_DEP_2)
	v_pk_fma_f16 v101, v13, v64, v106
	v_pk_fma_f16 v105, v14, v64, v107
	v_pk_fma_f16 v106, v15, v64, v108
	v_pk_fma_f16 v65, v13, v5, v65
	v_pk_fma_f16 v107, v14, v5, v103
	v_pk_fma_f16 v108, v15, v5, v102
	v_pk_fma_f16 v4, v12, v5, v4
	v_and_b32_e32 v5, 0xffff, v6
	v_lshrrev_b32_e32 v6, 16, v6
	v_pk_fma_f16 v64, v12, v64, v104
	ds_load_2addr_b64 v[12:15], v94 offset0:64 offset1:96
	v_mul_u32_u24_e32 v5, 0x10001, v5
	v_mul_u32_u24_e32 v6, 0x10001, v6
	s_wait_dscnt 0x4
	s_delay_alu instid0(VALU_DEP_2)
	v_pk_fma_f16 v101, v17, v5, v101
	v_pk_fma_f16 v110, v18, v5, v105
	;; [unrolled: 1-line block ×8, first 2 shown]
	v_mul_u32_u24_e32 v6, 0x10001, v109
	ds_load_2addr_b64 v[102:105], v94 offset0:128 offset1:160
	ds_load_2addr_b64 v[16:19], v94 offset0:192 offset1:224
	s_wait_dscnt 0x4
	v_pk_fma_f16 v108, v10, v6, v110
	v_pk_fma_f16 v10, v10, v7, v65
	v_and_b32_e32 v65, 0xffff, v0
	v_lshrrev_b32_e32 v0, 16, v0
	v_pk_fma_f16 v101, v9, v6, v101
	v_pk_fma_f16 v106, v11, v6, v106
	;; [unrolled: 1-line block ×6, first 2 shown]
	v_mul_u32_u24_e32 v65, 0x10001, v65
	v_mul_u32_u24_e32 v0, 0x10001, v0
	ds_load_b128 v[4:7], v85 offset:32
	s_wait_dscnt 0x4
	v_pk_fma_f16 v101, v61, v65, v101
	v_pk_fma_f16 v107, v62, v65, v108
	;; [unrolled: 1-line block ×8, first 2 shown]
	v_and_b32_e32 v60, 0xffff, v1
	v_lshrrev_b32_e32 v1, 16, v1
	ds_load_2addr_b64 v[8:11], v95 offset1:32
	v_mul_u32_u24_e32 v60, 0x10001, v60
	s_wait_dscnt 0x4
	s_delay_alu instid0(VALU_DEP_1)
	v_pk_fma_f16 v65, v13, v60, v101
	v_pk_fma_f16 v101, v14, v60, v107
	;; [unrolled: 1-line block ×4, first 2 shown]
	v_and_b32_e32 v64, 0xffff, v3
	v_lshrrev_b32_e32 v3, 16, v3
	v_mul_u32_u24_e32 v1, 0x10001, v1
	s_delay_alu instid0(VALU_DEP_2) | instskip(NEXT) | instid1(VALU_DEP_2)
	v_mul_u32_u24_e32 v3, 0x10001, v3
	v_pk_fma_f16 v107, v13, v1, v61
	v_pk_fma_f16 v108, v14, v1, v62
	;; [unrolled: 1-line block ×4, first 2 shown]
	v_and_b32_e32 v1, 0xffff, v2
	v_lshrrev_b32_e32 v2, 16, v2
	ds_load_2addr_b64 v[12:15], v95 offset0:64 offset1:96
	v_mul_u32_u24_e32 v1, 0x10001, v1
	v_mul_u32_u24_e32 v2, 0x10001, v2
	s_wait_dscnt 0x4
	s_delay_alu instid0(VALU_DEP_2)
	v_pk_fma_f16 v65, v103, v1, v65
	v_pk_fma_f16 v101, v104, v1, v101
	;; [unrolled: 1-line block ×8, first 2 shown]
	v_mul_u32_u24_e32 v2, 0x10001, v64
	ds_load_2addr_b64 v[60:63], v95 offset0:128 offset1:160
	ds_load_2addr_b64 v[102:105], v95 offset0:192 offset1:224
	s_wait_dscnt 0x5
	v_pk_fma_f16 v64, v17, v2, v65
	v_pk_fma_f16 v65, v18, v2, v101
	;; [unrolled: 1-line block ×8, first 2 shown]
	ds_load_b128 v[0:3], v85 offset:48
	s_wait_dscnt 0x5
	v_and_b32_e32 v107, 0xffff, v4
	v_lshrrev_b32_e32 v4, 16, v4
	s_delay_alu instid0(VALU_DEP_2) | instskip(NEXT) | instid1(VALU_DEP_2)
	v_mul_u32_u24_e32 v107, 0x10001, v107
	v_mul_u32_u24_e32 v4, 0x10001, v4
	s_wait_dscnt 0x4
	s_delay_alu instid0(VALU_DEP_2) | instskip(NEXT) | instid1(VALU_DEP_2)
	v_pk_fma_f16 v64, v9, v107, v64
	v_pk_fma_f16 v17, v9, v4, v17
	;; [unrolled: 1-line block ×5, first 2 shown]
	v_and_b32_e32 v16, 0xffff, v5
	v_lshrrev_b32_e32 v5, 16, v5
	v_pk_fma_f16 v65, v10, v107, v65
	v_pk_fma_f16 v101, v11, v107, v101
	;; [unrolled: 1-line block ×3, first 2 shown]
	v_mul_u32_u24_e32 v16, 0x10001, v16
	v_mul_u32_u24_e32 v5, 0x10001, v5
	ds_load_2addr_b64 v[8:11], v96 offset1:32
	s_wait_dscnt 0x4
	v_pk_fma_f16 v64, v13, v16, v64
	v_pk_fma_f16 v107, v13, v5, v17
	;; [unrolled: 1-line block ×5, first 2 shown]
	v_and_b32_e32 v5, 0xffff, v6
	v_lshrrev_b32_e32 v6, 16, v6
	v_pk_fma_f16 v65, v14, v16, v65
	v_pk_fma_f16 v101, v15, v16, v101
	;; [unrolled: 1-line block ×3, first 2 shown]
	v_and_b32_e32 v106, 0xffff, v7
	v_lshrrev_b32_e32 v7, 16, v7
	v_mul_u32_u24_e32 v5, 0x10001, v5
	v_mul_u32_u24_e32 v6, 0x10001, v6
	ds_load_2addr_b64 v[12:15], v96 offset0:64 offset1:96
	v_mul_u32_u24_e32 v7, 0x10001, v7
	s_wait_dscnt 0x4
	v_pk_fma_f16 v64, v61, v5, v64
	v_pk_fma_f16 v107, v61, v6, v107
	;; [unrolled: 1-line block ×5, first 2 shown]
	v_mul_u32_u24_e32 v6, 0x10001, v106
	v_pk_fma_f16 v65, v62, v5, v65
	v_pk_fma_f16 v101, v63, v5, v101
	;; [unrolled: 1-line block ×3, first 2 shown]
	ds_load_2addr_b64 v[16:19], v96 offset0:128 offset1:160
	s_wait_dscnt 0x4
	v_pk_fma_f16 v64, v103, v6, v64
	v_pk_fma_f16 v103, v103, v7, v107
	s_wait_dscnt 0x3
	v_and_b32_e32 v107, 0xffff, v0
	v_lshrrev_b32_e32 v0, 16, v0
	v_pk_fma_f16 v65, v104, v6, v65
	v_pk_fma_f16 v101, v105, v6, v101
	;; [unrolled: 1-line block ×6, first 2 shown]
	v_mul_u32_u24_e32 v0, 0x10001, v0
	ds_load_2addr_b64 v[60:63], v96 offset0:192 offset1:224
	ds_load_b128 v[4:7], v85 offset:64
	v_mul_u32_u24_e32 v107, 0x10001, v107
	s_wait_dscnt 0x4
	v_pk_fma_f16 v103, v9, v0, v103
	v_pk_fma_f16 v104, v10, v0, v104
	v_pk_fma_f16 v105, v11, v0, v105
	v_pk_fma_f16 v0, v8, v0, v102
	v_and_b32_e32 v102, 0xffff, v1
	v_lshrrev_b32_e32 v1, 16, v1
	v_pk_fma_f16 v64, v9, v107, v64
	v_pk_fma_f16 v65, v10, v107, v65
	;; [unrolled: 1-line block ×4, first 2 shown]
	v_mul_u32_u24_e32 v1, 0x10001, v1
	v_mul_u32_u24_e32 v102, 0x10001, v102
	ds_load_2addr_b64 v[8:11], v97 offset1:32
	s_wait_dscnt 0x4
	v_pk_fma_f16 v107, v13, v1, v103
	v_pk_fma_f16 v108, v14, v1, v104
	;; [unrolled: 1-line block ×4, first 2 shown]
	v_and_b32_e32 v1, 0xffff, v2
	v_lshrrev_b32_e32 v2, 16, v2
	v_pk_fma_f16 v64, v13, v102, v64
	v_pk_fma_f16 v65, v14, v102, v65
	;; [unrolled: 1-line block ×4, first 2 shown]
	v_and_b32_e32 v106, 0xffff, v3
	v_lshrrev_b32_e32 v3, 16, v3
	v_mul_u32_u24_e32 v1, 0x10001, v1
	v_mul_u32_u24_e32 v2, 0x10001, v2
	ds_load_2addr_b64 v[12:15], v97 offset0:64 offset1:96
	v_mul_u32_u24_e32 v3, 0x10001, v3
	s_wait_dscnt 0x4
	v_pk_fma_f16 v64, v17, v1, v64
	v_pk_fma_f16 v65, v18, v1, v65
	;; [unrolled: 1-line block ×8, first 2 shown]
	v_mul_u32_u24_e32 v2, 0x10001, v106
	ds_load_2addr_b64 v[102:105], v97 offset0:128 offset1:160
	ds_load_2addr_b64 v[16:19], v97 offset0:192 offset1:224
	s_wait_dscnt 0x5
	v_pk_fma_f16 v64, v61, v2, v64
	v_pk_fma_f16 v65, v62, v2, v65
	;; [unrolled: 1-line block ×8, first 2 shown]
	ds_load_b128 v[0:3], v85 offset:80
	s_wait_dscnt 0x5
	v_and_b32_e32 v107, 0xffff, v4
	v_lshrrev_b32_e32 v4, 16, v4
	s_delay_alu instid0(VALU_DEP_2) | instskip(NEXT) | instid1(VALU_DEP_2)
	v_mul_u32_u24_e32 v107, 0x10001, v107
	v_mul_u32_u24_e32 v4, 0x10001, v4
	s_wait_dscnt 0x4
	s_delay_alu instid0(VALU_DEP_2) | instskip(NEXT) | instid1(VALU_DEP_2)
	v_pk_fma_f16 v64, v9, v107, v64
	v_pk_fma_f16 v61, v9, v4, v61
	;; [unrolled: 1-line block ×5, first 2 shown]
	v_and_b32_e32 v60, 0xffff, v5
	v_lshrrev_b32_e32 v5, 16, v5
	v_pk_fma_f16 v65, v10, v107, v65
	v_pk_fma_f16 v101, v11, v107, v101
	;; [unrolled: 1-line block ×3, first 2 shown]
	v_mul_u32_u24_e32 v60, 0x10001, v60
	v_mul_u32_u24_e32 v5, 0x10001, v5
	ds_load_2addr_b64 v[8:11], v98 offset1:32
	s_wait_dscnt 0x1
	v_and_b32_e32 v110, 0xffff, v3
	v_lshrrev_b32_e32 v3, 16, v3
	v_pk_fma_f16 v64, v13, v60, v64
	v_pk_fma_f16 v107, v13, v5, v61
	;; [unrolled: 1-line block ×5, first 2 shown]
	v_and_b32_e32 v5, 0xffff, v6
	v_lshrrev_b32_e32 v6, 16, v6
	v_pk_fma_f16 v65, v14, v60, v65
	v_pk_fma_f16 v101, v15, v60, v101
	;; [unrolled: 1-line block ×3, first 2 shown]
	v_and_b32_e32 v106, 0xffff, v7
	v_lshrrev_b32_e32 v7, 16, v7
	v_mul_u32_u24_e32 v5, 0x10001, v5
	v_mul_u32_u24_e32 v6, 0x10001, v6
	ds_load_2addr_b64 v[12:15], v98 offset0:64 offset1:96
	v_mul_u32_u24_e32 v3, 0x10001, v3
	v_mul_u32_u24_e32 v7, 0x10001, v7
	v_pk_fma_f16 v64, v103, v5, v64
	v_pk_fma_f16 v107, v103, v6, v107
	;; [unrolled: 1-line block ×5, first 2 shown]
	v_mul_u32_u24_e32 v6, 0x10001, v106
	v_pk_fma_f16 v65, v104, v5, v65
	v_pk_fma_f16 v101, v105, v5, v101
	;; [unrolled: 1-line block ×3, first 2 shown]
	ds_load_2addr_b64 v[60:63], v98 offset0:128 offset1:160
	v_pk_fma_f16 v64, v17, v6, v64
	v_pk_fma_f16 v17, v17, v7, v107
	v_and_b32_e32 v107, 0xffff, v0
	v_lshrrev_b32_e32 v0, 16, v0
	v_pk_fma_f16 v65, v18, v6, v65
	v_pk_fma_f16 v101, v19, v6, v101
	;; [unrolled: 1-line block ×6, first 2 shown]
	v_mul_u32_u24_e32 v107, 0x10001, v107
	v_mul_u32_u24_e32 v0, 0x10001, v0
	ds_load_2addr_b64 v[102:105], v98 offset0:192 offset1:224
	ds_load_b128 v[4:7], v85 offset:96
	s_wait_dscnt 0x4
	v_pk_fma_f16 v64, v9, v107, v64
	v_pk_fma_f16 v65, v10, v107, v65
	;; [unrolled: 1-line block ×8, first 2 shown]
	v_and_b32_e32 v8, 0xffff, v1
	v_lshrrev_b32_e32 v1, 16, v1
	ds_load_2addr_b64 v[16:19], v99 offset1:32
	v_mul_u32_u24_e32 v8, 0x10001, v8
	v_mul_u32_u24_e32 v1, 0x10001, v1
	s_wait_dscnt 0x4
	s_delay_alu instid0(VALU_DEP_2) | instskip(NEXT) | instid1(VALU_DEP_2)
	v_pk_fma_f16 v64, v13, v8, v64
	v_pk_fma_f16 v9, v13, v1, v9
	v_pk_fma_f16 v10, v14, v1, v10
	v_pk_fma_f16 v11, v15, v1, v11
	v_pk_fma_f16 v0, v12, v1, v0
	v_and_b32_e32 v1, 0xffff, v2
	v_lshrrev_b32_e32 v2, 16, v2
	v_pk_fma_f16 v65, v14, v8, v65
	v_pk_fma_f16 v101, v15, v8, v101
	;; [unrolled: 1-line block ×3, first 2 shown]
	v_mul_u32_u24_e32 v1, 0x10001, v1
	v_mul_u32_u24_e32 v2, 0x10001, v2
	ds_load_2addr_b64 v[12:15], v99 offset0:64 offset1:96
	ds_load_2addr_b64 v[106:109], v99 offset0:128 offset1:160
	s_wait_dscnt 0x5
	v_pk_fma_f16 v64, v61, v1, v64
	v_pk_fma_f16 v65, v62, v1, v65
	v_pk_fma_f16 v101, v63, v1, v101
	v_pk_fma_f16 v1, v60, v1, v8
	v_pk_fma_f16 v61, v61, v2, v9
	v_pk_fma_f16 v62, v62, v2, v10
	v_pk_fma_f16 v63, v63, v2, v11
	v_pk_fma_f16 v0, v60, v2, v0
	v_mul_u32_u24_e32 v2, 0x10001, v110
	s_wait_dscnt 0x4
	v_pk_fma_f16 v61, v103, v3, v61
	v_pk_fma_f16 v62, v104, v3, v62
	v_pk_fma_f16 v63, v105, v3, v63
	ds_load_2addr_b64 v[8:11], v99 offset0:192 offset1:224
	v_pk_fma_f16 v60, v103, v2, v64
	v_pk_fma_f16 v64, v104, v2, v65
	;; [unrolled: 1-line block ×5, first 2 shown]
	ds_load_b128 v[0:3], v85 offset:112
	s_wait_dscnt 0x5
	v_and_b32_e32 v103, 0xffff, v4
	v_lshrrev_b32_e32 v4, 16, v4
	v_and_b32_e32 v104, 0xffff, v7
	v_lshrrev_b32_e32 v105, 16, v7
	s_delay_alu instid0(VALU_DEP_4) | instskip(NEXT) | instid1(VALU_DEP_4)
	v_mul_u32_u24_e32 v103, 0x10001, v103
	v_mul_u32_u24_e32 v4, 0x10001, v4
	s_delay_alu instid0(VALU_DEP_4) | instskip(SKIP_1) | instid1(VALU_DEP_3)
	v_mul_u32_u24_e32 v104, 0x10001, v104
	s_wait_dscnt 0x4
	v_pk_fma_f16 v60, v17, v103, v60
	s_delay_alu instid0(VALU_DEP_3)
	v_pk_fma_f16 v61, v17, v4, v61
	v_pk_fma_f16 v62, v18, v4, v62
	;; [unrolled: 1-line block ×4, first 2 shown]
	v_and_b32_e32 v102, 0xffff, v5
	v_lshrrev_b32_e32 v5, 16, v5
	v_pk_fma_f16 v64, v18, v103, v64
	v_pk_fma_f16 v65, v19, v103, v65
	;; [unrolled: 1-line block ×3, first 2 shown]
	v_mul_u32_u24_e32 v102, 0x10001, v102
	v_mul_u32_u24_e32 v5, 0x10001, v5
	ds_load_2addr_b64 v[16:19], v100 offset1:32
	v_lshrrev_b32_e32 v103, 16, v6
	s_wait_dscnt 0x4
	v_pk_fma_f16 v60, v13, v102, v60
	v_pk_fma_f16 v64, v14, v102, v64
	;; [unrolled: 1-line block ×5, first 2 shown]
	v_and_b32_e32 v4, 0xffff, v6
	v_pk_fma_f16 v61, v13, v5, v61
	v_pk_fma_f16 v62, v14, v5, v62
	;; [unrolled: 1-line block ×3, first 2 shown]
	ds_load_2addr_b64 v[12:15], v100 offset0:64 offset1:96
	v_mul_u32_u24_e32 v4, 0x10001, v4
	s_wait_dscnt 0x4
	s_delay_alu instid0(VALU_DEP_1)
	v_pk_fma_f16 v110, v107, v4, v60
	v_pk_fma_f16 v64, v108, v4, v64
	;; [unrolled: 1-line block ×4, first 2 shown]
	v_mul_u32_u24_e32 v60, 0x10001, v103
	ds_load_2addr_b64 v[4:7], v100 offset0:128 offset1:160
	s_wait_dscnt 0x4
	v_pk_fma_f16 v64, v10, v104, v64
	v_pk_fma_f16 v65, v11, v104, v65
	;; [unrolled: 1-line block ×7, first 2 shown]
	s_wait_dscnt 0x3
	v_and_b32_e32 v106, 0xffff, v0
	v_pk_fma_f16 v109, v9, v104, v110
	v_lshrrev_b32_e32 v0, 16, v0
	v_mul_u32_u24_e32 v104, 0x10001, v105
	ds_load_2addr_b64 v[60:63], v100 offset0:192 offset1:224
	s_wait_dscnt 0x0
	s_barrier_signal -1
	s_barrier_wait -1
	s_load_b32 s2, s[20:21], 0x4
	v_pk_fma_f16 v9, v9, v104, v103
	v_pk_fma_f16 v10, v10, v104, v107
	;; [unrolled: 1-line block ×4, first 2 shown]
	v_and_b32_e32 v102, 0xffff, v1
	v_lshrrev_b32_e32 v1, 16, v1
	v_and_b32_e32 v104, 0xffff, v3
	v_mul_u32_u24_e32 v105, 0x10001, v106
	v_mul_u32_u24_e32 v0, 0x10001, v0
	v_and_b32_e32 v103, 0xffff, v2
	v_dual_lshrrev_b32 v2, 16, v2 :: v_dual_lshrrev_b32 v3, 16, v3
	v_mul_u32_u24_e32 v102, 0x10001, v102
	v_mul_u32_u24_e32 v1, 0x10001, v1
	;; [unrolled: 1-line block ×3, first 2 shown]
	v_pk_fma_f16 v104, v17, v105, v109
	v_pk_fma_f16 v64, v18, v105, v64
	;; [unrolled: 1-line block ×8, first 2 shown]
	v_mul_u32_u24_e32 v103, 0x10001, v103
	v_mul_u32_u24_e32 v2, 0x10001, v2
	v_pk_fma_f16 v8, v13, v102, v104
	v_pk_fma_f16 v16, v14, v102, v64
	;; [unrolled: 1-line block ×8, first 2 shown]
	v_mul_u32_u24_e32 v3, 0x10001, v3
	v_pk_fma_f16 v1, v5, v103, v8
	v_pk_fma_f16 v8, v6, v103, v16
	;; [unrolled: 1-line block ×8, first 2 shown]
	s_wait_kmcnt 0x0
	s_lshl_b32 s2, s2, 5
	v_pk_fma_f16 v108, v61, v110, v1
	v_pk_fma_f16 v107, v62, v110, v8
	;; [unrolled: 1-line block ×8, first 2 shown]
	s_add_co_i32 s4, s2, s4
	s_delay_alu instid0(SALU_CYCLE_1)
	s_cmp_ge_i32 s4, s30
	s_cbranch_scc0 .LBB9_9
; %bb.10:
	v_mov_b32_e32 v3, v69
.LBB9_11:
	v_cmp_lt_i32_e32 vcc_lo, v80, v71
	s_cmp_lg_u64 s[12:13], 0
	s_cselect_b32 s2, -1, 0
	s_cmp_eq_u32 s31, 0
	v_cndmask_b32_e32 v0, v3, v80, vcc_lo
	v_cmp_lt_i32_e32 vcc_lo, v77, v71
	s_cselect_b32 s3, -1, 0
	s_delay_alu instid0(SALU_CYCLE_1) | instskip(NEXT) | instid1(VALU_DEP_2)
	s_and_b32 s2, s3, s2
	v_dual_cndmask_b32 v2, v3, v77 :: v_dual_lshlrev_b32 v1, 2, v0
	v_cmp_lt_i32_e32 vcc_lo, v76, v71
	s_delay_alu instid0(VALU_DEP_2)
	v_lshlrev_b32_e32 v2, 2, v2
	ds_bpermute_b32 v0, v1, v38
	ds_bpermute_b32 v1, v1, v39
	s_wait_dscnt 0x0
	v_pk_add_f32 v[0:1], v[38:39], v[0:1]
	ds_bpermute_b32 v4, v2, v0
	ds_bpermute_b32 v5, v2, v1
	v_cndmask_b32_e32 v2, v3, v76, vcc_lo
	v_cmp_lt_i32_e32 vcc_lo, v74, v71
	s_delay_alu instid0(VALU_DEP_2)
	v_lshlrev_b32_e32 v2, 2, v2
	s_wait_dscnt 0x0
	v_pk_add_f32 v[0:1], v[0:1], v[4:5]
	ds_bpermute_b32 v4, v2, v0
	ds_bpermute_b32 v5, v2, v1
	v_cndmask_b32_e32 v2, v3, v74, vcc_lo
	v_cmp_lt_i32_e32 vcc_lo, v72, v71
	s_delay_alu instid0(VALU_DEP_2)
	v_lshlrev_b32_e32 v2, 2, v2
	s_wait_dscnt 0x0
	v_pk_add_f32 v[0:1], v[0:1], v[4:5]
	ds_bpermute_b32 v4, v2, v0
	ds_bpermute_b32 v5, v2, v1
	v_cndmask_b32_e32 v2, v3, v72, vcc_lo
	s_and_b32 vcc_lo, exec_lo, s2
	s_mov_b32 s2, 0
	s_delay_alu instid0(VALU_DEP_1)
	v_lshlrev_b32_e32 v2, 2, v2
	s_wait_dscnt 0x0
	v_pk_add_f32 v[0:1], v[0:1], v[4:5]
	ds_bpermute_b32 v4, v2, v0
	ds_bpermute_b32 v5, v2, v1
	v_add_nc_u32_e32 v2, s33, v20
	s_cbranch_vccnz .LBB9_14
; %bb.12:
	v_add_nc_u32_e32 v3, s33, v20
	s_wait_dscnt 0x0
	v_pk_add_f32 v[0:1], v[0:1], v[4:5]
	s_and_not1_b32 vcc_lo, exec_lo, s2
	s_cbranch_vccz .LBB9_15
; %bb.13:
	v_mov_b32_e32 v2, v3
	s_branch .LBB9_16
.LBB9_14:
                                        ; implicit-def: $vgpr3
	s_wait_dscnt 0x0
	v_pk_add_f32 v[0:1], v[0:1], v[4:5]
.LBB9_15:
	s_delay_alu instid0(VALU_DEP_2) | instskip(NEXT) | instid1(VALU_DEP_1)
	v_dual_ashrrev_i32 v3, 31, v2 :: v_dual_max_num_f32 v7, v59, v59
	v_lshl_add_u64 v[4:5], v[2:3], 2, s[12:13]
	v_max_num_f32_e32 v3, v58, v58
	global_load_b64 v[4:5], v[4:5], off
	s_wait_loadcnt 0x0
	v_dual_max_num_f32 v6, v4, v4 :: v_dual_max_num_f32 v8, v5, v5
	s_delay_alu instid0(VALU_DEP_1) | instskip(NEXT) | instid1(VALU_DEP_1)
	v_max_num_f32_e32 v6, v3, v6
	v_dual_max_num_f32 v7, v7, v8 :: v_dual_sub_f32 v3, v58, v6
	s_delay_alu instid0(VALU_DEP_1) | instskip(SKIP_2) | instid1(VALU_DEP_3)
	v_dual_sub_f32 v8, v4, v6 :: v_dual_sub_f32 v9, v59, v7
	v_sub_f32_e32 v10, v5, v7
	v_mov_b64_e32 v[58:59], v[6:7]
	v_dual_mul_f32 v4, 0x3fb8aa3b, v3 :: v_dual_mul_f32 v5, 0x3fb8aa3b, v8
	s_delay_alu instid0(VALU_DEP_4) | instskip(SKIP_1) | instid1(VALU_DEP_3)
	v_mul_f32_e32 v11, 0x3fb8aa3b, v9
	v_cmp_ngt_f32_e32 vcc_lo, 0xc2ce8ed0, v3
	v_fma_f32 v13, 0x3fb8aa3b, v3, -v4
	v_rndne_f32_e32 v14, v4
	s_delay_alu instid0(VALU_DEP_4) | instskip(SKIP_2) | instid1(VALU_DEP_4)
	v_rndne_f32_e32 v18, v11
	v_fma_f32 v17, 0x3fb8aa3b, v9, -v11
	v_rndne_f32_e32 v16, v5
	v_dual_fmac_f32 v13, 0x32a5705f, v3 :: v_dual_sub_f32 v4, v4, v14
	s_delay_alu instid0(VALU_DEP_4) | instskip(SKIP_2) | instid1(VALU_DEP_4)
	v_sub_f32_e32 v11, v11, v18
	v_mul_f32_e32 v12, 0x3fb8aa3b, v10
	v_fma_f32 v15, 0x3fb8aa3b, v8, -v5
	v_dual_sub_f32 v5, v5, v16 :: v_dual_add_f32 v4, v4, v13
	v_cvt_i32_f32_e32 v13, v14
	s_delay_alu instid0(VALU_DEP_4) | instskip(SKIP_4) | instid1(VALU_DEP_3)
	v_fma_f32 v19, 0x3fb8aa3b, v10, -v12
	v_rndne_f32_e32 v20, v12
	v_fmac_f32_e32 v17, 0x32a5705f, v9
	v_exp_f32_e32 v4, v4
	v_cvt_i32_f32_e32 v14, v18
	v_sub_f32_e32 v12, v12, v20
	s_delay_alu instid0(TRANS32_DEP_1) | instskip(SKIP_2) | instid1(VALU_DEP_3)
	v_ldexp_f32 v4, v4, v13
	v_fmac_f32_e32 v19, 0x32a5705f, v10
	v_cvt_i32_f32_e32 v13, v20
	v_cndmask_b32_e32 v4, 0, v4, vcc_lo
	s_delay_alu instid0(VALU_DEP_3) | instskip(SKIP_2) | instid1(VALU_DEP_3)
	v_dual_fmac_f32 v15, 0x32a5705f, v8 :: v_dual_add_f32 v12, v12, v19
	v_add_f32_e32 v11, v11, v17
	v_cmp_ngt_f32_e32 vcc_lo, 0xc2ce8ed0, v9
	v_add_f32_e32 v5, v5, v15
	v_cvt_i32_f32_e32 v15, v16
	s_delay_alu instid0(VALU_DEP_4) | instskip(SKIP_1) | instid1(VALU_DEP_2)
	v_exp_f32_e32 v11, v11
	v_exp_f32_e32 v12, v12
	;; [unrolled: 1-line block ×3, first 2 shown]
	s_delay_alu instid0(TRANS32_DEP_3) | instskip(NEXT) | instid1(TRANS32_DEP_2)
	v_ldexp_f32 v11, v11, v14
	v_ldexp_f32 v12, v12, v13
	s_delay_alu instid0(VALU_DEP_2) | instskip(SKIP_1) | instid1(TRANS32_DEP_1)
	v_cndmask_b32_e32 v11, 0, v11, vcc_lo
	v_cmp_nlt_f32_e32 vcc_lo, 0x42b17218, v3
	v_ldexp_f32 v3, v5, v15
	v_cndmask_b32_e32 v4, 0x7f800000, v4, vcc_lo
	v_cmp_nlt_f32_e32 vcc_lo, 0x42b17218, v9
	s_delay_alu instid0(VALU_DEP_2) | instskip(SKIP_2) | instid1(VALU_DEP_3)
	v_cvt_f16_f32_e32 v9, v4
	v_cndmask_b32_e32 v5, 0x7f800000, v11, vcc_lo
	v_cmp_ngt_f32_e32 vcc_lo, 0xc2ce8ed0, v8
	v_and_b32_e32 v13, 0xffff, v9
	v_cndmask_b32_e32 v3, 0, v3, vcc_lo
	v_cmp_ngt_f32_e32 vcc_lo, 0xc2ce8ed0, v10
	v_cndmask_b32_e32 v11, 0, v12, vcc_lo
	v_cvt_f16_f32_e32 v12, v5
	v_cmp_nlt_f32_e32 vcc_lo, 0x42b17218, v8
	v_cndmask_b32_e32 v8, 0x7f800000, v3, vcc_lo
	v_cmp_nlt_f32_e32 vcc_lo, 0x42b17218, v10
	s_delay_alu instid0(VALU_DEP_4) | instskip(SKIP_2) | instid1(VALU_DEP_3)
	v_and_b32_e32 v3, 0xffff, v12
	v_mul_u32_u24_e32 v10, 0x10001, v13
	v_cndmask_b32_e32 v9, 0x7f800000, v11, vcc_lo
	v_mul_u32_u24_e32 v3, 0x10001, v3
	s_delay_alu instid0(VALU_DEP_3)
	v_pk_mul_f16 v105, v105, v10
	v_pk_mul_f16 v108, v108, v10
	;; [unrolled: 1-line block ×3, first 2 shown]
	v_pk_fma_f32 v[0:1], v[0:1], v[4:5], v[8:9]
	v_pk_mul_f16 v106, v106, v10
	v_pk_mul_f16 v101, v101, v3
	;; [unrolled: 1-line block ×5, first 2 shown]
.LBB9_16:
	s_load_b32 s0, s[0:1], 0xd4
	v_mov_b32_e32 v4, 1.0
	s_wait_kmcnt 0x0
	s_cmp_lg_u32 s0, 1
	s_cselect_b32 s2, -1, 0
	s_cmp_eq_u32 s0, 1
	s_cselect_b32 s1, -1, 0
	s_and_b32 vcc_lo, exec_lo, s2
	s_cbranch_vccnz .LBB9_18
; %bb.17:
	v_div_scale_f32 v3, null, v0, v0, 1.0
	s_delay_alu instid0(VALU_DEP_1) | instskip(SKIP_1) | instid1(TRANS32_DEP_1)
	v_rcp_f32_e32 v4, v3
	v_nop
	v_fma_f32 v5, -v3, v4, 1.0
	s_delay_alu instid0(VALU_DEP_1) | instskip(SKIP_1) | instid1(VALU_DEP_1)
	v_fmac_f32_e32 v4, v5, v4
	v_div_scale_f32 v5, vcc_lo, 1.0, v0, 1.0
	v_mul_f32_e32 v6, v5, v4
	s_delay_alu instid0(VALU_DEP_1) | instskip(NEXT) | instid1(VALU_DEP_1)
	v_fma_f32 v7, -v3, v6, v5
	v_fmac_f32_e32 v6, v7, v4
	s_delay_alu instid0(VALU_DEP_1) | instskip(NEXT) | instid1(VALU_DEP_1)
	v_fma_f32 v3, -v3, v6, v5
	v_div_fmas_f32 v3, v3, v4, v6
	s_delay_alu instid0(VALU_DEP_1)
	v_div_fixup_f32 v4, v3, v0, 1.0
.LBB9_18:
	v_mad_u32 v3, s28, s22, v66
	v_dual_mov_b32 v13, 0 :: v_dual_lshrrev_b32 v5, 16, v108
	v_dual_lshrrev_b32 v11, 16, v107 :: v_dual_lshrrev_b32 v15, 16, v106
	v_cvt_f32_f16_e32 v6, v105
	v_cvt_f32_f16_e32 v8, v108
	s_delay_alu instid0(VALU_DEP_4)
	v_cvt_f32_f16_e32 v9, v5
	v_cvt_f32_f16_e32 v10, v107
	;; [unrolled: 1-line block ×4, first 2 shown]
	v_mad_u32 v2, v3, s23, v2
	v_lshrrev_b32_e32 v3, 16, v105
	v_cvt_f32_f16_e32 v15, v15
	v_cmp_eq_u32_e32 vcc_lo, 0, v21
	v_pk_mul_f32 v[8:9], v[4:5], v[8:9] op_sel_hi:[0,1]
	v_pk_mul_f32 v[10:11], v[4:5], v[10:11] op_sel_hi:[0,1]
	v_cvt_f32_f16_e32 v7, v3
	s_and_b32 s2, vcc_lo, s2
	s_delay_alu instid0(VALU_DEP_1) | instskip(SKIP_1) | instid1(VALU_DEP_1)
	v_pk_mul_f32 v[6:7], v[4:5], v[6:7] op_sel_hi:[0,1]
	v_mad_u32 v2, s0, v2, s31
	v_lshl_add_u32 v12, v2, 8, v67
	s_delay_alu instid0(VALU_DEP_1) | instskip(SKIP_1) | instid1(VALU_DEP_1)
	v_lshl_add_u64 v[16:17], v[12:13], 2, s[16:17]
	v_add_nc_u32_e32 v12, 0x80, v12
	v_lshl_add_u64 v[18:19], v[12:13], 2, s[16:17]
	v_pk_mul_f32 v[12:13], v[4:5], v[14:15] op_sel_hi:[0,1]
	s_clause 0x1
	global_store_b128 v[16:17], v[6:9], off
	global_store_b128 v[18:19], v[10:13], off
	s_wait_xcnt 0x0
	s_and_saveexec_b32 s3, s2
	s_cbranch_execz .LBB9_20
; %bb.19:
	v_dual_mov_b32 v4, v58 :: v_dual_mov_b32 v5, v0
	global_store_b64 v2, v[4:5], s[18:19] scale_offset
.LBB9_20:
	s_wait_xcnt 0x0
	s_or_b32 exec_lo, exec_lo, s3
	v_mov_b32_e32 v0, 1.0
	s_and_not1_b32 vcc_lo, exec_lo, s1
	s_cbranch_vccnz .LBB9_22
; %bb.21:
	v_div_scale_f32 v0, null, v1, v1, 1.0
	s_delay_alu instid0(VALU_DEP_1) | instskip(SKIP_1) | instid1(TRANS32_DEP_1)
	v_rcp_f32_e32 v3, v0
	v_nop
	v_fma_f32 v4, -v0, v3, 1.0
	s_delay_alu instid0(VALU_DEP_1) | instskip(SKIP_1) | instid1(VALU_DEP_1)
	v_fmac_f32_e32 v3, v4, v3
	v_div_scale_f32 v4, vcc_lo, 1.0, v1, 1.0
	v_mul_f32_e32 v5, v4, v3
	s_delay_alu instid0(VALU_DEP_1) | instskip(NEXT) | instid1(VALU_DEP_1)
	v_fma_f32 v6, -v0, v5, v4
	v_fmac_f32_e32 v5, v6, v3
	s_delay_alu instid0(VALU_DEP_1) | instskip(NEXT) | instid1(VALU_DEP_1)
	v_fma_f32 v0, -v0, v5, v4
	v_div_fmas_f32 v0, v0, v3, v5
	s_delay_alu instid0(VALU_DEP_1)
	v_div_fixup_f32 v0, v0, v1, 1.0
.LBB9_22:
	v_dual_mov_b32 v9, 0 :: v_dual_add_nc_u32 v2, s0, v2
	v_dual_lshrrev_b32 v3, 16, v101 :: v_dual_lshrrev_b32 v6, 16, v104
	v_dual_lshrrev_b32 v10, 16, v103 :: v_dual_lshrrev_b32 v14, 16, v102
	s_delay_alu instid0(VALU_DEP_3) | instskip(SKIP_1) | instid1(VALU_DEP_4)
	v_lshl_add_u32 v8, v2, 8, v67
	v_cvt_f32_f16_e32 v4, v101
	v_cvt_f32_f16_e32 v5, v3
	;; [unrolled: 1-line block ×4, first 2 shown]
	v_lshl_add_u64 v[12:13], v[8:9], 2, s[16:17]
	v_add_nc_u32_e32 v8, 0x80, v8
	v_cvt_f32_f16_e32 v11, v10
	v_cvt_f32_f16_e32 v10, v103
	;; [unrolled: 1-line block ×4, first 2 shown]
	v_pk_mul_f32 v[4:5], v[0:1], v[4:5] op_sel_hi:[0,1]
	v_pk_mul_f32 v[6:7], v[0:1], v[6:7] op_sel_hi:[0,1]
	v_lshl_add_u64 v[16:17], v[8:9], 2, s[16:17]
	v_pk_mul_f32 v[8:9], v[0:1], v[10:11] op_sel_hi:[0,1]
	v_pk_mul_f32 v[10:11], v[0:1], v[14:15] op_sel_hi:[0,1]
	s_clause 0x1
	global_store_b128 v[12:13], v[4:7], off
	global_store_b128 v[16:17], v[8:11], off
	s_wait_xcnt 0x0
	s_and_saveexec_b32 s0, s2
	s_cbranch_execz .LBB9_24
; %bb.23:
	v_mov_b32_e32 v0, v59
	global_store_b64 v2, v[0:1], s[18:19] scale_offset
.LBB9_24:
	s_sendmsg sendmsg(MSG_DEALLOC_VGPRS)
	s_endpgm
	.section	.rodata,"a",@progbits
	.p2align	6, 0x0
	.amdhsa_kernel _ZL15flash_attn_tileILi256ELi256ELi1ELi8ELb0EEvPKcS1_S1_S1_S1_PKiPfP15HIP_vector_typeIfLj2EEffffjfiS5_IjLj3EEiiiiiiiiiiiliiliiiiil
		.amdhsa_group_segment_fixed_size 21504
		.amdhsa_private_segment_fixed_size 0
		.amdhsa_kernarg_size 464
		.amdhsa_user_sgpr_count 2
		.amdhsa_user_sgpr_dispatch_ptr 0
		.amdhsa_user_sgpr_queue_ptr 0
		.amdhsa_user_sgpr_kernarg_segment_ptr 1
		.amdhsa_user_sgpr_dispatch_id 0
		.amdhsa_user_sgpr_kernarg_preload_length 0
		.amdhsa_user_sgpr_kernarg_preload_offset 0
		.amdhsa_user_sgpr_private_segment_size 0
		.amdhsa_wavefront_size32 1
		.amdhsa_uses_dynamic_stack 0
		.amdhsa_enable_private_segment 0
		.amdhsa_system_sgpr_workgroup_id_x 1
		.amdhsa_system_sgpr_workgroup_id_y 1
		.amdhsa_system_sgpr_workgroup_id_z 1
		.amdhsa_system_sgpr_workgroup_info 0
		.amdhsa_system_vgpr_workitem_id 1
		.amdhsa_next_free_vgpr 118
		.amdhsa_next_free_sgpr 41
		.amdhsa_named_barrier_count 0
		.amdhsa_reserve_vcc 1
		.amdhsa_float_round_mode_32 0
		.amdhsa_float_round_mode_16_64 0
		.amdhsa_float_denorm_mode_32 3
		.amdhsa_float_denorm_mode_16_64 3
		.amdhsa_fp16_overflow 0
		.amdhsa_memory_ordered 1
		.amdhsa_forward_progress 1
		.amdhsa_inst_pref_size 78
		.amdhsa_round_robin_scheduling 0
		.amdhsa_exception_fp_ieee_invalid_op 0
		.amdhsa_exception_fp_denorm_src 0
		.amdhsa_exception_fp_ieee_div_zero 0
		.amdhsa_exception_fp_ieee_overflow 0
		.amdhsa_exception_fp_ieee_underflow 0
		.amdhsa_exception_fp_ieee_inexact 0
		.amdhsa_exception_int_div_zero 0
	.end_amdhsa_kernel
	.section	.text._ZL15flash_attn_tileILi256ELi256ELi1ELi8ELb0EEvPKcS1_S1_S1_S1_PKiPfP15HIP_vector_typeIfLj2EEffffjfiS5_IjLj3EEiiiiiiiiiiiliiliiiiil,"axG",@progbits,_ZL15flash_attn_tileILi256ELi256ELi1ELi8ELb0EEvPKcS1_S1_S1_S1_PKiPfP15HIP_vector_typeIfLj2EEffffjfiS5_IjLj3EEiiiiiiiiiiiliiliiiiil,comdat
.Lfunc_end9:
	.size	_ZL15flash_attn_tileILi256ELi256ELi1ELi8ELb0EEvPKcS1_S1_S1_S1_PKiPfP15HIP_vector_typeIfLj2EEffffjfiS5_IjLj3EEiiiiiiiiiiiliiliiiiil, .Lfunc_end9-_ZL15flash_attn_tileILi256ELi256ELi1ELi8ELb0EEvPKcS1_S1_S1_S1_PKiPfP15HIP_vector_typeIfLj2EEffffjfiS5_IjLj3EEiiiiiiiiiiiliiliiiiil
                                        ; -- End function
	.set _ZL15flash_attn_tileILi256ELi256ELi1ELi8ELb0EEvPKcS1_S1_S1_S1_PKiPfP15HIP_vector_typeIfLj2EEffffjfiS5_IjLj3EEiiiiiiiiiiiliiliiiiil.num_vgpr, 118
	.set _ZL15flash_attn_tileILi256ELi256ELi1ELi8ELb0EEvPKcS1_S1_S1_S1_PKiPfP15HIP_vector_typeIfLj2EEffffjfiS5_IjLj3EEiiiiiiiiiiiliiliiiiil.num_agpr, 0
	.set _ZL15flash_attn_tileILi256ELi256ELi1ELi8ELb0EEvPKcS1_S1_S1_S1_PKiPfP15HIP_vector_typeIfLj2EEffffjfiS5_IjLj3EEiiiiiiiiiiiliiliiiiil.numbered_sgpr, 41
	.set _ZL15flash_attn_tileILi256ELi256ELi1ELi8ELb0EEvPKcS1_S1_S1_S1_PKiPfP15HIP_vector_typeIfLj2EEffffjfiS5_IjLj3EEiiiiiiiiiiiliiliiiiil.num_named_barrier, 0
	.set _ZL15flash_attn_tileILi256ELi256ELi1ELi8ELb0EEvPKcS1_S1_S1_S1_PKiPfP15HIP_vector_typeIfLj2EEffffjfiS5_IjLj3EEiiiiiiiiiiiliiliiiiil.private_seg_size, 0
	.set _ZL15flash_attn_tileILi256ELi256ELi1ELi8ELb0EEvPKcS1_S1_S1_S1_PKiPfP15HIP_vector_typeIfLj2EEffffjfiS5_IjLj3EEiiiiiiiiiiiliiliiiiil.uses_vcc, 1
	.set _ZL15flash_attn_tileILi256ELi256ELi1ELi8ELb0EEvPKcS1_S1_S1_S1_PKiPfP15HIP_vector_typeIfLj2EEffffjfiS5_IjLj3EEiiiiiiiiiiiliiliiiiil.uses_flat_scratch, 0
	.set _ZL15flash_attn_tileILi256ELi256ELi1ELi8ELb0EEvPKcS1_S1_S1_S1_PKiPfP15HIP_vector_typeIfLj2EEffffjfiS5_IjLj3EEiiiiiiiiiiiliiliiiiil.has_dyn_sized_stack, 0
	.set _ZL15flash_attn_tileILi256ELi256ELi1ELi8ELb0EEvPKcS1_S1_S1_S1_PKiPfP15HIP_vector_typeIfLj2EEffffjfiS5_IjLj3EEiiiiiiiiiiiliiliiiiil.has_recursion, 0
	.set _ZL15flash_attn_tileILi256ELi256ELi1ELi8ELb0EEvPKcS1_S1_S1_S1_PKiPfP15HIP_vector_typeIfLj2EEffffjfiS5_IjLj3EEiiiiiiiiiiiliiliiiiil.has_indirect_call, 0
	.section	.AMDGPU.csdata,"",@progbits
; Kernel info:
; codeLenInByte = 9952
; TotalNumSgprs: 43
; NumVgprs: 118
; ScratchSize: 0
; MemoryBound: 0
; FloatMode: 240
; IeeeMode: 1
; LDSByteSize: 21504 bytes/workgroup (compile time only)
; SGPRBlocks: 0
; VGPRBlocks: 7
; NumSGPRsForWavesPerEU: 43
; NumVGPRsForWavesPerEU: 118
; NamedBarCnt: 0
; Occupancy: 8
; WaveLimiterHint : 1
; COMPUTE_PGM_RSRC2:SCRATCH_EN: 0
; COMPUTE_PGM_RSRC2:USER_SGPR: 2
; COMPUTE_PGM_RSRC2:TRAP_HANDLER: 0
; COMPUTE_PGM_RSRC2:TGID_X_EN: 1
; COMPUTE_PGM_RSRC2:TGID_Y_EN: 1
; COMPUTE_PGM_RSRC2:TGID_Z_EN: 1
; COMPUTE_PGM_RSRC2:TIDIG_COMP_CNT: 1
	.section	.text._ZL25flash_attn_mask_to_KV_maxILi1EEvPK7__half2Piiii,"axG",@progbits,_ZL25flash_attn_mask_to_KV_maxILi1EEvPK7__half2Piiii,comdat
	.globl	_ZL25flash_attn_mask_to_KV_maxILi1EEvPK7__half2Piiii ; -- Begin function _ZL25flash_attn_mask_to_KV_maxILi1EEvPK7__half2Piiii
	.p2align	8
	.type	_ZL25flash_attn_mask_to_KV_maxILi1EEvPK7__half2Piiii,@function
_ZL25flash_attn_mask_to_KV_maxILi1EEvPK7__half2Piiii: ; @_ZL25flash_attn_mask_to_KV_maxILi1EEvPK7__half2Piiii
; %bb.0:
	s_load_b128 s[4:7], s[0:1], 0x0
	s_mov_b32 s2, exec_lo
	v_cmpx_gt_u32_e32 32, v0
; %bb.1:
	v_dual_mov_b32 v2, 1 :: v_dual_lshlrev_b32 v1, 2, v0
	ds_store_b32 v1, v2
; %bb.2:
	s_or_b32 exec_lo, exec_lo, s2
	s_clause 0x1
	s_load_b96 s[8:10], s[0:1], 0x10
	s_load_b32 s11, s[0:1], 0x20
	s_wait_xcnt 0x0
	s_bfe_u32 s1, ttmp6, 0x4000c
	s_bfe_u32 s2, ttmp6, 0x40010
	s_add_co_i32 s1, s1, 1
	s_add_co_i32 s2, s2, 1
	s_and_b32 s0, ttmp6, 15
	s_bfe_u32 s3, ttmp6, 0x40004
	s_mul_i32 s1, ttmp9, s1
	s_mul_i32 s2, ttmp7, s2
	s_getreg_b32 s12, hwreg(HW_REG_IB_STS2, 6, 4)
	s_add_co_i32 s0, s0, s1
	s_add_co_i32 s3, s3, s2
	s_cmp_eq_u32 s12, 0
	v_dual_lshrrev_b32 v1, 3, v0 :: v_dual_bitop2_b32 v2, 31, v0 bitop3:0x40
	s_cselect_b32 s1, ttmp7, s3
	s_cselect_b32 s12, ttmp9, s0
	s_wait_dscnt 0x0
	s_barrier_signal -1
	s_wait_kmcnt 0x0
	s_mul_i32 s0, s10, s1
	s_mul_i32 s2, s9, s12
	s_barrier_wait -1
	s_add_co_i32 s2, s0, s2
	v_cmp_eq_u32_e64 s0, 0, v2
	s_ashr_i32 s3, s2, 31
	v_lshlrev_b32_e32 v2, 2, v2
	s_lshl_b64 s[2:3], s[2:3], 2
	s_delay_alu instid0(SALU_CYCLE_1)
	s_add_nc_u64 s[2:3], s[4:5], s[2:3]
	s_lshl_b32 s5, s8, 8
	s_branch .LBB10_4
.LBB10_3:                               ;   in Loop: Header=BB10_4 Depth=1
	s_or_b32 exec_lo, exec_lo, s9
	s_wait_dscnt 0x0
	s_barrier_signal -1
	s_barrier_wait -1
	ds_load_b32 v3, v2
	s_wait_dscnt 0x0
	s_barrier_signal -1
	s_barrier_wait -1
	v_cmp_ne_u32_e32 vcc_lo, 0, v3
	s_cmp_lg_u32 vcc_lo, exec_lo
	s_cselect_b32 s8, -1, 0
	s_delay_alu instid0(SALU_CYCLE_1)
	s_and_b32 vcc_lo, exec_lo, s8
	s_cbranch_vccnz .LBB10_8
.LBB10_4:                               ; =>This Inner Loop Header: Depth=1
	s_mov_b32 s4, s5
	s_addk_co_i32 s5, 0xff00
	s_delay_alu instid0(SALU_CYCLE_1)
	s_cmp_lt_i32 s5, 0
	s_cbranch_scc1 .LBB10_7
; %bb.5:                                ;   in Loop: Header=BB10_4 Depth=1
	s_lshr_b32 s9, s5, 1
	s_mov_b32 s8, exec_lo
	v_add_nc_u32_e32 v3, s9, v0
	global_load_b32 v3, v3, s[2:3] scale_offset
	s_wait_loadcnt 0x0
	v_lshrrev_b32_e32 v4, 16, v3
	v_cmp_class_f16_e64 s9, v3, 0x204
	s_delay_alu instid0(VALU_DEP_2) | instskip(SKIP_1) | instid1(SALU_CYCLE_1)
	v_cmp_class_f16_e64 s10, v4, 0x204
	s_and_b32 s9, s9, s10
	v_cndmask_b32_e64 v3, 0, 1, s9
	s_delay_alu instid0(VALU_DEP_1)
	v_cmp_ne_u32_e32 vcc_lo, 0, v3
	s_and_saveexec_b32 s9, s0
	s_cbranch_execz .LBB10_3
; %bb.6:                                ;   in Loop: Header=BB10_4 Depth=1
	s_cmp_eq_u32 vcc_lo, s8
	s_cselect_b32 s8, -1, 0
	s_delay_alu instid0(SALU_CYCLE_1)
	v_cndmask_b32_e64 v3, 0, 1, s8
	ds_store_b32 v1, v3
	s_branch .LBB10_3
.LBB10_7:                               ;   in Loop: Header=BB10_4 Depth=1
	s_cbranch_execz .LBB10_4
.LBB10_8:
	s_mov_b32 s0, exec_lo
	v_cmpx_eq_u32_e32 0, v0
	s_cbranch_execz .LBB10_10
; %bb.9:
	s_mul_i32 s0, s11, s1
	v_mov_b32_e32 v1, s4
	s_add_co_i32 s0, s0, s12
	s_delay_alu instid0(SALU_CYCLE_1)
	v_mov_b32_e32 v0, s0
	global_store_b32 v0, v1, s[6:7] scale_offset
.LBB10_10:
	s_endpgm
	.section	.rodata,"a",@progbits
	.p2align	6, 0x0
	.amdhsa_kernel _ZL25flash_attn_mask_to_KV_maxILi1EEvPK7__half2Piiii
		.amdhsa_group_segment_fixed_size 128
		.amdhsa_private_segment_fixed_size 0
		.amdhsa_kernarg_size 288
		.amdhsa_user_sgpr_count 2
		.amdhsa_user_sgpr_dispatch_ptr 0
		.amdhsa_user_sgpr_queue_ptr 0
		.amdhsa_user_sgpr_kernarg_segment_ptr 1
		.amdhsa_user_sgpr_dispatch_id 0
		.amdhsa_user_sgpr_kernarg_preload_length 0
		.amdhsa_user_sgpr_kernarg_preload_offset 0
		.amdhsa_user_sgpr_private_segment_size 0
		.amdhsa_wavefront_size32 1
		.amdhsa_uses_dynamic_stack 0
		.amdhsa_enable_private_segment 0
		.amdhsa_system_sgpr_workgroup_id_x 1
		.amdhsa_system_sgpr_workgroup_id_y 1
		.amdhsa_system_sgpr_workgroup_id_z 0
		.amdhsa_system_sgpr_workgroup_info 0
		.amdhsa_system_vgpr_workitem_id 0
		.amdhsa_next_free_vgpr 5
		.amdhsa_next_free_sgpr 13
		.amdhsa_named_barrier_count 0
		.amdhsa_reserve_vcc 1
		.amdhsa_float_round_mode_32 0
		.amdhsa_float_round_mode_16_64 0
		.amdhsa_float_denorm_mode_32 3
		.amdhsa_float_denorm_mode_16_64 3
		.amdhsa_fp16_overflow 0
		.amdhsa_memory_ordered 1
		.amdhsa_forward_progress 1
		.amdhsa_inst_pref_size 4
		.amdhsa_round_robin_scheduling 0
		.amdhsa_exception_fp_ieee_invalid_op 0
		.amdhsa_exception_fp_denorm_src 0
		.amdhsa_exception_fp_ieee_div_zero 0
		.amdhsa_exception_fp_ieee_overflow 0
		.amdhsa_exception_fp_ieee_underflow 0
		.amdhsa_exception_fp_ieee_inexact 0
		.amdhsa_exception_int_div_zero 0
	.end_amdhsa_kernel
	.section	.text._ZL25flash_attn_mask_to_KV_maxILi1EEvPK7__half2Piiii,"axG",@progbits,_ZL25flash_attn_mask_to_KV_maxILi1EEvPK7__half2Piiii,comdat
.Lfunc_end10:
	.size	_ZL25flash_attn_mask_to_KV_maxILi1EEvPK7__half2Piiii, .Lfunc_end10-_ZL25flash_attn_mask_to_KV_maxILi1EEvPK7__half2Piiii
                                        ; -- End function
	.set _ZL25flash_attn_mask_to_KV_maxILi1EEvPK7__half2Piiii.num_vgpr, 5
	.set _ZL25flash_attn_mask_to_KV_maxILi1EEvPK7__half2Piiii.num_agpr, 0
	.set _ZL25flash_attn_mask_to_KV_maxILi1EEvPK7__half2Piiii.numbered_sgpr, 13
	.set _ZL25flash_attn_mask_to_KV_maxILi1EEvPK7__half2Piiii.num_named_barrier, 0
	.set _ZL25flash_attn_mask_to_KV_maxILi1EEvPK7__half2Piiii.private_seg_size, 0
	.set _ZL25flash_attn_mask_to_KV_maxILi1EEvPK7__half2Piiii.uses_vcc, 1
	.set _ZL25flash_attn_mask_to_KV_maxILi1EEvPK7__half2Piiii.uses_flat_scratch, 0
	.set _ZL25flash_attn_mask_to_KV_maxILi1EEvPK7__half2Piiii.has_dyn_sized_stack, 0
	.set _ZL25flash_attn_mask_to_KV_maxILi1EEvPK7__half2Piiii.has_recursion, 0
	.set _ZL25flash_attn_mask_to_KV_maxILi1EEvPK7__half2Piiii.has_indirect_call, 0
	.section	.AMDGPU.csdata,"",@progbits
; Kernel info:
; codeLenInByte = 456
; TotalNumSgprs: 15
; NumVgprs: 5
; ScratchSize: 0
; MemoryBound: 0
; FloatMode: 240
; IeeeMode: 1
; LDSByteSize: 128 bytes/workgroup (compile time only)
; SGPRBlocks: 0
; VGPRBlocks: 0
; NumSGPRsForWavesPerEU: 15
; NumVGPRsForWavesPerEU: 5
; NamedBarCnt: 0
; Occupancy: 16
; WaveLimiterHint : 0
; COMPUTE_PGM_RSRC2:SCRATCH_EN: 0
; COMPUTE_PGM_RSRC2:USER_SGPR: 2
; COMPUTE_PGM_RSRC2:TRAP_HANDLER: 0
; COMPUTE_PGM_RSRC2:TGID_X_EN: 1
; COMPUTE_PGM_RSRC2:TGID_Y_EN: 1
; COMPUTE_PGM_RSRC2:TGID_Z_EN: 0
; COMPUTE_PGM_RSRC2:TIDIG_COMP_CNT: 0
	.section	.text._ZL33flash_attn_stream_k_fixup_uniformILi256ELi1ELi8EEvPfPK15HIP_vector_typeIfLj2EEiiiiiiS1_IjLj3EES5_S5_,"axG",@progbits,_ZL33flash_attn_stream_k_fixup_uniformILi256ELi1ELi8EEvPfPK15HIP_vector_typeIfLj2EEiiiiiiS1_IjLj3EES5_S5_,comdat
	.globl	_ZL33flash_attn_stream_k_fixup_uniformILi256ELi1ELi8EEvPfPK15HIP_vector_typeIfLj2EEiiiiiiS1_IjLj3EES5_S5_ ; -- Begin function _ZL33flash_attn_stream_k_fixup_uniformILi256ELi1ELi8EEvPfPK15HIP_vector_typeIfLj2EEiiiiiiS1_IjLj3EES5_S5_
	.p2align	8
	.type	_ZL33flash_attn_stream_k_fixup_uniformILi256ELi1ELi8EEvPfPK15HIP_vector_typeIfLj2EEiiiiiiS1_IjLj3EES5_S5_,@function
_ZL33flash_attn_stream_k_fixup_uniformILi256ELi1ELi8EEvPfPK15HIP_vector_typeIfLj2EEiiiiiiS1_IjLj3EES5_S5_: ; @_ZL33flash_attn_stream_k_fixup_uniformILi256ELi1ELi8EEvPfPK15HIP_vector_typeIfLj2EEiiiiiiS1_IjLj3EES5_S5_
; %bb.0:
	s_load_b256 s[4:11], s[0:1], 0x1c
	s_bfe_u32 s2, ttmp6, 0x40014
	s_lshr_b32 s3, ttmp7, 16
	s_add_co_i32 s2, s2, 1
	s_bfe_u32 s13, ttmp6, 0x40010
	s_mul_i32 s2, s3, s2
	s_bfe_u32 s12, ttmp6, 0x40008
	s_and_b32 s15, ttmp7, 0xffff
	s_add_co_i32 s13, s13, 1
	s_bfe_u32 s14, ttmp6, 0x4000c
	s_add_co_i32 s12, s12, s2
	s_mul_i32 s2, s15, s13
	s_bfe_u32 s13, ttmp6, 0x40004
	s_add_co_i32 s14, s14, 1
	s_add_co_i32 s13, s13, s2
	s_and_b32 s2, ttmp6, 15
	s_mul_i32 s14, ttmp9, s14
	s_getreg_b32 s20, hwreg(HW_REG_IB_STS2, 6, 4)
	s_add_co_i32 s2, s2, s14
	s_load_b128 s[16:19], s[0:1], 0x3c
	s_cmp_eq_u32 s20, 0
	s_cselect_b32 s14, ttmp9, s2
	s_cselect_b32 s13, s15, s13
	s_wait_kmcnt 0x0
	s_mul_hi_u32 s2, s7, s14
	s_cselect_b32 s12, s3, s12
	s_add_co_i32 s2, s14, s2
	s_delay_alu instid0(SALU_CYCLE_1) | instskip(NEXT) | instid1(SALU_CYCLE_1)
	s_lshr_b32 s7, s2, s8
	s_mul_i32 s2, s7, s9
	s_delay_alu instid0(SALU_CYCLE_1) | instskip(SKIP_2) | instid1(SALU_CYCLE_1)
	s_sub_co_i32 s8, s14, s2
	s_load_b64 s[2:3], s[0:1], 0x10
	s_mul_hi_u32 s9, s8, s10
	s_add_co_i32 s9, s8, s9
	s_delay_alu instid0(SALU_CYCLE_1) | instskip(NEXT) | instid1(SALU_CYCLE_1)
	s_lshr_b32 s15, s9, s11
	s_mul_i32 s9, s15, s16
	s_delay_alu instid0(SALU_CYCLE_1) | instskip(NEXT) | instid1(SALU_CYCLE_1)
	s_sub_co_i32 s8, s8, s9
	s_mul_hi_u32 s9, s8, s17
	s_delay_alu instid0(SALU_CYCLE_1) | instskip(NEXT) | instid1(SALU_CYCLE_1)
	s_add_co_i32 s9, s8, s9
	s_lshr_b32 s9, s9, s18
	s_delay_alu instid0(SALU_CYCLE_1) | instskip(SKIP_2) | instid1(SALU_CYCLE_1)
	s_mul_i32 s10, s9, s19
	s_lshl_b32 s17, s9, 3
	s_sub_co_i32 s16, s8, s10
	s_add_co_i32 s16, s16, s13
	s_wait_kmcnt 0x0
	s_cmp_lt_i32 s16, s2
	s_cselect_b32 s8, -1, 0
	s_add_co_i32 s17, s17, s12
	s_delay_alu instid0(SALU_CYCLE_1) | instskip(SKIP_1) | instid1(SALU_CYCLE_1)
	s_cmp_lt_i32 s17, s5
	s_cselect_b32 s9, -1, 0
	s_and_b32 s8, s8, s9
	s_delay_alu instid0(SALU_CYCLE_1)
	s_and_not1_b32 vcc_lo, exec_lo, s8
	s_cbranch_vccnz .LBB11_6
; %bb.1:
	s_load_b128 s[8:11], s[0:1], 0x0
	s_mul_i32 s7, s7, s2
	s_mul_i32 s15, s15, s5
	s_wait_xcnt 0x0
	s_add_co_i32 s0, s16, s7
	s_add_co_i32 s1, s17, s15
	s_mul_i32 s0, s0, s3
	s_mul_i32 s7, s6, s14
	s_add_co_i32 s1, s1, s0
	s_add_co_i32 s5, s7, s6
	v_lshl_or_b32 v4, s1, 8, v0
	s_add_co_i32 s0, s13, s5
	s_add_co_i32 s2, s5, -2
	s_lshl_b32 s0, s0, 3
	s_delay_alu instid0(SALU_CYCLE_1) | instskip(SKIP_2) | instid1(SALU_CYCLE_1)
	s_add_co_i32 s0, s0, s12
	v_ashrrev_i32_e32 v5, 31, v4
	s_add_co_i32 s0, s0, -8
	s_ashr_i32 s1, s0, 31
	s_delay_alu instid0(SALU_CYCLE_1)
	s_lshl_b64 s[0:1], s[0:1], 3
	s_wait_kmcnt 0x0
	global_load_b32 v3, v4, s[8:9] scale_offset
	s_add_nc_u64 s[0:1], s[10:11], s[0:1]
	s_cmp_lt_i32 s2, s7
	s_load_b32 s15, s[0:1], 0x4
	s_cbranch_scc1 .LBB11_4
; %bb.2:
	s_wait_xcnt 0x0
	s_load_b32 s0, s[0:1], 0x0
	s_add_co_i32 s14, s14, 1
	s_wait_xcnt 0x0
	s_lshl_b32 s1, s12, 8
	s_mul_i32 s3, s6, s14
	s_lshl_b32 s6, s13, 11
	s_lshl_b32 s14, s3, 11
	s_add_co_i32 s1, s1, s6
	s_lshl_b32 s2, s4, 5
	s_add_co_i32 s1, s1, s14
	s_add_co_i32 s4, s13, s4
	s_wait_kmcnt 0x0
	v_dual_mov_b32 v2, s15 :: v_dual_bitop2_b32 v0, s1, v0 bitop3:0x54
	s_add_co_i32 s4, s4, s5
	s_ashr_i32 s3, s2, 31
	s_lshl_b32 s1, s4, 3
	s_delay_alu instid0(VALU_DEP_1)
	v_add_nc_u32_e32 v0, 0xfffff000, v0
	s_lshl_b64 s[2:3], s[2:3], 2
	s_add_co_i32 s4, s12, s1
	s_add_nc_u64 s[2:3], s[10:11], s[2:3]
	s_add_co_i32 s1, s5, -1
	s_add_co_i32 s4, s4, -16
.LBB11_3:                               ; =>This Inner Loop Header: Depth=1
	global_load_b32 v7, v0, s[2:3] scale_offset
	s_ashr_i32 s5, s4, 31
	v_max_num_f32_e64 v1, s0, s0
	s_lshl_b64 s[12:13], s[4:5], 3
	s_delay_alu instid0(SALU_CYCLE_1) | instskip(SKIP_1) | instid1(VALU_DEP_1)
	s_add_nc_u64 s[12:13], s[10:11], s[12:13]
	s_load_b64 s[12:13], s[12:13], 0x0
	v_readfirstlane_b32 s5, v1
	v_add_nc_u32_e32 v0, 0xfffff800, v0
	s_wait_kmcnt 0x0
	v_max_num_f32_e64 v1, s12, s12
	s_delay_alu instid0(VALU_DEP_1) | instskip(SKIP_1) | instid1(SALU_CYCLE_3)
	v_readfirstlane_b32 s6, v1
	s_max_num_f32 s5, s5, s6
	s_sub_f32 s0, s0, s5
	s_sub_f32 s6, s12, s5
	s_delay_alu instid0(SALU_CYCLE_2) | instskip(NEXT) | instid1(SALU_CYCLE_2)
	s_mul_f32 s12, s0, 0x3fb8aa3b
	s_mul_f32 s14, s6, 0x3fb8aa3b
	s_delay_alu instid0(SALU_CYCLE_2)
	s_xor_b32 s15, s12, 0x80000000
	s_rndne_f32 s16, s12
	s_fmamk_f32 s15, s0, 0x3fb8aa3b, s15
	s_cmp_nlt_f32 s0, 0xc2ce8ed0
	s_rndne_f32 s17, s14
	s_sub_f32 s12, s12, s16
	s_fmamk_f32 s15, s0, 0x32a5705f, s15
	s_cselect_b32 vcc_lo, -1, 0
	s_cmp_ngt_f32 s0, 0x42b17218
	s_delay_alu instid0(SALU_CYCLE_1) | instskip(SKIP_2) | instid1(SALU_CYCLE_1)
	s_add_f32 s12, s12, s15
	s_cvt_i32_f32 s15, s16
	s_sub_f32 s16, s14, s17
	v_s_exp_f32 s12, s12
	v_nop
	s_delay_alu instid0(TRANS32_DEP_1) | instskip(SKIP_1) | instid1(VALU_DEP_1)
	v_ldexp_f32 v1, s12, s15
	s_cvt_i32_f32 s12, s17
	v_cndmask_b32_e32 v1, 0, v1, vcc_lo
	s_cselect_b32 vcc_lo, -1, 0
	s_cmp_ge_f32 s0, 0xc1a00000
	s_delay_alu instid0(VALU_DEP_1)
	v_cndmask_b32_e32 v1, 0x7f800000, v1, vcc_lo
	s_cselect_b32 vcc_lo, -1, 0
	s_xor_b32 s0, s14, 0x80000000
	s_cmp_nlt_f32 s6, 0xc2ce8ed0
	s_fmamk_f32 s0, s6, 0x3fb8aa3b, s0
	v_cndmask_b32_e32 v10, 0, v1, vcc_lo
	s_delay_alu instid0(SALU_CYCLE_2) | instskip(NEXT) | instid1(SALU_CYCLE_3)
	s_fmamk_f32 s0, s6, 0x32a5705f, s0
	s_add_f32 s0, s16, s0
	s_delay_alu instid0(SALU_CYCLE_3) | instskip(SKIP_1) | instid1(TRANS32_DEP_1)
	v_s_exp_f32 s0, s0
	v_nop
	v_ldexp_f32 v6, s0, s12
	s_cselect_b32 s0, -1, 0
	s_cmp_ngt_f32 s6, 0x42b17218
	s_delay_alu instid0(VALU_DEP_1) | instskip(SKIP_2) | instid1(VALU_DEP_1)
	v_cndmask_b32_e64 v6, 0, v6, s0
	s_cselect_b32 s0, -1, 0
	s_cmp_ge_f32 s6, 0xc1a00000
	v_cndmask_b32_e64 v8, 0x7f800000, v6, s0
	s_cselect_b32 s0, -1, 0
	v_mov_b32_e32 v6, s13
	s_add_co_i32 s1, s1, -1
	s_add_co_i32 s4, s4, -8
	v_cndmask_b32_e64 v8, 0, v8, s0
	s_cmp_le_i32 s1, s7
	s_mov_b32 s0, s5
	s_wait_loadcnt 0x0
	s_delay_alu instid0(VALU_DEP_1) | instskip(NEXT) | instid1(VALU_DEP_1)
	v_pk_mul_f32 v[6:7], v[6:7], v[8:9] op_sel_hi:[1,0]
	v_pk_fma_f32 v[2:3], v[2:3], v[10:11], v[6:7] op_sel_hi:[1,0,1]
	s_cbranch_scc0 .LBB11_3
	s_branch .LBB11_5
.LBB11_4:
	s_wait_kmcnt 0x0
	v_mov_b32_e32 v2, s15
.LBB11_5:
	v_lshl_add_u64 v[0:1], v[4:5], 2, s[8:9]
	s_wait_loadcnt 0x0
	s_delay_alu instid0(VALU_DEP_2) | instskip(NEXT) | instid1(VALU_DEP_1)
	v_div_scale_f32 v4, null, v2, v2, v3
	v_rcp_f32_e32 v5, v4
	v_nop
	s_delay_alu instid0(TRANS32_DEP_1) | instskip(NEXT) | instid1(VALU_DEP_1)
	v_fma_f32 v6, -v4, v5, 1.0
	v_fmac_f32_e32 v5, v6, v5
	v_div_scale_f32 v6, vcc_lo, v3, v2, v3
	s_delay_alu instid0(VALU_DEP_1) | instskip(NEXT) | instid1(VALU_DEP_1)
	v_mul_f32_e32 v7, v6, v5
	v_fma_f32 v8, -v4, v7, v6
	s_delay_alu instid0(VALU_DEP_1) | instskip(NEXT) | instid1(VALU_DEP_1)
	v_fmac_f32_e32 v7, v8, v5
	v_fma_f32 v4, -v4, v7, v6
	s_delay_alu instid0(VALU_DEP_1) | instskip(NEXT) | instid1(VALU_DEP_1)
	v_div_fmas_f32 v4, v4, v5, v7
	v_div_fixup_f32 v2, v4, v2, v3
	global_store_b32 v[0:1], v2, off
.LBB11_6:
	s_endpgm
	.section	.rodata,"a",@progbits
	.p2align	6, 0x0
	.amdhsa_kernel _ZL33flash_attn_stream_k_fixup_uniformILi256ELi1ELi8EEvPfPK15HIP_vector_typeIfLj2EEiiiiiiS1_IjLj3EES5_S5_
		.amdhsa_group_segment_fixed_size 0
		.amdhsa_private_segment_fixed_size 0
		.amdhsa_kernarg_size 76
		.amdhsa_user_sgpr_count 2
		.amdhsa_user_sgpr_dispatch_ptr 0
		.amdhsa_user_sgpr_queue_ptr 0
		.amdhsa_user_sgpr_kernarg_segment_ptr 1
		.amdhsa_user_sgpr_dispatch_id 0
		.amdhsa_user_sgpr_kernarg_preload_length 0
		.amdhsa_user_sgpr_kernarg_preload_offset 0
		.amdhsa_user_sgpr_private_segment_size 0
		.amdhsa_wavefront_size32 1
		.amdhsa_uses_dynamic_stack 0
		.amdhsa_enable_private_segment 0
		.amdhsa_system_sgpr_workgroup_id_x 1
		.amdhsa_system_sgpr_workgroup_id_y 1
		.amdhsa_system_sgpr_workgroup_id_z 1
		.amdhsa_system_sgpr_workgroup_info 0
		.amdhsa_system_vgpr_workitem_id 0
		.amdhsa_next_free_vgpr 12
		.amdhsa_next_free_sgpr 21
		.amdhsa_named_barrier_count 0
		.amdhsa_reserve_vcc 1
		.amdhsa_float_round_mode_32 0
		.amdhsa_float_round_mode_16_64 0
		.amdhsa_float_denorm_mode_32 3
		.amdhsa_float_denorm_mode_16_64 3
		.amdhsa_fp16_overflow 0
		.amdhsa_memory_ordered 1
		.amdhsa_forward_progress 1
		.amdhsa_inst_pref_size 9
		.amdhsa_round_robin_scheduling 0
		.amdhsa_exception_fp_ieee_invalid_op 0
		.amdhsa_exception_fp_denorm_src 0
		.amdhsa_exception_fp_ieee_div_zero 0
		.amdhsa_exception_fp_ieee_overflow 0
		.amdhsa_exception_fp_ieee_underflow 0
		.amdhsa_exception_fp_ieee_inexact 0
		.amdhsa_exception_int_div_zero 0
	.end_amdhsa_kernel
	.section	.text._ZL33flash_attn_stream_k_fixup_uniformILi256ELi1ELi8EEvPfPK15HIP_vector_typeIfLj2EEiiiiiiS1_IjLj3EES5_S5_,"axG",@progbits,_ZL33flash_attn_stream_k_fixup_uniformILi256ELi1ELi8EEvPfPK15HIP_vector_typeIfLj2EEiiiiiiS1_IjLj3EES5_S5_,comdat
.Lfunc_end11:
	.size	_ZL33flash_attn_stream_k_fixup_uniformILi256ELi1ELi8EEvPfPK15HIP_vector_typeIfLj2EEiiiiiiS1_IjLj3EES5_S5_, .Lfunc_end11-_ZL33flash_attn_stream_k_fixup_uniformILi256ELi1ELi8EEvPfPK15HIP_vector_typeIfLj2EEiiiiiiS1_IjLj3EES5_S5_
                                        ; -- End function
	.set _ZL33flash_attn_stream_k_fixup_uniformILi256ELi1ELi8EEvPfPK15HIP_vector_typeIfLj2EEiiiiiiS1_IjLj3EES5_S5_.num_vgpr, 12
	.set _ZL33flash_attn_stream_k_fixup_uniformILi256ELi1ELi8EEvPfPK15HIP_vector_typeIfLj2EEiiiiiiS1_IjLj3EES5_S5_.num_agpr, 0
	.set _ZL33flash_attn_stream_k_fixup_uniformILi256ELi1ELi8EEvPfPK15HIP_vector_typeIfLj2EEiiiiiiS1_IjLj3EES5_S5_.numbered_sgpr, 21
	.set _ZL33flash_attn_stream_k_fixup_uniformILi256ELi1ELi8EEvPfPK15HIP_vector_typeIfLj2EEiiiiiiS1_IjLj3EES5_S5_.num_named_barrier, 0
	.set _ZL33flash_attn_stream_k_fixup_uniformILi256ELi1ELi8EEvPfPK15HIP_vector_typeIfLj2EEiiiiiiS1_IjLj3EES5_S5_.private_seg_size, 0
	.set _ZL33flash_attn_stream_k_fixup_uniformILi256ELi1ELi8EEvPfPK15HIP_vector_typeIfLj2EEiiiiiiS1_IjLj3EES5_S5_.uses_vcc, 1
	.set _ZL33flash_attn_stream_k_fixup_uniformILi256ELi1ELi8EEvPfPK15HIP_vector_typeIfLj2EEiiiiiiS1_IjLj3EES5_S5_.uses_flat_scratch, 0
	.set _ZL33flash_attn_stream_k_fixup_uniformILi256ELi1ELi8EEvPfPK15HIP_vector_typeIfLj2EEiiiiiiS1_IjLj3EES5_S5_.has_dyn_sized_stack, 0
	.set _ZL33flash_attn_stream_k_fixup_uniformILi256ELi1ELi8EEvPfPK15HIP_vector_typeIfLj2EEiiiiiiS1_IjLj3EES5_S5_.has_recursion, 0
	.set _ZL33flash_attn_stream_k_fixup_uniformILi256ELi1ELi8EEvPfPK15HIP_vector_typeIfLj2EEiiiiiiS1_IjLj3EES5_S5_.has_indirect_call, 0
	.section	.AMDGPU.csdata,"",@progbits
; Kernel info:
; codeLenInByte = 1072
; TotalNumSgprs: 23
; NumVgprs: 12
; ScratchSize: 0
; MemoryBound: 0
; FloatMode: 240
; IeeeMode: 1
; LDSByteSize: 0 bytes/workgroup (compile time only)
; SGPRBlocks: 0
; VGPRBlocks: 0
; NumSGPRsForWavesPerEU: 23
; NumVGPRsForWavesPerEU: 12
; NamedBarCnt: 0
; Occupancy: 16
; WaveLimiterHint : 0
; COMPUTE_PGM_RSRC2:SCRATCH_EN: 0
; COMPUTE_PGM_RSRC2:USER_SGPR: 2
; COMPUTE_PGM_RSRC2:TRAP_HANDLER: 0
; COMPUTE_PGM_RSRC2:TGID_X_EN: 1
; COMPUTE_PGM_RSRC2:TGID_Y_EN: 1
; COMPUTE_PGM_RSRC2:TGID_Z_EN: 1
; COMPUTE_PGM_RSRC2:TIDIG_COMP_CNT: 0
	.section	.text._ZL33flash_attn_stream_k_fixup_generalILi256ELi1ELi8EEvPfPK15HIP_vector_typeIfLj2EEiiiiS1_IjLj3EES5_S5_S5_,"axG",@progbits,_ZL33flash_attn_stream_k_fixup_generalILi256ELi1ELi8EEvPfPK15HIP_vector_typeIfLj2EEiiiiS1_IjLj3EES5_S5_S5_,comdat
	.globl	_ZL33flash_attn_stream_k_fixup_generalILi256ELi1ELi8EEvPfPK15HIP_vector_typeIfLj2EEiiiiS1_IjLj3EES5_S5_S5_ ; -- Begin function _ZL33flash_attn_stream_k_fixup_generalILi256ELi1ELi8EEvPfPK15HIP_vector_typeIfLj2EEiiiiS1_IjLj3EES5_S5_S5_
	.p2align	8
	.type	_ZL33flash_attn_stream_k_fixup_generalILi256ELi1ELi8EEvPfPK15HIP_vector_typeIfLj2EEiiiiS1_IjLj3EES5_S5_S5_,@function
_ZL33flash_attn_stream_k_fixup_generalILi256ELi1ELi8EEvPfPK15HIP_vector_typeIfLj2EEiiiiS1_IjLj3EES5_S5_S5_: ; @_ZL33flash_attn_stream_k_fixup_generalILi256ELi1ELi8EEvPfPK15HIP_vector_typeIfLj2EEiiiiS1_IjLj3EES5_S5_S5_
; %bb.0:
	s_clause 0x1
	s_load_b128 s[4:7], s[0:1], 0x10
	s_load_b32 s16, s[0:1], 0x50
	s_bfe_u32 s2, ttmp6, 0x4000c
	s_and_b32 s3, ttmp6, 15
	s_add_co_i32 s2, s2, 1
	s_getreg_b32 s15, hwreg(HW_REG_IB_STS2, 6, 4)
	s_mul_i32 s2, ttmp9, s2
	s_mov_b32 s17, 0
	s_add_co_i32 s3, s3, s2
	s_cmp_eq_u32 s15, 0
	s_cselect_b32 s2, ttmp9, s3
	s_delay_alu instid0(SALU_CYCLE_1) | instskip(SKIP_3) | instid1(SALU_CYCLE_1)
	s_ashr_i32 s3, s2, 31
	s_wait_kmcnt 0x0
	s_ashr_i32 s19, s7, 31
	s_mov_b32 s18, s7
	s_mul_u64 s[8:9], s[18:19], s[2:3]
	s_delay_alu instid0(SALU_CYCLE_1) | instskip(NEXT) | instid1(SALU_CYCLE_1)
	s_and_b64 s[10:11], s[8:9], 0xffffffff00000000
	s_cmp_lg_u64 s[10:11], 0
	s_cbranch_scc0 .LBB12_21
; %bb.1:
	s_add_nc_u64 s[10:11], s[16:17], 0
	s_mov_b32 s23, s17
	s_xor_b64 s[10:11], s[10:11], 0
	s_mov_b32 s27, s17
	s_cvt_f32_u32 s3, s10
	s_cvt_f32_u32 s7, s11
	s_sub_nc_u64 s[20:21], 0, s[10:11]
	s_delay_alu instid0(SALU_CYCLE_2) | instskip(NEXT) | instid1(SALU_CYCLE_3)
	s_fmamk_f32 s3, s7, 0x4f800000, s3
	v_s_rcp_f32 s3, s3
	s_delay_alu instid0(TRANS32_DEP_1) | instskip(NEXT) | instid1(SALU_CYCLE_3)
	s_mul_f32 s3, s3, 0x5f7ffffc
	s_mul_f32 s7, s3, 0x2f800000
	s_delay_alu instid0(SALU_CYCLE_3) | instskip(NEXT) | instid1(SALU_CYCLE_3)
	s_trunc_f32 s7, s7
	s_fmamk_f32 s3, s7, 0xcf800000, s3
	s_cvt_u32_f32 s13, s7
	s_delay_alu instid0(SALU_CYCLE_2) | instskip(NEXT) | instid1(SALU_CYCLE_3)
	s_cvt_u32_f32 s12, s3
	s_mul_u64 s[24:25], s[20:21], s[12:13]
	s_delay_alu instid0(SALU_CYCLE_1)
	s_mul_hi_u32 s29, s12, s25
	s_mul_i32 s28, s12, s25
	s_mul_hi_u32 s22, s12, s24
	s_mul_i32 s7, s13, s24
	s_add_nc_u64 s[22:23], s[22:23], s[28:29]
	s_mul_hi_u32 s3, s13, s24
	s_mul_hi_u32 s14, s13, s25
	s_add_co_u32 s7, s22, s7
	s_add_co_ci_u32 s26, s23, s3
	s_mul_i32 s24, s13, s25
	s_add_co_ci_u32 s25, s14, 0
	s_delay_alu instid0(SALU_CYCLE_1) | instskip(SKIP_3) | instid1(SALU_CYCLE_1)
	s_add_nc_u64 s[22:23], s[26:27], s[24:25]
	s_mov_b32 s25, s17
	s_add_co_u32 s12, s12, s22
	s_cselect_b32 s3, -1, 0
	s_cmp_lg_u32 s3, 0
	s_add_co_ci_u32 s13, s13, s23
	s_mov_b32 s23, s17
	s_mul_u64 s[20:21], s[20:21], s[12:13]
	s_delay_alu instid0(SALU_CYCLE_1)
	s_mul_hi_u32 s27, s12, s21
	s_mul_i32 s26, s12, s21
	s_mul_hi_u32 s22, s12, s20
	s_mul_i32 s7, s13, s20
	s_add_nc_u64 s[22:23], s[22:23], s[26:27]
	s_mul_hi_u32 s3, s13, s20
	s_mul_hi_u32 s14, s13, s21
	s_add_co_u32 s7, s22, s7
	s_add_co_ci_u32 s24, s23, s3
	s_mul_i32 s20, s13, s21
	s_add_co_ci_u32 s21, s14, 0
	s_mov_b32 s23, s17
	s_add_nc_u64 s[20:21], s[24:25], s[20:21]
	s_delay_alu instid0(SALU_CYCLE_1) | instskip(SKIP_1) | instid1(SALU_CYCLE_1)
	s_add_co_u32 s3, s12, s20
	s_cselect_b32 s7, -1, 0
	s_cmp_lg_u32 s7, 0
	s_add_co_ci_u32 s7, s13, s21
	s_ashr_i32 s12, s9, 31
	s_delay_alu instid0(SALU_CYCLE_1) | instskip(NEXT) | instid1(SALU_CYCLE_1)
	s_mov_b32 s13, s12
	s_add_nc_u64 s[20:21], s[8:9], s[12:13]
	s_delay_alu instid0(SALU_CYCLE_1) | instskip(NEXT) | instid1(SALU_CYCLE_1)
	s_xor_b64 s[20:21], s[20:21], s[12:13]
	s_mul_hi_u32 s27, s20, s7
	s_mul_i32 s26, s20, s7
	s_mul_hi_u32 s22, s20, s3
	s_mul_hi_u32 s14, s21, s3
	s_mul_i32 s3, s21, s3
	s_add_nc_u64 s[22:23], s[22:23], s[26:27]
	s_mul_hi_u32 s9, s21, s7
	s_add_co_u32 s3, s22, s3
	s_add_co_ci_u32 s24, s23, s14
	s_mul_i32 s26, s21, s7
	s_add_co_ci_u32 s27, s9, 0
	s_delay_alu instid0(SALU_CYCLE_1) | instskip(NEXT) | instid1(SALU_CYCLE_1)
	s_add_nc_u64 s[22:23], s[24:25], s[26:27]
	s_and_b64 s[24:25], s[22:23], 0xffffffff00000000
	s_delay_alu instid0(SALU_CYCLE_1) | instskip(NEXT) | instid1(SALU_CYCLE_1)
	s_or_b32 s24, s24, s22
	s_mul_u64 s[22:23], s[10:11], s[24:25]
	s_add_nc_u64 s[26:27], s[24:25], 1
	s_sub_co_u32 s3, s20, s22
	s_cselect_b32 s7, -1, 0
	s_sub_co_i32 s9, s21, s23
	s_cmp_lg_u32 s7, 0
	s_add_nc_u64 s[28:29], s[24:25], 2
	s_sub_co_ci_u32 s9, s9, s11
	s_sub_co_u32 s14, s3, s10
	s_cselect_b32 s20, -1, 0
	s_delay_alu instid0(SALU_CYCLE_1) | instskip(SKIP_1) | instid1(SALU_CYCLE_1)
	s_cmp_lg_u32 s20, 0
	s_sub_co_ci_u32 s9, s9, 0
	s_cmp_ge_u32 s9, s11
	s_cselect_b32 s20, -1, 0
	s_cmp_ge_u32 s14, s10
	s_cselect_b32 s14, -1, 0
	s_cmp_eq_u32 s9, s11
	s_cselect_b32 s9, s14, s20
	s_delay_alu instid0(SALU_CYCLE_1) | instskip(SKIP_4) | instid1(SALU_CYCLE_1)
	s_cmp_lg_u32 s9, 0
	s_cselect_b32 s9, s28, s26
	s_cselect_b32 s14, s29, s27
	s_cmp_lg_u32 s7, 0
	s_sub_co_ci_u32 s7, s21, s23
	s_cmp_ge_u32 s7, s11
	s_cselect_b32 s20, -1, 0
	s_cmp_ge_u32 s3, s10
	s_cselect_b32 s3, -1, 0
	s_cmp_eq_u32 s7, s11
	s_cselect_b32 s3, s3, s20
	s_delay_alu instid0(SALU_CYCLE_1) | instskip(SKIP_4) | instid1(SALU_CYCLE_1)
	s_cmp_lg_u32 s3, 0
	s_mov_b32 s3, s17
	s_cselect_b32 s11, s14, s25
	s_cselect_b32 s10, s9, s24
	s_xor_b64 s[12:13], s[12:13], 0
	s_xor_b64 s[10:11], s[10:11], s[12:13]
	s_delay_alu instid0(SALU_CYCLE_1)
	s_sub_nc_u64 s[20:21], s[10:11], s[12:13]
	s_and_not1_b32 vcc_lo, exec_lo, s3
	s_cbranch_vccnz .LBB12_3
.LBB12_2:
	v_cvt_f32_u32_e32 v1, s16
	s_sub_co_i32 s7, 0, s16
	s_mov_b32 s21, 0
	s_delay_alu instid0(VALU_DEP_1) | instskip(SKIP_1) | instid1(TRANS32_DEP_1)
	v_rcp_iflag_f32_e32 v1, v1
	v_nop
	v_mul_f32_e32 v1, 0x4f7ffffe, v1
	s_delay_alu instid0(VALU_DEP_1) | instskip(NEXT) | instid1(VALU_DEP_1)
	v_cvt_u32_f32_e32 v1, v1
	v_readfirstlane_b32 s3, v1
	s_mul_i32 s7, s7, s3
	s_delay_alu instid0(SALU_CYCLE_1) | instskip(NEXT) | instid1(SALU_CYCLE_1)
	s_mul_hi_u32 s7, s3, s7
	s_add_co_i32 s3, s3, s7
	s_delay_alu instid0(SALU_CYCLE_1) | instskip(NEXT) | instid1(SALU_CYCLE_1)
	s_mul_hi_u32 s3, s8, s3
	s_mul_i32 s7, s3, s16
	s_delay_alu instid0(SALU_CYCLE_1)
	s_sub_co_i32 s7, s8, s7
	s_add_co_i32 s8, s3, 1
	s_sub_co_i32 s9, s7, s16
	s_cmp_ge_u32 s7, s16
	s_cselect_b32 s3, s8, s3
	s_cselect_b32 s7, s9, s7
	s_add_co_i32 s8, s3, 1
	s_cmp_ge_u32 s7, s16
	s_cselect_b32 s20, s8, s3
.LBB12_3:
	s_add_co_i32 s8, s2, 1
	s_delay_alu instid0(SALU_CYCLE_1) | instskip(NEXT) | instid1(SALU_CYCLE_1)
	s_ashr_i32 s9, s8, 31
	s_mul_u64 s[8:9], s[18:19], s[8:9]
	s_delay_alu instid0(SALU_CYCLE_1) | instskip(NEXT) | instid1(SALU_CYCLE_1)
	s_and_b64 s[10:11], s[8:9], 0xffffffff00000000
	s_cmp_lg_u64 s[10:11], 0
	s_cbranch_scc0 .LBB12_22
; %bb.4:
	s_add_nc_u64 s[10:11], s[16:17], 0
	s_delay_alu instid0(SALU_CYCLE_1) | instskip(SKIP_4) | instid1(SALU_CYCLE_2)
	s_xor_b64 s[12:13], s[10:11], 0
	s_mov_b32 s11, 0
	s_cvt_f32_u32 s3, s12
	s_cvt_f32_u32 s7, s13
	s_sub_nc_u64 s[24:25], 0, s[12:13]
	s_fmamk_f32 s3, s7, 0x4f800000, s3
	s_delay_alu instid0(SALU_CYCLE_3) | instskip(NEXT) | instid1(TRANS32_DEP_1)
	v_s_rcp_f32 s3, s3
	s_mul_f32 s3, s3, 0x5f7ffffc
	s_delay_alu instid0(SALU_CYCLE_3) | instskip(NEXT) | instid1(SALU_CYCLE_3)
	s_mul_f32 s7, s3, 0x2f800000
	s_trunc_f32 s7, s7
	s_delay_alu instid0(SALU_CYCLE_3) | instskip(SKIP_1) | instid1(SALU_CYCLE_2)
	s_fmamk_f32 s3, s7, 0xcf800000, s3
	s_cvt_u32_f32 s23, s7
	s_cvt_u32_f32 s22, s3
	s_delay_alu instid0(SALU_CYCLE_3) | instskip(NEXT) | instid1(SALU_CYCLE_1)
	s_mul_u64 s[26:27], s[24:25], s[22:23]
	s_mul_hi_u32 s29, s22, s27
	s_mul_i32 s28, s22, s27
	s_mul_hi_u32 s10, s22, s26
	s_mul_i32 s7, s23, s26
	s_add_nc_u64 s[28:29], s[10:11], s[28:29]
	s_mul_hi_u32 s3, s23, s26
	s_mul_hi_u32 s14, s23, s27
	s_add_co_u32 s7, s28, s7
	s_add_co_ci_u32 s10, s29, s3
	s_mul_i32 s26, s23, s27
	s_add_co_ci_u32 s27, s14, 0
	s_delay_alu instid0(SALU_CYCLE_1) | instskip(NEXT) | instid1(SALU_CYCLE_1)
	s_add_nc_u64 s[26:27], s[10:11], s[26:27]
	s_add_co_u32 s22, s22, s26
	s_cselect_b32 s3, -1, 0
	s_delay_alu instid0(SALU_CYCLE_1) | instskip(SKIP_1) | instid1(SALU_CYCLE_1)
	s_cmp_lg_u32 s3, 0
	s_add_co_ci_u32 s23, s23, s27
	s_mul_u64 s[24:25], s[24:25], s[22:23]
	s_delay_alu instid0(SALU_CYCLE_1)
	s_mul_hi_u32 s27, s22, s25
	s_mul_i32 s26, s22, s25
	s_mul_hi_u32 s10, s22, s24
	s_mul_i32 s7, s23, s24
	s_add_nc_u64 s[26:27], s[10:11], s[26:27]
	s_mul_hi_u32 s3, s23, s24
	s_mul_hi_u32 s14, s23, s25
	s_add_co_u32 s7, s26, s7
	s_add_co_ci_u32 s10, s27, s3
	s_mul_i32 s24, s23, s25
	s_add_co_ci_u32 s25, s14, 0
	s_delay_alu instid0(SALU_CYCLE_1) | instskip(NEXT) | instid1(SALU_CYCLE_1)
	s_add_nc_u64 s[24:25], s[10:11], s[24:25]
	s_add_co_u32 s3, s22, s24
	s_cselect_b32 s7, -1, 0
	s_delay_alu instid0(SALU_CYCLE_1) | instskip(SKIP_2) | instid1(SALU_CYCLE_1)
	s_cmp_lg_u32 s7, 0
	s_add_co_ci_u32 s7, s23, s25
	s_ashr_i32 s22, s9, 31
	s_mov_b32 s23, s22
	s_delay_alu instid0(SALU_CYCLE_1) | instskip(NEXT) | instid1(SALU_CYCLE_1)
	s_add_nc_u64 s[24:25], s[8:9], s[22:23]
	s_xor_b64 s[24:25], s[24:25], s[22:23]
	s_delay_alu instid0(SALU_CYCLE_1)
	s_mul_hi_u32 s27, s24, s7
	s_mul_i32 s26, s24, s7
	s_mul_hi_u32 s10, s24, s3
	s_mul_hi_u32 s14, s25, s3
	s_mul_i32 s3, s25, s3
	s_add_nc_u64 s[26:27], s[10:11], s[26:27]
	s_mul_hi_u32 s9, s25, s7
	s_add_co_u32 s3, s26, s3
	s_add_co_ci_u32 s10, s27, s14
	s_mul_i32 s28, s25, s7
	s_add_co_ci_u32 s29, s9, 0
	s_delay_alu instid0(SALU_CYCLE_1) | instskip(NEXT) | instid1(SALU_CYCLE_1)
	s_add_nc_u64 s[26:27], s[10:11], s[28:29]
	s_and_b64 s[28:29], s[26:27], 0xffffffff00000000
	s_delay_alu instid0(SALU_CYCLE_1) | instskip(NEXT) | instid1(SALU_CYCLE_1)
	s_or_b32 s28, s28, s26
	s_mul_u64 s[26:27], s[12:13], s[28:29]
	s_add_nc_u64 s[30:31], s[28:29], 1
	s_sub_co_u32 s3, s24, s26
	s_cselect_b32 s7, -1, 0
	s_sub_co_i32 s9, s25, s27
	s_cmp_lg_u32 s7, 0
	s_add_nc_u64 s[34:35], s[28:29], 2
	s_sub_co_ci_u32 s9, s9, s13
	s_sub_co_u32 s10, s3, s12
	s_cselect_b32 s14, -1, 0
	s_delay_alu instid0(SALU_CYCLE_1) | instskip(SKIP_1) | instid1(SALU_CYCLE_1)
	s_cmp_lg_u32 s14, 0
	s_sub_co_ci_u32 s9, s9, 0
	s_cmp_ge_u32 s9, s13
	s_cselect_b32 s14, -1, 0
	s_cmp_ge_u32 s10, s12
	s_cselect_b32 s10, -1, 0
	s_cmp_eq_u32 s9, s13
	s_cselect_b32 s9, s10, s14
	s_delay_alu instid0(SALU_CYCLE_1) | instskip(SKIP_4) | instid1(SALU_CYCLE_1)
	s_cmp_lg_u32 s9, 0
	s_cselect_b32 s9, s34, s30
	s_cselect_b32 s10, s35, s31
	s_cmp_lg_u32 s7, 0
	s_sub_co_ci_u32 s7, s25, s27
	s_cmp_ge_u32 s7, s13
	s_cselect_b32 s14, -1, 0
	s_cmp_ge_u32 s3, s12
	s_cselect_b32 s3, -1, 0
	s_cmp_eq_u32 s7, s13
	s_cselect_b32 s3, s3, s14
	s_delay_alu instid0(SALU_CYCLE_1) | instskip(SKIP_3) | instid1(SALU_CYCLE_1)
	s_cmp_lg_u32 s3, 0
	s_cselect_b32 s13, s10, s29
	s_cselect_b32 s12, s9, s28
	s_xor_b64 s[22:23], s[22:23], 0
	s_xor_b64 s[12:13], s[12:13], s[22:23]
	s_delay_alu instid0(SALU_CYCLE_1)
	s_sub_nc_u64 s[24:25], s[12:13], s[22:23]
	s_load_b96 s[12:14], s[0:1], 0x44
	s_cbranch_execnz .LBB12_6
.LBB12_5:
	v_cvt_f32_u32_e32 v1, s16
	s_sub_co_i32 s7, 0, s16
	s_delay_alu instid0(VALU_DEP_1) | instskip(SKIP_1) | instid1(TRANS32_DEP_1)
	v_rcp_iflag_f32_e32 v1, v1
	v_nop
	v_mul_f32_e32 v1, 0x4f7ffffe, v1
	s_delay_alu instid0(VALU_DEP_1) | instskip(NEXT) | instid1(VALU_DEP_1)
	v_cvt_u32_f32_e32 v1, v1
	v_readfirstlane_b32 s3, v1
	s_mul_i32 s7, s7, s3
	s_delay_alu instid0(SALU_CYCLE_1) | instskip(NEXT) | instid1(SALU_CYCLE_1)
	s_mul_hi_u32 s7, s3, s7
	s_add_co_i32 s3, s3, s7
	s_delay_alu instid0(SALU_CYCLE_1) | instskip(NEXT) | instid1(SALU_CYCLE_1)
	s_mul_hi_u32 s3, s8, s3
	s_mul_i32 s7, s3, s16
	s_delay_alu instid0(SALU_CYCLE_1)
	s_sub_co_i32 s7, s8, s7
	s_add_co_i32 s8, s3, 1
	s_sub_co_i32 s9, s7, s16
	s_cmp_ge_u32 s7, s16
	s_cselect_b32 s3, s8, s3
	s_cselect_b32 s7, s9, s7
	s_add_co_i32 s8, s3, 1
	s_cmp_ge_u32 s7, s16
	s_cselect_b32 s24, s8, s3
.LBB12_6:
	s_delay_alu instid0(SALU_CYCLE_1)
	s_cmp_eq_u32 s20, s24
	s_mov_b64 s[8:9], 0xffffffff
	s_cselect_b32 s3, -1, 0
	s_and_b64 s[8:9], s[20:21], s[8:9]
	s_mov_b32 s23, 0
	s_wait_kmcnt 0x0
	s_mov_b32 s22, s12
	s_mov_b32 s25, s23
	s_mul_u64 s[10:11], s[8:9], s[22:23]
	s_delay_alu instid0(SALU_CYCLE_1) | instskip(SKIP_2) | instid1(SALU_CYCLE_1)
	s_add_co_i32 s7, s11, s20
	s_mul_u64 s[10:11], s[24:25], s[22:23]
	s_lshr_b32 s12, s7, s13
	s_mul_i32 s7, s12, s14
	s_delay_alu instid0(SALU_CYCLE_1) | instskip(SKIP_2) | instid1(SALU_CYCLE_1)
	s_cmp_eq_u32 s7, s20
	s_cselect_b32 s7, -1, 0
	s_add_co_i32 s10, s11, s24
	s_lshr_b32 s10, s10, s13
	s_delay_alu instid0(SALU_CYCLE_1)
	s_cmp_eq_u32 s12, s10
	s_mul_i32 s10, s10, s14
	s_cselect_b32 s11, -1, 0
	s_cmp_lg_u32 s10, s24
	s_cselect_b32 s10, -1, 0
	s_or_b32 s3, s3, s7
	s_and_b32 s10, s11, s10
	s_delay_alu instid0(SALU_CYCLE_1) | instskip(NEXT) | instid1(SALU_CYCLE_1)
	s_or_b32 s3, s3, s10
	s_and_b32 vcc_lo, exec_lo, s3
	s_cbranch_vccnz .LBB12_24
; %bb.7:
	s_load_b256 s[24:31], s[0:1], 0x20
	s_bfe_u32 s7, ttmp6, 0x40014
	s_bfe_u32 s33, ttmp6, 0x40010
	s_lshr_b32 s3, ttmp7, 16
	s_add_co_i32 s7, s7, 1
	s_and_b32 s21, ttmp7, 0xffff
	s_add_co_i32 s33, s33, 1
	s_bfe_u32 s10, ttmp6, 0x40008
	s_mul_i32 s7, s3, s7
	s_bfe_u32 s34, ttmp6, 0x40004
	s_mul_i32 s33, s21, s33
	s_mov_b32 s11, s23
	s_add_co_i32 s7, s10, s7
	s_add_co_i32 s34, s34, s33
	s_cmp_eq_u32 s15, 0
	s_cselect_b32 s15, s21, s34
	s_cselect_b32 s21, s3, s7
	s_wait_kmcnt 0x0
	s_mov_b32 s10, s24
	s_delay_alu instid0(SALU_CYCLE_1) | instskip(SKIP_2) | instid1(SALU_CYCLE_1)
	s_mul_u64 s[8:9], s[8:9], s[10:11]
	s_load_b32 s8, s[0:1], 0x40
	s_add_co_i32 s3, s9, s20
	s_lshr_b32 s3, s3, s25
	s_delay_alu instid0(SALU_CYCLE_1) | instskip(NEXT) | instid1(SALU_CYCLE_1)
	s_mul_i32 s7, s3, s26
	s_sub_co_i32 s9, s20, s7
	s_delay_alu instid0(SALU_CYCLE_1) | instskip(NEXT) | instid1(SALU_CYCLE_1)
	s_mul_hi_u32 s7, s9, s27
	s_add_co_i32 s7, s9, s7
	s_delay_alu instid0(SALU_CYCLE_1) | instskip(NEXT) | instid1(SALU_CYCLE_1)
	s_lshr_b32 s7, s7, s28
	s_mul_i32 s10, s7, s29
	s_delay_alu instid0(SALU_CYCLE_1) | instskip(NEXT) | instid1(SALU_CYCLE_1)
	s_sub_co_i32 s10, s9, s10
	s_mul_hi_u32 s9, s10, s30
	s_delay_alu instid0(SALU_CYCLE_1) | instskip(NEXT) | instid1(SALU_CYCLE_1)
	s_add_co_i32 s9, s10, s9
	s_lshr_b32 s25, s9, s31
	s_mov_b32 s9, s23
	s_wait_kmcnt 0x0
	s_mul_i32 s8, s25, s8
	s_lshl_b32 s25, s25, 3
	s_sub_co_i32 s8, s10, s8
	s_delay_alu instid0(SALU_CYCLE_1) | instskip(NEXT) | instid1(SALU_CYCLE_1)
	s_mul_u64 s[10:11], s[8:9], s[22:23]
	s_add_co_i32 s8, s8, s11
	s_delay_alu instid0(SALU_CYCLE_1) | instskip(NEXT) | instid1(SALU_CYCLE_1)
	s_lshr_b32 s24, s8, s13
	s_add_co_i32 s24, s24, s15
	s_delay_alu instid0(SALU_CYCLE_1) | instskip(SKIP_2) | instid1(SALU_CYCLE_1)
	s_cmp_lt_i32 s24, s4
	s_cselect_b32 s8, -1, 0
	s_add_co_i32 s25, s25, s21
	s_cmp_lt_i32 s25, s6
	s_cselect_b32 s9, -1, 0
	s_delay_alu instid0(SALU_CYCLE_1) | instskip(NEXT) | instid1(SALU_CYCLE_1)
	s_and_b32 s8, s8, s9
	s_and_not1_b32 vcc_lo, exec_lo, s8
	s_cbranch_vccnz .LBB12_24
; %bb.8:
	s_load_b128 s[8:11], s[0:1], 0x0
	s_mul_i32 s3, s3, s4
	s_mul_i32 s7, s7, s6
	s_wait_xcnt 0x0
	s_add_co_i32 s0, s24, s3
	s_add_co_i32 s1, s25, s7
	s_mul_i32 s0, s0, s5
	s_add_co_i32 s3, s15, s2
	s_add_co_i32 s1, s1, s0
	v_cvt_f32_u32_e32 v4, s16
	v_lshl_or_b32 v2, s1, 8, v0
	s_add_nc_u64 s[0:1], s[16:17], 0
	s_lshl_b32 s24, s16, 5
	s_xor_b64 s[6:7], s[0:1], 0
	s_lshl_b32 s0, s3, 3
	s_cvt_f32_u32 s3, s6
	s_cvt_f32_u32 s4, s7
	s_add_co_i32 s0, s0, s21
	v_rcp_iflag_f32_e32 v4, v4
	s_ashr_i32 s1, s0, 31
	s_fmamk_f32 s3, s4, 0x4f800000, s3
	s_wait_kmcnt 0x0
	global_load_b32 v1, v2, s[8:9] scale_offset
	s_lshl_b64 s[0:1], s[0:1], 3
	s_mov_b32 s25, 0
	v_s_rcp_f32 s3, s3
	s_add_nc_u64 s[0:1], s[10:11], s[0:1]
	v_dual_mul_f32 v4, 0x4f7ffffe, v4 :: v_dual_ashrrev_i32 v3, 31, v2
	s_load_b64 s[28:29], s[0:1], 0x0
	s_wait_xcnt 0x0
	s_lshl_b64 s[0:1], s[24:25], 2
	v_lshl_or_b32 v6, s21, 8, v0
	s_add_nc_u64 s[26:27], s[10:11], s[0:1]
	s_mul_f32 s3, s3, 0x5f7ffffc
	v_lshl_add_u64 v[2:3], v[2:3], 2, s[8:9]
	v_cvt_u32_f32_e32 v7, v4
	s_mov_b64 s[8:9], 0xffffffff
	s_mul_f32 s4, s3, 0x2f800000
	s_add_co_i32 s36, s2, -1
	s_sub_nc_u64 s[34:35], 0, s[6:7]
	s_delay_alu instid0(SALU_CYCLE_1) | instskip(NEXT) | instid1(SALU_CYCLE_3)
	s_trunc_f32 s4, s4
	s_fmamk_f32 s0, s4, 0xcf800000, s3
	s_cvt_u32_f32 s31, s4
	s_wait_kmcnt 0x0
	v_mov_b32_e32 v0, s29
	s_cvt_u32_f32 s30, s0
.LBB12_9:                               ; =>This Inner Loop Header: Depth=1
	s_ashr_i32 s37, s36, 31
                                        ; implicit-def: $sgpr40_sgpr41
	s_delay_alu instid0(SALU_CYCLE_1) | instskip(NEXT) | instid1(SALU_CYCLE_1)
	s_mul_u64 s[0:1], s[36:37], s[18:19]
	s_and_b64 s[2:3], s[0:1], 0xffffffff00000000
	s_delay_alu instid0(SALU_CYCLE_1)
	s_cmp_lg_u64 s[2:3], 0
	s_mov_b32 s2, -1
	s_cbranch_scc0 .LBB12_11
; %bb.10:                               ;   in Loop: Header=BB12_9 Depth=1
	s_mul_u64 s[2:3], s[34:35], s[30:31]
	s_delay_alu instid0(SALU_CYCLE_1)
	s_mul_hi_u32 s5, s30, s3
	s_mul_i32 s4, s30, s3
	s_mul_hi_u32 s24, s30, s2
	s_mul_hi_u32 s17, s31, s2
	s_add_nc_u64 s[4:5], s[24:25], s[4:5]
	s_mul_i32 s2, s31, s2
	s_mul_hi_u32 s29, s31, s3
	s_add_co_u32 s2, s4, s2
	s_add_co_ci_u32 s24, s5, s17
	s_add_co_ci_u32 s5, s29, 0
	s_mul_i32 s4, s31, s3
	s_delay_alu instid0(SALU_CYCLE_1) | instskip(NEXT) | instid1(SALU_CYCLE_1)
	s_add_nc_u64 s[2:3], s[24:25], s[4:5]
	s_add_co_u32 s2, s30, s2
	s_cselect_b32 s4, -1, 0
	s_delay_alu instid0(SALU_CYCLE_1) | instskip(SKIP_1) | instid1(SALU_CYCLE_1)
	s_cmp_lg_u32 s4, 0
	s_add_co_ci_u32 s3, s31, s3
	s_mul_u64 s[4:5], s[34:35], s[2:3]
	s_delay_alu instid0(SALU_CYCLE_1)
	s_mul_hi_u32 s39, s2, s5
	s_mul_i32 s38, s2, s5
	s_mul_hi_u32 s24, s2, s4
	s_mul_hi_u32 s17, s3, s4
	s_mul_i32 s4, s3, s4
	s_add_nc_u64 s[38:39], s[24:25], s[38:39]
	s_mul_hi_u32 s29, s3, s5
	s_add_co_u32 s4, s38, s4
	s_add_co_ci_u32 s24, s39, s17
	s_mul_i32 s4, s3, s5
	s_add_co_ci_u32 s5, s29, 0
	s_delay_alu instid0(SALU_CYCLE_1) | instskip(NEXT) | instid1(SALU_CYCLE_1)
	s_add_nc_u64 s[4:5], s[24:25], s[4:5]
	s_add_co_u32 s17, s2, s4
	s_cselect_b32 s2, -1, 0
	s_delay_alu instid0(SALU_CYCLE_1) | instskip(SKIP_2) | instid1(SALU_CYCLE_1)
	s_cmp_lg_u32 s2, 0
	s_add_co_ci_u32 s29, s3, s5
	s_ashr_i32 s2, s1, 31
	s_mov_b32 s3, s2
	s_delay_alu instid0(SALU_CYCLE_1) | instskip(NEXT) | instid1(SALU_CYCLE_1)
	s_add_nc_u64 s[4:5], s[0:1], s[2:3]
	s_xor_b64 s[4:5], s[4:5], s[2:3]
	s_delay_alu instid0(SALU_CYCLE_1)
	s_mul_hi_u32 s39, s4, s29
	s_mul_i32 s38, s4, s29
	s_mul_hi_u32 s24, s4, s17
	s_mul_hi_u32 s33, s5, s17
	s_mul_i32 s17, s5, s17
	s_add_nc_u64 s[38:39], s[24:25], s[38:39]
	s_mul_hi_u32 s1, s5, s29
	s_add_co_u32 s17, s38, s17
	s_add_co_ci_u32 s24, s39, s33
	s_mul_i32 s40, s5, s29
	s_add_co_ci_u32 s41, s1, 0
	s_delay_alu instid0(SALU_CYCLE_1) | instskip(NEXT) | instid1(SALU_CYCLE_1)
	s_add_nc_u64 s[38:39], s[24:25], s[40:41]
	s_and_b64 s[40:41], s[38:39], 0xffffffff00000000
	s_delay_alu instid0(SALU_CYCLE_1) | instskip(NEXT) | instid1(SALU_CYCLE_1)
	s_or_b32 s40, s40, s38
	s_mul_u64 s[38:39], s[6:7], s[40:41]
	s_add_nc_u64 s[42:43], s[40:41], 1
	s_sub_co_u32 s1, s4, s38
	s_cselect_b32 s4, -1, 0
	s_sub_co_i32 s17, s5, s39
	s_cmp_lg_u32 s4, 0
	s_add_nc_u64 s[44:45], s[40:41], 2
	s_sub_co_ci_u32 s17, s17, s7
	s_sub_co_u32 s24, s1, s6
	s_cselect_b32 s29, -1, 0
	s_delay_alu instid0(SALU_CYCLE_1) | instskip(SKIP_1) | instid1(SALU_CYCLE_1)
	s_cmp_lg_u32 s29, 0
	s_sub_co_ci_u32 s17, s17, 0
	s_cmp_ge_u32 s17, s7
	s_cselect_b32 s29, -1, 0
	s_cmp_ge_u32 s24, s6
	s_cselect_b32 s24, -1, 0
	s_cmp_eq_u32 s17, s7
	s_cselect_b32 s17, s24, s29
	s_delay_alu instid0(SALU_CYCLE_1) | instskip(SKIP_4) | instid1(SALU_CYCLE_1)
	s_cmp_lg_u32 s17, 0
	s_cselect_b32 s17, s44, s42
	s_cselect_b32 s24, s45, s43
	s_cmp_lg_u32 s4, 0
	s_sub_co_ci_u32 s4, s5, s39
	s_cmp_ge_u32 s4, s7
	s_cselect_b32 s5, -1, 0
	s_cmp_ge_u32 s1, s6
	s_cselect_b32 s1, -1, 0
	s_cmp_eq_u32 s4, s7
	s_cselect_b32 s1, s1, s5
	s_delay_alu instid0(SALU_CYCLE_1) | instskip(SKIP_3) | instid1(SALU_CYCLE_1)
	s_cmp_lg_u32 s1, 0
	s_cselect_b32 s5, s24, s41
	s_cselect_b32 s4, s17, s40
	s_xor_b64 s[2:3], s[2:3], 0
	s_xor_b64 s[4:5], s[4:5], s[2:3]
	s_delay_alu instid0(SALU_CYCLE_1)
	s_sub_nc_u64 s[40:41], s[4:5], s[2:3]
	s_mov_b32 s2, 0
.LBB12_11:                              ;   in Loop: Header=BB12_9 Depth=1
	s_delay_alu instid0(SALU_CYCLE_1)
	s_and_not1_b32 vcc_lo, exec_lo, s2
	s_cbranch_vccnz .LBB12_13
; %bb.12:                               ;   in Loop: Header=BB12_9 Depth=1
	v_readfirstlane_b32 s1, v7
	s_sub_co_i32 s2, 0, s16
	s_delay_alu instid0(SALU_CYCLE_1) | instskip(NEXT) | instid1(SALU_CYCLE_1)
	s_mul_i32 s2, s2, s1
	s_mul_hi_u32 s2, s1, s2
	s_delay_alu instid0(SALU_CYCLE_1) | instskip(NEXT) | instid1(SALU_CYCLE_1)
	s_add_co_i32 s1, s1, s2
	s_mul_hi_u32 s1, s0, s1
	s_delay_alu instid0(SALU_CYCLE_1) | instskip(NEXT) | instid1(SALU_CYCLE_1)
	s_mul_i32 s2, s1, s16
	s_sub_co_i32 s0, s0, s2
	s_add_co_i32 s2, s1, 1
	s_sub_co_i32 s3, s0, s16
	s_cmp_ge_u32 s0, s16
	s_cselect_b32 s1, s2, s1
	s_cselect_b32 s0, s3, s0
	s_add_co_i32 s2, s1, 1
	s_cmp_ge_u32 s0, s16
	s_cselect_b32 s24, s2, s1
	s_delay_alu instid0(SALU_CYCLE_1)
	s_mov_b64 s[40:41], s[24:25]
.LBB12_13:                              ;   in Loop: Header=BB12_9 Depth=1
	s_delay_alu instid0(SALU_CYCLE_1)
	s_cmp_lg_u32 s20, s40
	s_mov_b32 s0, -1
                                        ; implicit-def: $vgpr4_vgpr5
                                        ; implicit-def: $sgpr29
                                        ; implicit-def: $sgpr17
                                        ; implicit-def: $sgpr24
                                        ; implicit-def: $sgpr33
	s_cbranch_scc0 .LBB12_18
; %bb.14:                               ;   in Loop: Header=BB12_9 Depth=1
	s_add_co_i32 s42, s36, s15
	v_max_num_f32_e64 v4, s28, s28
	s_add_co_i32 s0, s42, s16
	s_mov_b32 s33, s20
	s_lshl_b32 s0, s0, 3
	s_delay_alu instid0(SALU_CYCLE_1)
	s_add_co_i32 s0, s0, s21
	s_load_b64 s[38:39], s[10:11], s0 offset:0x0 scale_offset
	s_wait_xcnt 0x0
	v_readfirstlane_b32 s0, v4
	s_wait_kmcnt 0x0
	v_max_num_f32_e64 v5, s38, s38
	s_delay_alu instid0(VALU_DEP_1) | instskip(SKIP_1) | instid1(SALU_CYCLE_3)
	v_readfirstlane_b32 s1, v5
	s_max_num_f32 s17, s0, s1
	s_sub_f32 s37, s28, s17
	s_sub_f32 s38, s38, s17
	s_delay_alu instid0(SALU_CYCLE_2)
	s_cmp_nlt_f32 s37, 0xc2ce8ed0
	s_cselect_b32 s1, -1, 0
	s_cmp_ngt_f32 s37, 0x42b17218
	s_cselect_b32 s2, -1, 0
	s_cmp_ge_f32 s37, 0xc1a00000
	s_cselect_b32 s0, -1, 0
	s_cmp_nlt_f32 s38, 0xc2ce8ed0
	s_cselect_b32 s3, -1, 0
	s_cmp_ngt_f32 s38, 0x42b17218
	s_cselect_b32 s4, -1, 0
	s_cmp_ge_f32 s38, 0xc1a00000
	s_cselect_b32 s5, -1, 0
	s_and_b64 s[44:45], s[40:41], s[8:9]
	s_delay_alu instid0(SALU_CYCLE_1) | instskip(NEXT) | instid1(SALU_CYCLE_1)
	s_mul_u64 s[44:45], s[44:45], s[22:23]
	s_add_co_i32 s24, s45, s40
	s_delay_alu instid0(SALU_CYCLE_1) | instskip(NEXT) | instid1(SALU_CYCLE_1)
	s_lshr_b32 s24, s24, s13
	s_mul_i32 s29, s24, s14
	s_delay_alu instid0(SALU_CYCLE_1) | instskip(SKIP_3) | instid1(SALU_CYCLE_1)
	s_cmp_eq_u32 s29, s40
	s_cselect_b32 s29, -1, 0
	s_cmp_lt_u32 s24, s12
	s_cselect_b32 s24, -1, 0
	s_or_b32 s24, s24, s29
	s_mov_b32 s29, -1
	s_and_b32 vcc_lo, exec_lo, s24
	s_mov_b32 s24, s36
	s_cbranch_vccnz .LBB12_16
; %bb.15:                               ;   in Loop: Header=BB12_9 Depth=1
	s_add_co_i32 s24, s36, -1
	s_mov_b32 s29, 0
	s_mov_b32 s33, s40
.LBB12_16:                              ;   in Loop: Header=BB12_9 Depth=1
	v_lshl_add_u32 v4, s42, 11, v6
	s_mul_f32 s41, s37, 0x3fb8aa3b
	s_mul_f32 s40, s38, 0x3fb8aa3b
	s_delay_alu instid0(SALU_CYCLE_2)
	s_xor_b32 s43, s41, 0x80000000
	global_load_b32 v5, v4, s[26:27] scale_offset
	s_fmamk_f32 s43, s37, 0x3fb8aa3b, s43
	s_rndne_f32 s45, s41
	s_xor_b32 s42, s40, 0x80000000
	s_rndne_f32 s44, s40
	s_fmamk_f32 s37, s37, 0x32a5705f, s43
	s_sub_f32 s41, s41, s45
	s_fmamk_f32 s42, s38, 0x3fb8aa3b, s42
	s_sub_f32 s40, s40, s44
	s_delay_alu instid0(SALU_CYCLE_1) | instskip(NEXT) | instid1(SALU_CYCLE_1)
	s_add_f32 s37, s41, s37
	s_fmamk_f32 s38, s38, 0x32a5705f, s42
	s_cvt_i32_f32 s41, s45
	s_delay_alu instid0(SALU_CYCLE_1) | instskip(NEXT) | instid1(SALU_CYCLE_1)
	v_s_exp_f32 s37, s37
	s_add_f32 s38, s40, s38
	s_cvt_i32_f32 s40, s44
	s_delay_alu instid0(SALU_CYCLE_2) | instskip(NEXT) | instid1(TRANS32_DEP_2)
	v_s_exp_f32 s38, s38
	v_ldexp_f32 v8, s37, s41
	s_wait_xcnt 0x0
	s_delay_alu instid0(TRANS32_DEP_1) | instskip(NEXT) | instid1(VALU_DEP_2)
	v_ldexp_f32 v4, s38, s40
	v_cndmask_b32_e64 v8, 0, v8, s1
	s_delay_alu instid0(VALU_DEP_1) | instskip(NEXT) | instid1(VALU_DEP_1)
	v_cndmask_b32_e64 v9, 0x7f800000, v8, s2
	v_dual_cndmask_b32 v4, 0, v4, s3 :: v_dual_cndmask_b32 v10, 0, v9, s0
	s_delay_alu instid0(VALU_DEP_1) | instskip(NEXT) | instid1(VALU_DEP_1)
	v_cndmask_b32_e64 v4, 0x7f800000, v4, s4
	v_dual_cndmask_b32 v8, 0, v4, s5 :: v_dual_mov_b32 v4, s39
	s_wait_loadcnt 0x0
	s_delay_alu instid0(VALU_DEP_1) | instskip(NEXT) | instid1(VALU_DEP_1)
	v_pk_mul_f32 v[4:5], v[4:5], v[8:9] op_sel_hi:[1,0]
	v_pk_fma_f32 v[4:5], v[0:1], v[10:11], v[4:5] op_sel_hi:[1,0,1]
	s_cbranch_execz .LBB12_19
.LBB12_17:                              ;   in Loop: Header=BB12_9 Depth=1
	s_and_not1_b32 vcc_lo, exec_lo, s29
	s_cbranch_vccnz .LBB12_20
	s_branch .LBB12_23
.LBB12_18:                              ;   in Loop: Header=BB12_9 Depth=1
	s_and_not1_b32 vcc_lo, exec_lo, s0
	s_cbranch_vccnz .LBB12_17
.LBB12_19:                              ;   in Loop: Header=BB12_9 Depth=1
	s_wait_loadcnt 0x0
	v_mov_b64_e32 v[4:5], v[0:1]
	s_add_co_i32 s24, s36, -1
	s_mov_b32 s33, s20
	s_mov_b32 s17, s28
	s_cbranch_execz .LBB12_23
.LBB12_20:                              ;   in Loop: Header=BB12_9 Depth=1
	s_wait_loadcnt 0x0
	s_delay_alu instid0(VALU_DEP_1)
	v_mov_b64_e32 v[0:1], v[4:5]
	s_mov_b32 s20, s33
	s_mov_b32 s36, s24
	;; [unrolled: 1-line block ×3, first 2 shown]
	s_branch .LBB12_9
.LBB12_21:
                                        ; implicit-def: $sgpr20_sgpr21
	s_branch .LBB12_2
.LBB12_22:
                                        ; implicit-def: $sgpr24_sgpr25
	s_load_b96 s[12:14], s[0:1], 0x44
	s_branch .LBB12_5
.LBB12_23:
	s_delay_alu instid0(VALU_DEP_1) | instskip(SKIP_1) | instid1(VALU_DEP_1)
	v_div_scale_f32 v0, null, v4, v4, v5
	s_wait_loadcnt 0x0
	v_rcp_f32_e32 v1, v0
	v_nop
	s_delay_alu instid0(TRANS32_DEP_1) | instskip(NEXT) | instid1(VALU_DEP_1)
	v_fma_f32 v6, -v0, v1, 1.0
	v_fmac_f32_e32 v1, v6, v1
	v_div_scale_f32 v6, vcc_lo, v5, v4, v5
	s_delay_alu instid0(VALU_DEP_1) | instskip(NEXT) | instid1(VALU_DEP_1)
	v_mul_f32_e32 v7, v6, v1
	v_fma_f32 v8, -v0, v7, v6
	s_delay_alu instid0(VALU_DEP_1) | instskip(NEXT) | instid1(VALU_DEP_1)
	v_fmac_f32_e32 v7, v8, v1
	v_fma_f32 v0, -v0, v7, v6
	s_delay_alu instid0(VALU_DEP_1) | instskip(NEXT) | instid1(VALU_DEP_1)
	v_div_fmas_f32 v0, v0, v1, v7
	v_div_fixup_f32 v0, v0, v4, v5
	global_store_b32 v[2:3], v0, off
.LBB12_24:
	s_endpgm
	.section	.rodata,"a",@progbits
	.p2align	6, 0x0
	.amdhsa_kernel _ZL33flash_attn_stream_k_fixup_generalILi256ELi1ELi8EEvPfPK15HIP_vector_typeIfLj2EEiiiiS1_IjLj3EES5_S5_S5_
		.amdhsa_group_segment_fixed_size 0
		.amdhsa_private_segment_fixed_size 0
		.amdhsa_kernarg_size 336
		.amdhsa_user_sgpr_count 2
		.amdhsa_user_sgpr_dispatch_ptr 0
		.amdhsa_user_sgpr_queue_ptr 0
		.amdhsa_user_sgpr_kernarg_segment_ptr 1
		.amdhsa_user_sgpr_dispatch_id 0
		.amdhsa_user_sgpr_kernarg_preload_length 0
		.amdhsa_user_sgpr_kernarg_preload_offset 0
		.amdhsa_user_sgpr_private_segment_size 0
		.amdhsa_wavefront_size32 1
		.amdhsa_uses_dynamic_stack 0
		.amdhsa_enable_private_segment 0
		.amdhsa_system_sgpr_workgroup_id_x 1
		.amdhsa_system_sgpr_workgroup_id_y 1
		.amdhsa_system_sgpr_workgroup_id_z 1
		.amdhsa_system_sgpr_workgroup_info 0
		.amdhsa_system_vgpr_workitem_id 0
		.amdhsa_next_free_vgpr 12
		.amdhsa_next_free_sgpr 46
		.amdhsa_named_barrier_count 0
		.amdhsa_reserve_vcc 1
		.amdhsa_float_round_mode_32 0
		.amdhsa_float_round_mode_16_64 0
		.amdhsa_float_denorm_mode_32 3
		.amdhsa_float_denorm_mode_16_64 3
		.amdhsa_fp16_overflow 0
		.amdhsa_memory_ordered 1
		.amdhsa_forward_progress 1
		.amdhsa_inst_pref_size 26
		.amdhsa_round_robin_scheduling 0
		.amdhsa_exception_fp_ieee_invalid_op 0
		.amdhsa_exception_fp_denorm_src 0
		.amdhsa_exception_fp_ieee_div_zero 0
		.amdhsa_exception_fp_ieee_overflow 0
		.amdhsa_exception_fp_ieee_underflow 0
		.amdhsa_exception_fp_ieee_inexact 0
		.amdhsa_exception_int_div_zero 0
	.end_amdhsa_kernel
	.section	.text._ZL33flash_attn_stream_k_fixup_generalILi256ELi1ELi8EEvPfPK15HIP_vector_typeIfLj2EEiiiiS1_IjLj3EES5_S5_S5_,"axG",@progbits,_ZL33flash_attn_stream_k_fixup_generalILi256ELi1ELi8EEvPfPK15HIP_vector_typeIfLj2EEiiiiS1_IjLj3EES5_S5_S5_,comdat
.Lfunc_end12:
	.size	_ZL33flash_attn_stream_k_fixup_generalILi256ELi1ELi8EEvPfPK15HIP_vector_typeIfLj2EEiiiiS1_IjLj3EES5_S5_S5_, .Lfunc_end12-_ZL33flash_attn_stream_k_fixup_generalILi256ELi1ELi8EEvPfPK15HIP_vector_typeIfLj2EEiiiiS1_IjLj3EES5_S5_S5_
                                        ; -- End function
	.set _ZL33flash_attn_stream_k_fixup_generalILi256ELi1ELi8EEvPfPK15HIP_vector_typeIfLj2EEiiiiS1_IjLj3EES5_S5_S5_.num_vgpr, 12
	.set _ZL33flash_attn_stream_k_fixup_generalILi256ELi1ELi8EEvPfPK15HIP_vector_typeIfLj2EEiiiiS1_IjLj3EES5_S5_S5_.num_agpr, 0
	.set _ZL33flash_attn_stream_k_fixup_generalILi256ELi1ELi8EEvPfPK15HIP_vector_typeIfLj2EEiiiiS1_IjLj3EES5_S5_S5_.numbered_sgpr, 46
	.set _ZL33flash_attn_stream_k_fixup_generalILi256ELi1ELi8EEvPfPK15HIP_vector_typeIfLj2EEiiiiS1_IjLj3EES5_S5_S5_.num_named_barrier, 0
	.set _ZL33flash_attn_stream_k_fixup_generalILi256ELi1ELi8EEvPfPK15HIP_vector_typeIfLj2EEiiiiS1_IjLj3EES5_S5_S5_.private_seg_size, 0
	.set _ZL33flash_attn_stream_k_fixup_generalILi256ELi1ELi8EEvPfPK15HIP_vector_typeIfLj2EEiiiiS1_IjLj3EES5_S5_S5_.uses_vcc, 1
	.set _ZL33flash_attn_stream_k_fixup_generalILi256ELi1ELi8EEvPfPK15HIP_vector_typeIfLj2EEiiiiS1_IjLj3EES5_S5_S5_.uses_flat_scratch, 0
	.set _ZL33flash_attn_stream_k_fixup_generalILi256ELi1ELi8EEvPfPK15HIP_vector_typeIfLj2EEiiiiS1_IjLj3EES5_S5_S5_.has_dyn_sized_stack, 0
	.set _ZL33flash_attn_stream_k_fixup_generalILi256ELi1ELi8EEvPfPK15HIP_vector_typeIfLj2EEiiiiS1_IjLj3EES5_S5_S5_.has_recursion, 0
	.set _ZL33flash_attn_stream_k_fixup_generalILi256ELi1ELi8EEvPfPK15HIP_vector_typeIfLj2EEiiiiS1_IjLj3EES5_S5_S5_.has_indirect_call, 0
	.section	.AMDGPU.csdata,"",@progbits
; Kernel info:
; codeLenInByte = 3328
; TotalNumSgprs: 48
; NumVgprs: 12
; ScratchSize: 0
; MemoryBound: 0
; FloatMode: 240
; IeeeMode: 1
; LDSByteSize: 0 bytes/workgroup (compile time only)
; SGPRBlocks: 0
; VGPRBlocks: 0
; NumSGPRsForWavesPerEU: 48
; NumVGPRsForWavesPerEU: 12
; NamedBarCnt: 0
; Occupancy: 16
; WaveLimiterHint : 0
; COMPUTE_PGM_RSRC2:SCRATCH_EN: 0
; COMPUTE_PGM_RSRC2:USER_SGPR: 2
; COMPUTE_PGM_RSRC2:TRAP_HANDLER: 0
; COMPUTE_PGM_RSRC2:TGID_X_EN: 1
; COMPUTE_PGM_RSRC2:TGID_Y_EN: 1
; COMPUTE_PGM_RSRC2:TGID_Z_EN: 1
; COMPUTE_PGM_RSRC2:TIDIG_COMP_CNT: 0
	.section	.text._ZL15flash_attn_tileILi256ELi256ELi8ELi4ELb0EEvPKcS1_S1_S1_S1_PKiPfP15HIP_vector_typeIfLj2EEffffjfiS5_IjLj3EEiiiiiiiiiiiliiliiiiil,"axG",@progbits,_ZL15flash_attn_tileILi256ELi256ELi8ELi4ELb0EEvPKcS1_S1_S1_S1_PKiPfP15HIP_vector_typeIfLj2EEffffjfiS5_IjLj3EEiiiiiiiiiiiliiliiiiil,comdat
	.globl	_ZL15flash_attn_tileILi256ELi256ELi8ELi4ELb0EEvPKcS1_S1_S1_S1_PKiPfP15HIP_vector_typeIfLj2EEffffjfiS5_IjLj3EEiiiiiiiiiiiliiliiiiil ; -- Begin function _ZL15flash_attn_tileILi256ELi256ELi8ELi4ELb0EEvPKcS1_S1_S1_S1_PKiPfP15HIP_vector_typeIfLj2EEffffjfiS5_IjLj3EEiiiiiiiiiiiliiliiiiil
	.p2align	8
	.type	_ZL15flash_attn_tileILi256ELi256ELi8ELi4ELb0EEvPKcS1_S1_S1_S1_PKiPfP15HIP_vector_typeIfLj2EEffffjfiS5_IjLj3EEiiiiiiiiiiiliiliiiiil,@function
_ZL15flash_attn_tileILi256ELi256ELi8ELi4ELb0EEvPKcS1_S1_S1_S1_PKiPfP15HIP_vector_typeIfLj2EEffffjfiS5_IjLj3EEiiiiiiiiiiiliiliiiiil: ; @_ZL15flash_attn_tileILi256ELi256ELi8ELi4ELb0EEvPKcS1_S1_S1_S1_PKiPfP15HIP_vector_typeIfLj2EEffffjfiS5_IjLj3EEiiiiiiiiiiiliiliiiiil
; %bb.0:
	s_clause 0x1
	s_load_b128 s[24:27], s[0:1], 0x5c
	s_load_b64 s[34:35], s[0:1], 0x80
	s_bfe_u32 s5, ttmp6, 0x40014
	s_lshr_b32 s4, ttmp7, 16
	s_add_co_i32 s5, s5, 1
	s_bfe_u32 s7, ttmp6, 0x40008
	s_mul_i32 s5, s4, s5
	s_getreg_b32 s6, hwreg(HW_REG_IB_STS2, 6, 4)
	s_add_co_i32 s7, s7, s5
	s_load_b64 s[38:39], s[0:1], 0xb8
	s_mov_b64 s[36:37], 0
	s_wait_kmcnt 0x0
	s_ashr_i32 s2, s27, 31
	s_delay_alu instid0(SALU_CYCLE_1) | instskip(NEXT) | instid1(SALU_CYCLE_1)
	s_lshr_b32 s2, s2, 30
	s_add_co_i32 s2, s27, s2
	s_delay_alu instid0(SALU_CYCLE_1) | instskip(NEXT) | instid1(SALU_CYCLE_1)
	s_ashr_i32 s2, s2, 2
	s_cvt_f32_u32 s3, s2
	s_sub_co_i32 s8, 0, s2
	s_delay_alu instid0(SALU_CYCLE_2) | instskip(SKIP_1) | instid1(TRANS32_DEP_1)
	v_rcp_iflag_f32_e32 v1, s3
	v_nop
	v_readfirstlane_b32 s3, v1
	s_mul_f32 s3, s3, 0x4f7ffffe
	s_delay_alu instid0(SALU_CYCLE_3) | instskip(NEXT) | instid1(SALU_CYCLE_3)
	s_cvt_u32_f32 s3, s3
	s_mul_i32 s8, s8, s3
	s_delay_alu instid0(SALU_CYCLE_1) | instskip(NEXT) | instid1(SALU_CYCLE_1)
	s_mul_hi_u32 s8, s3, s8
	s_add_co_i32 s3, s3, s8
	s_cmp_eq_u32 s6, 0
	s_cselect_b32 s4, s4, s7
	s_delay_alu instid0(SALU_CYCLE_1) | instskip(NEXT) | instid1(SALU_CYCLE_1)
	s_mul_hi_u32 s3, s4, s3
	s_mul_i32 s5, s3, s2
	s_add_co_i32 s7, s3, 1
	s_sub_co_i32 s5, s4, s5
	s_delay_alu instid0(SALU_CYCLE_1)
	s_sub_co_i32 s8, s5, s2
	s_cmp_ge_u32 s5, s2
	s_cselect_b32 s3, s7, s3
	s_cselect_b32 s5, s8, s5
	s_add_co_i32 s7, s3, 1
	s_cmp_ge_u32 s5, s2
	s_cselect_b32 s28, s7, s3
	s_abs_i32 s2, s35
	s_abs_i32 s8, s27
	s_cvt_f32_u32 s3, s2
	s_sub_co_i32 s5, 0, s2
	s_lshl_b32 s4, s4, 2
	s_mul_i32 s7, s28, s27
	v_rcp_iflag_f32_e32 v1, s3
	s_sub_co_i32 s30, s4, s7
	s_xor_b32 s4, s27, s35
	s_delay_alu instid0(SALU_CYCLE_1) | instskip(SKIP_1) | instid1(TRANS32_DEP_1)
	s_ashr_i32 s4, s4, 31
	v_nop
	v_readfirstlane_b32 s3, v1
	s_mul_f32 s3, s3, 0x4f7ffffe
	s_delay_alu instid0(SALU_CYCLE_3) | instskip(NEXT) | instid1(SALU_CYCLE_3)
	s_cvt_u32_f32 s3, s3
	s_mul_i32 s5, s5, s3
	s_delay_alu instid0(SALU_CYCLE_1) | instskip(NEXT) | instid1(SALU_CYCLE_1)
	s_mul_hi_u32 s5, s3, s5
	s_add_co_i32 s3, s3, s5
	s_delay_alu instid0(SALU_CYCLE_1) | instskip(NEXT) | instid1(SALU_CYCLE_1)
	s_mul_hi_u32 s3, s8, s3
	s_mul_i32 s5, s3, s2
	s_add_co_i32 s7, s3, 1
	s_sub_co_i32 s5, s8, s5
	s_delay_alu instid0(SALU_CYCLE_1)
	s_sub_co_i32 s8, s5, s2
	s_cmp_ge_u32 s5, s2
	s_cselect_b32 s3, s7, s3
	s_cselect_b32 s5, s8, s5
	s_add_co_i32 s7, s3, 1
	s_cmp_ge_u32 s5, s2
	s_load_b512 s[8:23], s[0:1], 0x0
	s_cselect_b32 s2, s7, s3
	s_mov_b32 s3, 0
	s_xor_b32 s2, s2, s4
	s_delay_alu instid0(SALU_CYCLE_1) | instskip(NEXT) | instid1(SALU_CYCLE_1)
	s_sub_co_i32 s29, s2, s4
	s_abs_i32 s31, s29
	s_delay_alu instid0(SALU_CYCLE_1) | instskip(NEXT) | instid1(SALU_CYCLE_3)
	s_cvt_f32_u32 s2, s31
	v_rcp_iflag_f32_e32 v1, s2
	s_wait_kmcnt 0x0
	s_cmp_eq_u64 s[14:15], 0
	v_nop
	s_delay_alu instid0(TRANS32_DEP_1)
	v_readfirstlane_b32 s2, v1
	s_cbranch_scc1 .LBB13_2
; %bb.1:
	s_abs_i32 s7, s38
	s_abs_i32 s33, s28
	s_cvt_f32_u32 s4, s7
	s_sub_co_i32 s5, 0, s7
	s_delay_alu instid0(SALU_CYCLE_2) | instskip(SKIP_1) | instid1(TRANS32_DEP_1)
	v_rcp_iflag_f32_e32 v1, s4
	v_nop
	v_readfirstlane_b32 s4, v1
	s_mul_f32 s4, s4, 0x4f7ffffe
	s_delay_alu instid0(SALU_CYCLE_3) | instskip(NEXT) | instid1(SALU_CYCLE_3)
	s_cvt_u32_f32 s4, s4
	s_mul_i32 s5, s5, s4
	s_delay_alu instid0(SALU_CYCLE_1) | instskip(NEXT) | instid1(SALU_CYCLE_1)
	s_mul_hi_u32 s5, s4, s5
	s_add_co_i32 s4, s4, s5
	s_delay_alu instid0(SALU_CYCLE_1) | instskip(SKIP_2) | instid1(SALU_CYCLE_1)
	s_mul_hi_u32 s35, s33, s4
	s_load_b64 s[4:5], s[0:1], 0xc8
	s_mul_i32 s35, s35, s7
	s_sub_co_i32 s33, s33, s35
	s_ashr_i32 s35, s28, 31
	s_sub_co_i32 s36, s33, s7
	s_cmp_ge_u32 s33, s7
	s_cselect_b32 s33, s36, s33
	s_delay_alu instid0(SALU_CYCLE_1) | instskip(SKIP_2) | instid1(SALU_CYCLE_1)
	s_sub_co_i32 s36, s33, s7
	s_cmp_ge_u32 s33, s7
	s_cselect_b32 s7, s36, s33
	s_xor_b32 s7, s7, s35
	s_delay_alu instid0(SALU_CYCLE_1) | instskip(NEXT) | instid1(SALU_CYCLE_1)
	s_sub_co_i32 s36, s7, s35
	s_ashr_i32 s37, s36, 31
	s_wait_kmcnt 0x0
	s_mul_u64 s[4:5], s[4:5], s[36:37]
	s_delay_alu instid0(SALU_CYCLE_1)
	s_add_nc_u64 s[36:37], s[14:15], s[4:5]
.LBB13_2:
	s_bfe_u32 s4, ttmp6, 0x4000c
	s_and_b32 s5, ttmp6, 15
	s_add_co_i32 s4, s4, 1
	v_bfe_u32 v1, v0, 10, 10
	s_mul_i32 s4, ttmp9, s4
	s_load_b96 s[40:42], s[0:1], 0x70
	s_add_co_i32 s5, s5, s4
	s_cmp_eq_u32 s6, 0
	v_and_b32_e32 v62, 0x3ff, v0
	s_cselect_b32 s7, ttmp9, s5
	v_lshl_add_u32 v63, v1, 11, 0x4400
	v_lshl_add_u32 v61, s7, 3, v1
	s_delay_alu instid0(VALU_DEP_3) | instskip(SKIP_1) | instid1(VALU_DEP_3)
	v_dual_mov_b32 v3, 0 :: v_dual_lshlrev_b32 v6, 4, v62
	v_lshlrev_b32_e32 v64, 3, v62
	v_mul_hi_u32 v2, s24, v61
	s_delay_alu instid0(VALU_DEP_3) | instskip(NEXT) | instid1(VALU_DEP_3)
	v_mov_b32_e32 v7, v3
	v_add_nc_u32_e32 v0, v63, v64
	s_wait_kmcnt 0x0
	s_mul_i32 s14, s30, s41
	s_ashr_i32 s5, s41, 31
	s_delay_alu instid0(VALU_DEP_3) | instskip(SKIP_3) | instid1(VALU_DEP_1)
	v_add_nc_u32_e32 v2, v61, v2
	s_mov_b32 s4, s41
	s_ashr_i32 s41, s40, 31
	s_ashr_i32 s15, s14, 31
	v_lshrrev_b32_e32 v2, s25, v2
	s_lshr_b64 s[24:25], s[40:41], 2
	s_delay_alu instid0(VALU_DEP_1) | instskip(NEXT) | instid1(VALU_DEP_1)
	v_mul_lo_u32 v2, v2, s26
	v_sub_nc_u32_e32 v2, v61, v2
	s_delay_alu instid0(VALU_DEP_1) | instskip(SKIP_1) | instid1(SALU_CYCLE_1)
	v_mul_u64_e32 v[4:5], s[24:25], v[2:3]
	s_mul_i32 s24, s28, s42
	s_ashr_i32 s25, s24, 31
	s_delay_alu instid0(SALU_CYCLE_1) | instskip(NEXT) | instid1(SALU_CYCLE_1)
	s_add_nc_u64 s[8:9], s[8:9], s[24:25]
	s_add_nc_u64 s[8:9], s[8:9], s[14:15]
	s_and_b64 s[14:15], s[4:5], -4
	s_delay_alu instid0(VALU_DEP_1) | instskip(SKIP_3) | instid1(VALU_DEP_1)
	v_lshl_add_u64 v[4:5], v[4:5], 2, s[8:9]
	s_lshr_b64 s[8:9], s[4:5], 2
	s_load_b32 s4, s[0:1], 0x40
	s_cmp_eq_u64 s[18:19], 0
	v_add_nc_u64_e32 v[28:29], v[4:5], v[6:7]
	s_clause 0x1
	global_load_b128 v[4:7], v[28:29], off
	global_load_b128 v[8:11], v[28:29], off offset:512
	v_mad_nc_u64_u32 v[36:37], s8, 12, v[28:29]
	v_add_nc_u64_e32 v[32:33], s[14:15], v[28:29]
	v_lshl_add_u64 v[30:31], s[8:9], 3, v[28:29]
	s_clause 0x3
	global_load_b128 v[12:15], v[30:31], off
	global_load_b128 v[16:19], v[30:31], off offset:512
	global_load_b128 v[20:23], v[32:33], off
	global_load_b128 v[24:27], v[32:33], off offset:512
	v_mad_u32 v37, s5, 12, v37
	s_clause 0x1
	global_load_b128 v[28:31], v[36:37], off
	global_load_b128 v[32:35], v[36:37], off offset:512
	s_wait_loadcnt 0x7
	s_wait_kmcnt 0x0
	v_fma_mixlo_f16 v3, s4, v4, 0
	v_fma_mixlo_f16 v4, s4, v5, 0
	;; [unrolled: 1-line block ×4, first 2 shown]
	s_wait_loadcnt 0x6
	v_fma_mixlo_f16 v7, s4, v8, 0
	v_fma_mixlo_f16 v8, s4, v9, 0
	;; [unrolled: 1-line block ×4, first 2 shown]
	v_dual_lshlrev_b32 v4, 16, v4 :: v_dual_lshlrev_b32 v6, 16, v6
	v_and_b32_e32 v3, 0xffff, v3
	v_and_b32_e32 v5, 0xffff, v5
	s_delay_alu instid0(VALU_DEP_4)
	v_dual_lshlrev_b32 v8, 16, v8 :: v_dual_lshlrev_b32 v10, 16, v10
	v_and_b32_e32 v7, 0xffff, v7
	v_and_b32_e32 v9, 0xffff, v9
	s_wait_loadcnt 0x5
	v_fma_mixlo_f16 v11, s4, v12, 0
	v_fma_mixlo_f16 v12, s4, v13, 0
	v_fma_mixlo_f16 v13, s4, v14, 0
	v_fma_mixlo_f16 v14, s4, v15, 0
	s_wait_loadcnt 0x4
	v_fma_mixlo_f16 v15, s4, v16, 0
	v_fma_mixlo_f16 v16, s4, v17, 0
	v_fma_mixlo_f16 v17, s4, v18, 0
	v_fma_mixlo_f16 v18, s4, v19, 0
	;; [unrolled: 5-line block ×4, first 2 shown]
	v_or_b32_e32 v3, v4, v3
	v_or3_b32 v5, v6, v5, 0
	v_or_b32_e32 v6, v8, v7
	v_or3_b32 v7, v10, v9, 0
	v_lshlrev_b32_e32 v8, 16, v12
	v_and_b32_e32 v9, 0xffff, v11
	v_lshlrev_b32_e32 v10, 16, v14
	v_and_b32_e32 v11, 0xffff, v13
	v_dual_lshlrev_b32 v12, 16, v16 :: v_dual_lshlrev_b32 v14, 16, v18
	v_and_b32_e32 v13, 0xffff, v15
	v_and_b32_e32 v15, 0xffff, v17
	v_dual_lshlrev_b32 v16, 16, v20 :: v_dual_lshlrev_b32 v18, 16, v22
	v_and_b32_e32 v17, 0xffff, v19
	;; [unrolled: 3-line block ×3, first 2 shown]
	v_and_b32_e32 v23, 0xffff, v25
	v_or3_b32 v4, 0, 0, v3
	v_or_b32_e32 v3, v8, v9
	v_or3_b32 v9, v10, v11, 0
	v_or_b32_e32 v10, v12, v13
	v_or3_b32 v11, v14, v15, 0
	v_or3_b32 v15, v22, v23, 0
	s_wait_loadcnt 0x0
	v_fma_mixlo_f16 v22, s4, v35, 0
	v_or_b32_e32 v14, v20, v21
	v_fma_mixlo_f16 v20, s4, v33, 0
	v_or_b32_e32 v12, v16, v17
	v_fma_mixlo_f16 v16, s4, v29, 0
	v_or3_b32 v13, v18, v19, 0
	v_fma_mixlo_f16 v19, s4, v32, 0
	v_fma_mixlo_f16 v17, s4, v30, 0
	;; [unrolled: 1-line block ×3, first 2 shown]
	v_lshlrev_b32_e32 v16, 16, v16
	v_or3_b32 v8, 0, 0, v3
	v_fma_mixlo_f16 v3, s4, v28, 0
	v_fma_mixlo_f16 v21, s4, v34, 0
	v_lshlrev_b32_e32 v20, 16, v20
	v_and_b32_e32 v19, 0xffff, v19
	v_lshlrev_b32_e32 v18, 16, v18
	v_and_b32_e32 v3, 0xffff, v3
	v_and_b32_e32 v17, 0xffff, v17
	v_lshlrev_b32_e32 v22, 16, v22
	v_and_b32_e32 v21, 0xffff, v21
	v_or_b32_e32 v20, v20, v19
	v_or_b32_e32 v3, v16, v3
	v_or3_b32 v6, 0, 0, v6
	v_or3_b32 v10, 0, 0, v10
	;; [unrolled: 1-line block ×8, first 2 shown]
	ds_store_2addr_b64 v0, v[4:5], v[6:7] offset1:32
	ds_store_2addr_b64 v0, v[8:9], v[10:11] offset0:128 offset1:160
	ds_store_2addr_b64 v0, v[12:13], v[14:15] offset0:64 offset1:96
	;; [unrolled: 1-line block ×3, first 2 shown]
	s_wait_dscnt 0x0
	s_barrier_signal -1
	s_barrier_wait -1
	s_cbranch_scc1 .LBB13_4
; %bb.3:
	s_load_b32 s4, s[0:1], 0xd0
	s_wait_kmcnt 0x0
	s_mul_i32 s4, s4, s28
	s_delay_alu instid0(SALU_CYCLE_1)
	s_add_co_i32 s4, s4, s7
	s_load_b32 s34, s[18:19], s4 offset:0x0 scale_offset
.LBB13_4:
	s_wait_xcnt 0x0
	s_bfe_u32 s4, ttmp6, 0x40010
	s_and_b32 s5, ttmp7, 0xffff
	s_add_co_i32 s4, s4, 1
	s_bfe_u32 s7, ttmp6, 0x40004
	s_mul_i32 s4, s5, s4
	v_lshlrev_b32_e32 v60, 2, v62
	s_add_co_i32 s7, s7, s4
	s_cmp_eq_u32 s6, 0
	v_mbcnt_lo_u32_b32 v65, -1, 0
	s_cselect_b32 s33, s5, s7
	s_mov_b32 s4, 0
	s_lshl_b32 s14, s33, 6
	s_wait_kmcnt 0x0
	s_cmp_lt_i32 s14, s34
	s_cbranch_scc1 .LBB13_7
; %bb.5:
	v_mbcnt_lo_u32_b32 v5, -1, 0
	s_delay_alu instid0(VALU_DEP_1)
	v_dual_mov_b32 v4, 32 :: v_dual_bitop2_b32 v70, 16, v5 bitop3:0x14
	v_xor_b32_e32 v69, 8, v5
	v_xor_b32_e32 v68, 4, v5
	;; [unrolled: 1-line block ×4, first 2 shown]
	s_and_not1_b32 vcc_lo, exec_lo, s4
	s_cbranch_vccz .LBB13_8
; %bb.6:
	v_dual_mov_b32 v102, 0 :: v_dual_mov_b32 v29, 0
	v_dual_mov_b32 v3, 0xfeffffff :: v_dual_mov_b32 v2, 0xfeffffff
	;; [unrolled: 1-line block ×3, first 2 shown]
	s_delay_alu instid0(VALU_DEP_3)
	v_dual_mov_b32 v28, v29 :: v_dual_mov_b32 v31, v29
	v_dual_mov_b32 v30, v29 :: v_dual_mov_b32 v105, 0
	;; [unrolled: 1-line block ×9, first 2 shown]
	s_branch .LBB13_11
.LBB13_7:
                                        ; implicit-def: $vgpr5
                                        ; implicit-def: $vgpr4
                                        ; implicit-def: $vgpr70
                                        ; implicit-def: $vgpr69
                                        ; implicit-def: $vgpr68
                                        ; implicit-def: $vgpr67
                                        ; implicit-def: $vgpr66
.LBB13_8:
	s_clause 0x1
	s_load_b64 s[8:9], s[0:1], 0x8c
	s_load_b128 s[4:7], s[0:1], 0x98
	s_mul_f32 s2, s2, 0x4f7ffffe
	s_sub_co_i32 s15, 0, s31
	s_mov_b32 s19, s3
	s_ashr_i32 s24, s30, 31
	s_cvt_u32_f32 s18, s2
	s_abs_i32 s2, s30
	s_ashr_i32 s25, s29, 31
	s_ashr_i32 s35, s39, 1
	s_mul_i32 s15, s15, s18
	s_ashr_i32 s29, s28, 31
	s_mul_hi_u32 s15, s18, s15
	v_dual_lshrrev_b32 v0, 4, v62 :: v_dual_bitop2_b32 v4, 60, v60 bitop3:0x40
	s_add_co_i32 s18, s18, s15
	s_xor_b32 s15, s24, s25
	s_mul_u64 s[18:19], s[2:3], s[18:19]
	s_delay_alu instid0(VALU_DEP_1)
	v_lshl_add_u32 v0, v1, 1, v0
	s_mul_i32 s3, s19, s31
	s_add_co_i32 s25, s19, 1
	s_sub_co_i32 s38, s2, s3
	s_load_b64 s[2:3], s[0:1], 0xa8
	s_wait_kmcnt 0x0
	s_ashr_i32 s18, s6, 2
	s_ashr_i32 s24, s8, 2
	s_sub_co_i32 s6, s38, s31
	s_cmp_ge_u32 s38, s31
	v_mul_lo_u32 v32, s24, v0
	s_cselect_b32 s8, s25, s19
	s_cselect_b32 s6, s6, s38
	s_add_co_i32 s19, s8, 1
	s_cmp_ge_u32 s6, s31
	v_mul_lo_u32 v6, s18, v1
	s_cselect_b32 s6, s19, s8
	s_mul_u64 s[4:5], s[4:5], s[28:29]
	s_xor_b32 s6, s6, s15
	s_add_nc_u64 s[4:5], s[10:11], s[4:5]
	s_sub_co_i32 s6, s6, s15
	v_dual_lshlrev_b32 v3, 2, v4 :: v_dual_mov_b32 v37, 0
	s_mul_i32 s8, s6, s9
	v_ashrrev_i32_e32 v33, 31, v32
	s_ashr_i32 s9, s8, 31
	s_mul_u64 s[2:3], s[2:3], s[28:29]
	s_add_nc_u64 s[38:39], s[4:5], s[8:9]
	s_mul_i32 s4, s6, s7
	s_add_nc_u64 s[2:3], s[12:13], s[2:3]
	s_ashr_i32 s5, s4, 31
	s_lshl_b32 s6, s24, 4
	s_add_nc_u64 s[40:41], s[2:3], s[4:5]
	s_lshl_b32 s2, s18, 3
	v_add_nc_u32_e32 v34, s6, v32
	v_mad_u32_u24 v71, 0x110, v0, v3
	v_dual_lshlrev_b32 v0, 9, v1 :: v_dual_add_nc_u32 v8, s2, v6
	v_mad_u32 v77, v2, s35, v62
	s_delay_alu instid0(VALU_DEP_4) | instskip(NEXT) | instid1(VALU_DEP_3)
	v_dual_add_nc_u32 v38, s6, v34 :: v_dual_ashrrev_i32 v35, 31, v34
	v_dual_ashrrev_i32 v7, 31, v6 :: v_dual_add_nc_u32 v10, s2, v8
	s_delay_alu instid0(VALU_DEP_2) | instskip(SKIP_2) | instid1(VALU_DEP_4)
	v_dual_ashrrev_i32 v9, 31, v8 :: v_dual_ashrrev_i32 v39, 31, v38
	v_add_nc_u32_e32 v40, s6, v38
	v_lshl_add_u32 v76, v60, 2, v0
	v_dual_add_nc_u32 v2, s2, v10 :: v_dual_ashrrev_i32 v11, 31, v10
	v_dual_mov_b32 v93, v37 :: v_dual_add_nc_u32 v78, 0x8400, v0
	s_delay_alu instid0(VALU_DEP_2)
	v_dual_ashrrev_i32 v41, 31, v40 :: v_dual_ashrrev_i32 v3, 31, v2
	v_mov_b32_e32 v0, 0xfeffffff
	v_lshlrev_b64_e32 v[42:43], 2, v[6:7]
	v_lshlrev_b64_e32 v[46:47], 2, v[8:9]
	;; [unrolled: 1-line block ×4, first 2 shown]
	v_dual_mov_b32 v45, v37 :: v_dual_add_nc_u32 v72, 0x1100, v71
	v_dual_mov_b32 v90, v37 :: v_dual_add_nc_u32 v73, 0x2200, v71
	;; [unrolled: 1-line block ×3, first 2 shown]
	v_mul_u32_u24_e32 v75, 0x110, v62
	v_dual_mov_b32 v92, v37 :: v_dual_add_nc_u32 v79, 0x1000, v76
	v_dual_mov_b32 v31, v37 :: v_dual_add_nc_u32 v80, 0x2000, v76
	;; [unrolled: 1-line block ×3, first 2 shown]
	v_dual_lshlrev_b32 v36, 2, v4 :: v_dual_bitop2_b32 v70, 16, v65 bitop3:0x14
	v_dual_add_nc_u32 v82, v78, v64 :: v_dual_bitop2_b32 v69, 8, v65 bitop3:0x14
	v_dual_lshlrev_b32 v44, 2, v60 :: v_dual_bitop2_b32 v68, 4, v65 bitop3:0x14
	v_dual_mov_b32 v28, v37 :: v_dual_bitop2_b32 v67, 2, v65 bitop3:0x14
	v_dual_mov_b32 v29, v37 :: v_dual_bitop2_b32 v66, 1, v65 bitop3:0x14
	v_dual_mov_b32 v94, v37 :: v_dual_add_nc_u32 v83, 0x800, v64
	v_dual_mov_b32 v97, v37 :: v_dual_add_nc_u32 v84, 0x1000, v64
	;; [unrolled: 1-line block ×7, first 2 shown]
	v_dual_mov_b32 v1, 0xfeffffff :: v_dual_mov_b32 v2, 0xfeffffff
	v_dual_mov_b32 v3, 0xfeffffff :: v_dual_mov_b32 v104, v37
	;; [unrolled: 1-line block ×4, first 2 shown]
	s_ashr_i32 s25, s24, 31
	s_ashr_i32 s19, s18, 31
	s_add_nc_u64 s[42:43], s[0:1], 0xd0
.LBB13_9:                               ; =>This Inner Loop Header: Depth=1
	s_ashr_i32 s15, s14, 31
	v_dual_mov_b32 v26, 0 :: v_dual_mov_b32 v27, 0
	s_mul_u64 s[2:3], s[14:15], s[24:25]
	v_dual_mov_b32 v52, 0 :: v_dual_mov_b32 v53, 0
	s_lshl_b64 s[2:3], s[2:3], 2
	v_dual_mov_b32 v54, 0 :: v_dual_mov_b32 v55, 0
	s_add_nc_u64 s[6:7], s[38:39], s[2:3]
	v_dual_mov_b32 v56, 0 :: v_dual_mov_b32 v57, 0
	v_lshl_add_u64 v[6:7], v[32:33], 2, s[6:7]
	v_lshl_add_u64 v[10:11], v[34:35], 2, s[6:7]
	;; [unrolled: 1-line block ×4, first 2 shown]
	v_cmp_gt_i32_e32 vcc_lo, 32, v70
	v_add_nc_u64_e32 v[8:9], v[6:7], v[36:37]
	v_add_nc_u64_e32 v[10:11], v[10:11], v[36:37]
	;; [unrolled: 1-line block ×4, first 2 shown]
	s_clause 0x3
	global_load_b128 v[106:109], v[8:9], off
	global_load_b128 v[110:113], v[10:11], off
	;; [unrolled: 1-line block ×4, first 2 shown]
	v_dual_mov_b32 v16, v0 :: v_dual_mov_b32 v17, v1
	v_dual_add_nc_u32 v20, s14, v77 :: v_dual_cndmask_b32 v0, v65, v70, vcc_lo
	v_cmp_gt_i32_e32 vcc_lo, 32, v69
	v_dual_mov_b32 v18, v2 :: v_dual_mov_b32 v19, v3
	s_mul_u64 s[4:5], s[14:15], s[18:19]
	s_wait_loadcnt 0x3
	ds_store_b128 v71, v[106:109]
	s_wait_loadcnt 0x2
	ds_store_b128 v72, v[110:113]
	;; [unrolled: 2-line block ×4, first 2 shown]
	s_wait_dscnt 0x0
	s_barrier_signal -1
	s_barrier_wait -1
	ds_load_b128 v[106:109], v75
	ds_load_b128 v[110:113], v63
	ds_load_b128 v[114:117], v63 offset:512
	ds_load_b128 v[118:121], v63 offset:1024
	;; [unrolled: 1-line block ×4, first 2 shown]
	v_cndmask_b32_e32 v1, v65, v69, vcc_lo
	v_cmp_gt_i32_e32 vcc_lo, 32, v68
	s_lshl_b64 s[4:5], s[4:5], 2
	s_wait_dscnt 0x4
	;;#ASMSTART
	v_dot2_f32_f16 v26, v106, v110, v26
	;;#ASMEND
	;;#ASMSTART
	v_dot2_f32_f16 v26, v107, v111, v26
	;;#ASMEND
	;;#ASMSTART
	v_dot2_f32_f16 v26, v108, v112, v26
	;;#ASMEND
	;;#ASMSTART
	v_dot2_f32_f16 v26, v109, v113, v26
	;;#ASMEND
	s_wait_dscnt 0x3
	;;#ASMSTART
	v_dot2_f32_f16 v27, v106, v114, v27
	;;#ASMEND
	;;#ASMSTART
	v_dot2_f32_f16 v27, v107, v115, v27
	;;#ASMEND
	;;#ASMSTART
	v_dot2_f32_f16 v27, v108, v116, v27
	;;#ASMEND
	;;#ASMSTART
	v_dot2_f32_f16 v27, v109, v117, v27
	;;#ASMEND
	;; [unrolled: 13-line block ×5, first 2 shown]
	;;#ASMSTART
	v_dot2_f32_f16 v55, v126, v114, v55
	;;#ASMEND
	;;#ASMSTART
	v_dot2_f32_f16 v55, v127, v115, v55
	;;#ASMEND
	;; [unrolled: 3-line block ×12, first 2 shown]
	ds_load_b128 v[106:109], v75 offset:16
	ds_load_b128 v[110:113], v63 offset:16
	;; [unrolled: 1-line block ×6, first 2 shown]
	s_wait_dscnt 0x4
	;;#ASMSTART
	v_dot2_f32_f16 v26, v106, v110, v26
	;;#ASMEND
	;;#ASMSTART
	v_dot2_f32_f16 v26, v107, v111, v26
	;;#ASMEND
	;;#ASMSTART
	v_dot2_f32_f16 v26, v108, v112, v26
	;;#ASMEND
	;;#ASMSTART
	v_dot2_f32_f16 v26, v109, v113, v26
	;;#ASMEND
	s_wait_dscnt 0x3
	;;#ASMSTART
	v_dot2_f32_f16 v27, v106, v114, v27
	;;#ASMEND
	;;#ASMSTART
	v_dot2_f32_f16 v27, v107, v115, v27
	;;#ASMEND
	;;#ASMSTART
	v_dot2_f32_f16 v27, v108, v116, v27
	;;#ASMEND
	;;#ASMSTART
	v_dot2_f32_f16 v27, v109, v117, v27
	;;#ASMEND
	s_wait_dscnt 0x2
	;;#ASMSTART
	v_dot2_f32_f16 v52, v106, v118, v52
	;;#ASMEND
	;;#ASMSTART
	v_dot2_f32_f16 v52, v107, v119, v52
	;;#ASMEND
	;;#ASMSTART
	v_dot2_f32_f16 v52, v108, v120, v52
	;;#ASMEND
	;;#ASMSTART
	v_dot2_f32_f16 v52, v109, v121, v52
	;;#ASMEND
	s_wait_dscnt 0x1
	;;#ASMSTART
	v_dot2_f32_f16 v53, v106, v122, v53
	;;#ASMEND
	;;#ASMSTART
	v_dot2_f32_f16 v53, v107, v123, v53
	;;#ASMEND
	;;#ASMSTART
	v_dot2_f32_f16 v53, v108, v124, v53
	;;#ASMEND
	;;#ASMSTART
	v_dot2_f32_f16 v53, v109, v125, v53
	;;#ASMEND
	s_wait_dscnt 0x0
	;;#ASMSTART
	v_dot2_f32_f16 v54, v126, v110, v54
	;;#ASMEND
	;;#ASMSTART
	v_dot2_f32_f16 v54, v127, v111, v54
	;;#ASMEND
	;;#ASMSTART
	v_dot2_f32_f16 v54, v128, v112, v54
	;;#ASMEND
	;;#ASMSTART
	v_dot2_f32_f16 v54, v129, v113, v54
	;;#ASMEND
	;;#ASMSTART
	v_dot2_f32_f16 v55, v126, v114, v55
	;;#ASMEND
	;;#ASMSTART
	v_dot2_f32_f16 v55, v127, v115, v55
	;;#ASMEND
	;; [unrolled: 3-line block ×12, first 2 shown]
	ds_load_b128 v[106:109], v75 offset:32
	ds_load_b128 v[110:113], v63 offset:32
	;; [unrolled: 1-line block ×6, first 2 shown]
	s_wait_dscnt 0x4
	;;#ASMSTART
	v_dot2_f32_f16 v26, v106, v110, v26
	;;#ASMEND
	;;#ASMSTART
	v_dot2_f32_f16 v26, v107, v111, v26
	;;#ASMEND
	;;#ASMSTART
	v_dot2_f32_f16 v26, v108, v112, v26
	;;#ASMEND
	;;#ASMSTART
	v_dot2_f32_f16 v26, v109, v113, v26
	;;#ASMEND
	s_wait_dscnt 0x3
	;;#ASMSTART
	v_dot2_f32_f16 v27, v106, v114, v27
	;;#ASMEND
	;;#ASMSTART
	v_dot2_f32_f16 v27, v107, v115, v27
	;;#ASMEND
	;;#ASMSTART
	v_dot2_f32_f16 v27, v108, v116, v27
	;;#ASMEND
	;;#ASMSTART
	v_dot2_f32_f16 v27, v109, v117, v27
	;;#ASMEND
	;; [unrolled: 13-line block ×5, first 2 shown]
	;;#ASMSTART
	v_dot2_f32_f16 v55, v126, v114, v55
	;;#ASMEND
	;;#ASMSTART
	v_dot2_f32_f16 v55, v127, v115, v55
	;;#ASMEND
	;;#ASMSTART
	v_dot2_f32_f16 v55, v128, v116, v55
	;;#ASMEND
	;;#ASMSTART
	v_dot2_f32_f16 v55, v129, v117, v55
	;;#ASMEND
	;;#ASMSTART
	v_dot2_f32_f16 v56, v126, v118, v56
	;;#ASMEND
	;;#ASMSTART
	v_dot2_f32_f16 v56, v127, v119, v56
	;;#ASMEND
	;;#ASMSTART
	v_dot2_f32_f16 v56, v128, v120, v56
	;;#ASMEND
	;;#ASMSTART
	v_dot2_f32_f16 v56, v129, v121, v56
	;;#ASMEND
	;;#ASMSTART
	v_dot2_f32_f16 v57, v126, v122, v57
	;;#ASMEND
	;;#ASMSTART
	v_dot2_f32_f16 v57, v127, v123, v57
	;;#ASMEND
	;;#ASMSTART
	v_dot2_f32_f16 v57, v128, v124, v57
	;;#ASMEND
	;;#ASMSTART
	v_dot2_f32_f16 v57, v129, v125, v57
	;;#ASMEND
	ds_load_b128 v[106:109], v75 offset:48
	ds_load_b128 v[110:113], v63 offset:48
	;; [unrolled: 1-line block ×6, first 2 shown]
	s_wait_dscnt 0x4
	;;#ASMSTART
	v_dot2_f32_f16 v26, v106, v110, v26
	;;#ASMEND
	;;#ASMSTART
	v_dot2_f32_f16 v26, v107, v111, v26
	;;#ASMEND
	;;#ASMSTART
	v_dot2_f32_f16 v26, v108, v112, v26
	;;#ASMEND
	;;#ASMSTART
	v_dot2_f32_f16 v26, v109, v113, v26
	;;#ASMEND
	s_wait_dscnt 0x3
	;;#ASMSTART
	v_dot2_f32_f16 v27, v106, v114, v27
	;;#ASMEND
	;;#ASMSTART
	v_dot2_f32_f16 v27, v107, v115, v27
	;;#ASMEND
	;;#ASMSTART
	v_dot2_f32_f16 v27, v108, v116, v27
	;;#ASMEND
	;;#ASMSTART
	v_dot2_f32_f16 v27, v109, v117, v27
	;;#ASMEND
	;; [unrolled: 13-line block ×5, first 2 shown]
	;;#ASMSTART
	v_dot2_f32_f16 v55, v126, v114, v55
	;;#ASMEND
	;;#ASMSTART
	v_dot2_f32_f16 v55, v127, v115, v55
	;;#ASMEND
	;;#ASMSTART
	v_dot2_f32_f16 v55, v128, v116, v55
	;;#ASMEND
	;;#ASMSTART
	v_dot2_f32_f16 v55, v129, v117, v55
	;;#ASMEND
	;;#ASMSTART
	v_dot2_f32_f16 v56, v126, v118, v56
	;;#ASMEND
	;;#ASMSTART
	v_dot2_f32_f16 v56, v127, v119, v56
	;;#ASMEND
	;;#ASMSTART
	v_dot2_f32_f16 v56, v128, v120, v56
	;;#ASMEND
	;;#ASMSTART
	v_dot2_f32_f16 v56, v129, v121, v56
	;;#ASMEND
	;;#ASMSTART
	v_dot2_f32_f16 v57, v126, v122, v57
	;;#ASMEND
	;;#ASMSTART
	v_dot2_f32_f16 v57, v127, v123, v57
	;;#ASMEND
	;;#ASMSTART
	v_dot2_f32_f16 v57, v128, v124, v57
	;;#ASMEND
	;;#ASMSTART
	v_dot2_f32_f16 v57, v129, v125, v57
	;;#ASMEND
	ds_load_b128 v[106:109], v75 offset:64
	ds_load_b128 v[110:113], v63 offset:64
	;; [unrolled: 1-line block ×6, first 2 shown]
	s_wait_dscnt 0x4
	;;#ASMSTART
	v_dot2_f32_f16 v26, v106, v110, v26
	;;#ASMEND
	;;#ASMSTART
	v_dot2_f32_f16 v26, v107, v111, v26
	;;#ASMEND
	;;#ASMSTART
	v_dot2_f32_f16 v26, v108, v112, v26
	;;#ASMEND
	;;#ASMSTART
	v_dot2_f32_f16 v26, v109, v113, v26
	;;#ASMEND
	s_wait_dscnt 0x3
	;;#ASMSTART
	v_dot2_f32_f16 v27, v106, v114, v27
	;;#ASMEND
	;;#ASMSTART
	v_dot2_f32_f16 v27, v107, v115, v27
	;;#ASMEND
	;;#ASMSTART
	v_dot2_f32_f16 v27, v108, v116, v27
	;;#ASMEND
	;;#ASMSTART
	v_dot2_f32_f16 v27, v109, v117, v27
	;;#ASMEND
	;; [unrolled: 13-line block ×5, first 2 shown]
	;;#ASMSTART
	v_dot2_f32_f16 v55, v126, v114, v55
	;;#ASMEND
	;;#ASMSTART
	v_dot2_f32_f16 v55, v127, v115, v55
	;;#ASMEND
	;; [unrolled: 3-line block ×12, first 2 shown]
	ds_load_b128 v[106:109], v75 offset:80
	ds_load_b128 v[110:113], v63 offset:80
	;; [unrolled: 1-line block ×6, first 2 shown]
	s_wait_dscnt 0x4
	;;#ASMSTART
	v_dot2_f32_f16 v26, v106, v110, v26
	;;#ASMEND
	;;#ASMSTART
	v_dot2_f32_f16 v26, v107, v111, v26
	;;#ASMEND
	;;#ASMSTART
	v_dot2_f32_f16 v26, v108, v112, v26
	;;#ASMEND
	;;#ASMSTART
	v_dot2_f32_f16 v26, v109, v113, v26
	;;#ASMEND
	s_wait_dscnt 0x3
	;;#ASMSTART
	v_dot2_f32_f16 v27, v106, v114, v27
	;;#ASMEND
	;;#ASMSTART
	v_dot2_f32_f16 v27, v107, v115, v27
	;;#ASMEND
	;;#ASMSTART
	v_dot2_f32_f16 v27, v108, v116, v27
	;;#ASMEND
	;;#ASMSTART
	v_dot2_f32_f16 v27, v109, v117, v27
	;;#ASMEND
	;; [unrolled: 13-line block ×5, first 2 shown]
	;;#ASMSTART
	v_dot2_f32_f16 v55, v126, v114, v55
	;;#ASMEND
	;;#ASMSTART
	v_dot2_f32_f16 v55, v127, v115, v55
	;;#ASMEND
	;;#ASMSTART
	v_dot2_f32_f16 v55, v128, v116, v55
	;;#ASMEND
	;;#ASMSTART
	v_dot2_f32_f16 v55, v129, v117, v55
	;;#ASMEND
	;;#ASMSTART
	v_dot2_f32_f16 v56, v126, v118, v56
	;;#ASMEND
	;;#ASMSTART
	v_dot2_f32_f16 v56, v127, v119, v56
	;;#ASMEND
	;;#ASMSTART
	v_dot2_f32_f16 v56, v128, v120, v56
	;;#ASMEND
	;;#ASMSTART
	v_dot2_f32_f16 v56, v129, v121, v56
	;;#ASMEND
	;;#ASMSTART
	v_dot2_f32_f16 v57, v126, v122, v57
	;;#ASMEND
	;;#ASMSTART
	v_dot2_f32_f16 v57, v127, v123, v57
	;;#ASMEND
	;;#ASMSTART
	v_dot2_f32_f16 v57, v128, v124, v57
	;;#ASMEND
	;;#ASMSTART
	v_dot2_f32_f16 v57, v129, v125, v57
	;;#ASMEND
	ds_load_b128 v[106:109], v75 offset:96
	ds_load_b128 v[110:113], v63 offset:96
	;; [unrolled: 1-line block ×6, first 2 shown]
	s_wait_dscnt 0x4
	;;#ASMSTART
	v_dot2_f32_f16 v26, v106, v110, v26
	;;#ASMEND
	;;#ASMSTART
	v_dot2_f32_f16 v26, v107, v111, v26
	;;#ASMEND
	;;#ASMSTART
	v_dot2_f32_f16 v26, v108, v112, v26
	;;#ASMEND
	;;#ASMSTART
	v_dot2_f32_f16 v26, v109, v113, v26
	;;#ASMEND
	s_wait_dscnt 0x3
	;;#ASMSTART
	v_dot2_f32_f16 v27, v106, v114, v27
	;;#ASMEND
	;;#ASMSTART
	v_dot2_f32_f16 v27, v107, v115, v27
	;;#ASMEND
	;;#ASMSTART
	v_dot2_f32_f16 v27, v108, v116, v27
	;;#ASMEND
	;;#ASMSTART
	v_dot2_f32_f16 v27, v109, v117, v27
	;;#ASMEND
	;; [unrolled: 13-line block ×5, first 2 shown]
	;;#ASMSTART
	v_dot2_f32_f16 v55, v126, v114, v55
	;;#ASMEND
	;;#ASMSTART
	v_dot2_f32_f16 v55, v127, v115, v55
	;;#ASMEND
	;; [unrolled: 3-line block ×12, first 2 shown]
	ds_load_b128 v[106:109], v75 offset:112
	ds_load_b128 v[110:113], v63 offset:112
	ds_load_b128 v[114:117], v63 offset:624
	ds_load_b128 v[118:121], v63 offset:1136
	ds_load_b128 v[122:125], v63 offset:1648
	ds_load_b128 v[126:129], v75 offset:8816
	s_wait_dscnt 0x4
	;;#ASMSTART
	v_dot2_f32_f16 v26, v106, v110, v26
	;;#ASMEND
	;;#ASMSTART
	v_dot2_f32_f16 v26, v107, v111, v26
	;;#ASMEND
	;;#ASMSTART
	v_dot2_f32_f16 v26, v108, v112, v26
	;;#ASMEND
	;;#ASMSTART
	v_dot2_f32_f16 v26, v109, v113, v26
	;;#ASMEND
	s_wait_dscnt 0x3
	;;#ASMSTART
	v_dot2_f32_f16 v27, v106, v114, v27
	;;#ASMEND
	;;#ASMSTART
	v_dot2_f32_f16 v27, v107, v115, v27
	;;#ASMEND
	;;#ASMSTART
	v_dot2_f32_f16 v27, v108, v116, v27
	;;#ASMEND
	;;#ASMSTART
	v_dot2_f32_f16 v27, v109, v117, v27
	;;#ASMEND
	;; [unrolled: 13-line block ×5, first 2 shown]
	;;#ASMSTART
	v_dot2_f32_f16 v55, v126, v114, v55
	;;#ASMEND
	;;#ASMSTART
	v_dot2_f32_f16 v55, v127, v115, v55
	;;#ASMEND
	;;#ASMSTART
	v_dot2_f32_f16 v55, v128, v116, v55
	;;#ASMEND
	;;#ASMSTART
	v_dot2_f32_f16 v55, v129, v117, v55
	;;#ASMEND
	;;#ASMSTART
	v_dot2_f32_f16 v56, v126, v118, v56
	;;#ASMEND
	;;#ASMSTART
	v_dot2_f32_f16 v56, v127, v119, v56
	;;#ASMEND
	;;#ASMSTART
	v_dot2_f32_f16 v56, v128, v120, v56
	;;#ASMEND
	;;#ASMSTART
	v_dot2_f32_f16 v56, v129, v121, v56
	;;#ASMEND
	;;#ASMSTART
	v_dot2_f32_f16 v57, v126, v122, v57
	;;#ASMEND
	;;#ASMSTART
	v_dot2_f32_f16 v57, v127, v123, v57
	;;#ASMEND
	;;#ASMSTART
	v_dot2_f32_f16 v57, v128, v124, v57
	;;#ASMEND
	;;#ASMSTART
	v_dot2_f32_f16 v57, v129, v125, v57
	;;#ASMEND
	ds_load_b128 v[106:109], v75 offset:128
	ds_load_b128 v[110:113], v63 offset:128
	;; [unrolled: 1-line block ×6, first 2 shown]
	s_wait_dscnt 0x4
	;;#ASMSTART
	v_dot2_f32_f16 v26, v106, v110, v26
	;;#ASMEND
	;;#ASMSTART
	v_dot2_f32_f16 v26, v107, v111, v26
	;;#ASMEND
	;;#ASMSTART
	v_dot2_f32_f16 v26, v108, v112, v26
	;;#ASMEND
	;;#ASMSTART
	v_dot2_f32_f16 v26, v109, v113, v26
	;;#ASMEND
	s_wait_dscnt 0x3
	;;#ASMSTART
	v_dot2_f32_f16 v27, v106, v114, v27
	;;#ASMEND
	;;#ASMSTART
	v_dot2_f32_f16 v27, v107, v115, v27
	;;#ASMEND
	;;#ASMSTART
	v_dot2_f32_f16 v27, v108, v116, v27
	;;#ASMEND
	;;#ASMSTART
	v_dot2_f32_f16 v27, v109, v117, v27
	;;#ASMEND
	;; [unrolled: 13-line block ×5, first 2 shown]
	;;#ASMSTART
	v_dot2_f32_f16 v55, v126, v114, v55
	;;#ASMEND
	;;#ASMSTART
	v_dot2_f32_f16 v55, v127, v115, v55
	;;#ASMEND
	;; [unrolled: 3-line block ×12, first 2 shown]
	ds_load_b128 v[106:109], v75 offset:144
	ds_load_b128 v[110:113], v63 offset:144
	;; [unrolled: 1-line block ×6, first 2 shown]
	s_wait_dscnt 0x4
	;;#ASMSTART
	v_dot2_f32_f16 v26, v106, v110, v26
	;;#ASMEND
	;;#ASMSTART
	v_dot2_f32_f16 v26, v107, v111, v26
	;;#ASMEND
	;;#ASMSTART
	v_dot2_f32_f16 v26, v108, v112, v26
	;;#ASMEND
	;;#ASMSTART
	v_dot2_f32_f16 v26, v109, v113, v26
	;;#ASMEND
	s_wait_dscnt 0x3
	;;#ASMSTART
	v_dot2_f32_f16 v27, v106, v114, v27
	;;#ASMEND
	;;#ASMSTART
	v_dot2_f32_f16 v27, v107, v115, v27
	;;#ASMEND
	;;#ASMSTART
	v_dot2_f32_f16 v27, v108, v116, v27
	;;#ASMEND
	;;#ASMSTART
	v_dot2_f32_f16 v27, v109, v117, v27
	;;#ASMEND
	;; [unrolled: 13-line block ×5, first 2 shown]
	;;#ASMSTART
	v_dot2_f32_f16 v55, v126, v114, v55
	;;#ASMEND
	;;#ASMSTART
	v_dot2_f32_f16 v55, v127, v115, v55
	;;#ASMEND
	;; [unrolled: 3-line block ×12, first 2 shown]
	ds_load_b128 v[106:109], v75 offset:160
	ds_load_b128 v[110:113], v63 offset:160
	ds_load_b128 v[114:117], v63 offset:672
	ds_load_b128 v[118:121], v63 offset:1184
	ds_load_b128 v[122:125], v63 offset:1696
	ds_load_b128 v[126:129], v75 offset:8864
	s_wait_dscnt 0x4
	;;#ASMSTART
	v_dot2_f32_f16 v26, v106, v110, v26
	;;#ASMEND
	;;#ASMSTART
	v_dot2_f32_f16 v26, v107, v111, v26
	;;#ASMEND
	;;#ASMSTART
	v_dot2_f32_f16 v26, v108, v112, v26
	;;#ASMEND
	;;#ASMSTART
	v_dot2_f32_f16 v26, v109, v113, v26
	;;#ASMEND
	s_wait_dscnt 0x3
	;;#ASMSTART
	v_dot2_f32_f16 v27, v106, v114, v27
	;;#ASMEND
	;;#ASMSTART
	v_dot2_f32_f16 v27, v107, v115, v27
	;;#ASMEND
	;;#ASMSTART
	v_dot2_f32_f16 v27, v108, v116, v27
	;;#ASMEND
	;;#ASMSTART
	v_dot2_f32_f16 v27, v109, v117, v27
	;;#ASMEND
	;; [unrolled: 13-line block ×5, first 2 shown]
	;;#ASMSTART
	v_dot2_f32_f16 v55, v126, v114, v55
	;;#ASMEND
	;;#ASMSTART
	v_dot2_f32_f16 v55, v127, v115, v55
	;;#ASMEND
	;; [unrolled: 3-line block ×12, first 2 shown]
	ds_load_b128 v[106:109], v75 offset:176
	ds_load_b128 v[110:113], v63 offset:176
	ds_load_b128 v[114:117], v63 offset:688
	ds_load_b128 v[118:121], v63 offset:1200
	ds_load_b128 v[122:125], v63 offset:1712
	ds_load_b128 v[126:129], v75 offset:8880
	s_wait_dscnt 0x4
	;;#ASMSTART
	v_dot2_f32_f16 v26, v106, v110, v26
	;;#ASMEND
	;;#ASMSTART
	v_dot2_f32_f16 v26, v107, v111, v26
	;;#ASMEND
	;;#ASMSTART
	v_dot2_f32_f16 v26, v108, v112, v26
	;;#ASMEND
	;;#ASMSTART
	v_dot2_f32_f16 v26, v109, v113, v26
	;;#ASMEND
	s_wait_dscnt 0x3
	;;#ASMSTART
	v_dot2_f32_f16 v27, v106, v114, v27
	;;#ASMEND
	;;#ASMSTART
	v_dot2_f32_f16 v27, v107, v115, v27
	;;#ASMEND
	;;#ASMSTART
	v_dot2_f32_f16 v27, v108, v116, v27
	;;#ASMEND
	;;#ASMSTART
	v_dot2_f32_f16 v27, v109, v117, v27
	;;#ASMEND
	;; [unrolled: 13-line block ×5, first 2 shown]
	;;#ASMSTART
	v_dot2_f32_f16 v55, v126, v114, v55
	;;#ASMEND
	;;#ASMSTART
	v_dot2_f32_f16 v55, v127, v115, v55
	;;#ASMEND
	;; [unrolled: 3-line block ×12, first 2 shown]
	ds_load_b128 v[106:109], v75 offset:192
	ds_load_b128 v[110:113], v63 offset:192
	;; [unrolled: 1-line block ×6, first 2 shown]
	s_wait_dscnt 0x4
	;;#ASMSTART
	v_dot2_f32_f16 v26, v106, v110, v26
	;;#ASMEND
	;;#ASMSTART
	v_dot2_f32_f16 v26, v107, v111, v26
	;;#ASMEND
	;;#ASMSTART
	v_dot2_f32_f16 v26, v108, v112, v26
	;;#ASMEND
	;;#ASMSTART
	v_dot2_f32_f16 v26, v109, v113, v26
	;;#ASMEND
	s_wait_dscnt 0x3
	;;#ASMSTART
	v_dot2_f32_f16 v27, v106, v114, v27
	;;#ASMEND
	;;#ASMSTART
	v_dot2_f32_f16 v27, v107, v115, v27
	;;#ASMEND
	;;#ASMSTART
	v_dot2_f32_f16 v27, v108, v116, v27
	;;#ASMEND
	;;#ASMSTART
	v_dot2_f32_f16 v27, v109, v117, v27
	;;#ASMEND
	;; [unrolled: 13-line block ×5, first 2 shown]
	;;#ASMSTART
	v_dot2_f32_f16 v55, v126, v114, v55
	;;#ASMEND
	;;#ASMSTART
	v_dot2_f32_f16 v55, v127, v115, v55
	;;#ASMEND
	;; [unrolled: 3-line block ×12, first 2 shown]
	ds_load_b128 v[106:109], v75 offset:208
	ds_load_b128 v[110:113], v63 offset:208
	;; [unrolled: 1-line block ×6, first 2 shown]
	s_wait_dscnt 0x4
	;;#ASMSTART
	v_dot2_f32_f16 v26, v106, v110, v26
	;;#ASMEND
	;;#ASMSTART
	v_dot2_f32_f16 v26, v107, v111, v26
	;;#ASMEND
	;;#ASMSTART
	v_dot2_f32_f16 v26, v108, v112, v26
	;;#ASMEND
	;;#ASMSTART
	v_dot2_f32_f16 v26, v109, v113, v26
	;;#ASMEND
	s_wait_dscnt 0x3
	;;#ASMSTART
	v_dot2_f32_f16 v27, v106, v114, v27
	;;#ASMEND
	;;#ASMSTART
	v_dot2_f32_f16 v27, v107, v115, v27
	;;#ASMEND
	;;#ASMSTART
	v_dot2_f32_f16 v27, v108, v116, v27
	;;#ASMEND
	;;#ASMSTART
	v_dot2_f32_f16 v27, v109, v117, v27
	;;#ASMEND
	;; [unrolled: 13-line block ×5, first 2 shown]
	;;#ASMSTART
	v_dot2_f32_f16 v55, v126, v114, v55
	;;#ASMEND
	;;#ASMSTART
	v_dot2_f32_f16 v55, v127, v115, v55
	;;#ASMEND
	;; [unrolled: 3-line block ×12, first 2 shown]
	ds_load_b128 v[106:109], v75 offset:224
	ds_load_b128 v[110:113], v63 offset:224
	;; [unrolled: 1-line block ×6, first 2 shown]
	s_wait_dscnt 0x4
	;;#ASMSTART
	v_dot2_f32_f16 v26, v106, v110, v26
	;;#ASMEND
	;;#ASMSTART
	v_dot2_f32_f16 v26, v107, v111, v26
	;;#ASMEND
	;;#ASMSTART
	v_dot2_f32_f16 v26, v108, v112, v26
	;;#ASMEND
	;;#ASMSTART
	v_dot2_f32_f16 v26, v109, v113, v26
	;;#ASMEND
	s_wait_dscnt 0x3
	;;#ASMSTART
	v_dot2_f32_f16 v27, v106, v114, v27
	;;#ASMEND
	;;#ASMSTART
	v_dot2_f32_f16 v27, v107, v115, v27
	;;#ASMEND
	;;#ASMSTART
	v_dot2_f32_f16 v27, v108, v116, v27
	;;#ASMEND
	;;#ASMSTART
	v_dot2_f32_f16 v27, v109, v117, v27
	;;#ASMEND
	;; [unrolled: 13-line block ×5, first 2 shown]
	;;#ASMSTART
	v_dot2_f32_f16 v55, v126, v114, v55
	;;#ASMEND
	;;#ASMSTART
	v_dot2_f32_f16 v55, v127, v115, v55
	;;#ASMEND
	;; [unrolled: 3-line block ×12, first 2 shown]
	ds_load_b128 v[106:109], v75 offset:240
	ds_load_b128 v[110:113], v63 offset:240
	;; [unrolled: 1-line block ×6, first 2 shown]
	s_wait_dscnt 0x4
	;;#ASMSTART
	v_dot2_f32_f16 v26, v106, v110, v26
	;;#ASMEND
	;;#ASMSTART
	v_dot2_f32_f16 v26, v107, v111, v26
	;;#ASMEND
	;;#ASMSTART
	v_dot2_f32_f16 v26, v108, v112, v26
	;;#ASMEND
	;;#ASMSTART
	v_dot2_f32_f16 v26, v109, v113, v26
	;;#ASMEND
	s_wait_dscnt 0x3
	;;#ASMSTART
	v_dot2_f32_f16 v27, v106, v114, v27
	;;#ASMEND
	;;#ASMSTART
	v_dot2_f32_f16 v27, v107, v115, v27
	;;#ASMEND
	;;#ASMSTART
	v_dot2_f32_f16 v27, v108, v116, v27
	;;#ASMEND
	;;#ASMSTART
	v_dot2_f32_f16 v27, v109, v117, v27
	;;#ASMEND
	;; [unrolled: 13-line block ×5, first 2 shown]
	;;#ASMSTART
	v_dot2_f32_f16 v55, v126, v114, v55
	;;#ASMEND
	;;#ASMSTART
	v_dot2_f32_f16 v55, v127, v115, v55
	;;#ASMEND
	;; [unrolled: 3-line block ×12, first 2 shown]
	s_barrier_signal -1
	s_barrier_wait -1
	s_clause 0x3
	global_load_b128 v[106:109], v[8:9], off offset:256
	global_load_b128 v[110:113], v[10:11], off offset:256
	;; [unrolled: 1-line block ×4, first 2 shown]
	v_cndmask_b32_e32 v2, v65, v68, vcc_lo
	v_cmp_gt_i32_e32 vcc_lo, 32, v67
	s_add_nc_u64 s[2:3], s[40:41], s[4:5]
	v_dual_lshlrev_b32 v25, 2, v0 :: v_dual_lshlrev_b32 v24, 2, v1
	v_add_nc_u64_e32 v[58:59], s[2:3], v[50:51]
	v_cndmask_b32_e32 v3, v65, v67, vcc_lo
	v_cmp_gt_i32_e32 vcc_lo, 32, v66
	v_add_nc_u64_e32 v[0:1], s[2:3], v[42:43]
	s_wait_loadcnt 0x3
	ds_store_b128 v71, v[106:109]
	s_wait_loadcnt 0x2
	ds_store_b128 v72, v[110:113]
	;; [unrolled: 2-line block ×4, first 2 shown]
	s_wait_dscnt 0x0
	s_barrier_signal -1
	s_barrier_wait -1
	ds_load_b128 v[8:11], v75
	ds_load_b128 v[12:15], v63 offset:256
	ds_load_b128 v[106:109], v63 offset:768
	ds_load_b128 v[110:113], v63 offset:1280
	ds_load_b128 v[114:117], v63 offset:1792
	ds_load_b128 v[118:121], v75 offset:8704
	s_wait_dscnt 0x4
	;;#ASMSTART
	v_dot2_f32_f16 v26, v8, v12, v26
	;;#ASMEND
	;;#ASMSTART
	v_dot2_f32_f16 v26, v9, v13, v26
	;;#ASMEND
	;;#ASMSTART
	v_dot2_f32_f16 v26, v10, v14, v26
	;;#ASMEND
	;;#ASMSTART
	v_dot2_f32_f16 v26, v11, v15, v26
	;;#ASMEND
	s_wait_dscnt 0x3
	;;#ASMSTART
	v_dot2_f32_f16 v27, v8, v106, v27
	;;#ASMEND
	;;#ASMSTART
	v_dot2_f32_f16 v27, v9, v107, v27
	;;#ASMEND
	;;#ASMSTART
	v_dot2_f32_f16 v27, v10, v108, v27
	;;#ASMEND
	;;#ASMSTART
	v_dot2_f32_f16 v27, v11, v109, v27
	;;#ASMEND
	;; [unrolled: 13-line block ×5, first 2 shown]
	;;#ASMSTART
	v_dot2_f32_f16 v55, v118, v106, v55
	;;#ASMEND
	;;#ASMSTART
	v_dot2_f32_f16 v55, v119, v107, v55
	;;#ASMEND
	;; [unrolled: 3-line block ×12, first 2 shown]
	ds_load_b128 v[8:11], v75 offset:16
	ds_load_b128 v[12:15], v63 offset:272
	ds_load_b128 v[106:109], v63 offset:784
	ds_load_b128 v[110:113], v63 offset:1296
	ds_load_b128 v[114:117], v63 offset:1808
	ds_load_b128 v[118:121], v75 offset:8720
	s_wait_dscnt 0x4
	;;#ASMSTART
	v_dot2_f32_f16 v26, v8, v12, v26
	;;#ASMEND
	;;#ASMSTART
	v_dot2_f32_f16 v26, v9, v13, v26
	;;#ASMEND
	;;#ASMSTART
	v_dot2_f32_f16 v26, v10, v14, v26
	;;#ASMEND
	;;#ASMSTART
	v_dot2_f32_f16 v26, v11, v15, v26
	;;#ASMEND
	s_wait_dscnt 0x3
	;;#ASMSTART
	v_dot2_f32_f16 v27, v8, v106, v27
	;;#ASMEND
	;;#ASMSTART
	v_dot2_f32_f16 v27, v9, v107, v27
	;;#ASMEND
	;;#ASMSTART
	v_dot2_f32_f16 v27, v10, v108, v27
	;;#ASMEND
	;;#ASMSTART
	v_dot2_f32_f16 v27, v11, v109, v27
	;;#ASMEND
	;; [unrolled: 13-line block ×5, first 2 shown]
	;;#ASMSTART
	v_dot2_f32_f16 v55, v118, v106, v55
	;;#ASMEND
	;;#ASMSTART
	v_dot2_f32_f16 v55, v119, v107, v55
	;;#ASMEND
	;; [unrolled: 3-line block ×12, first 2 shown]
	ds_load_b128 v[8:11], v75 offset:32
	ds_load_b128 v[12:15], v63 offset:288
	;; [unrolled: 1-line block ×6, first 2 shown]
	s_wait_dscnt 0x4
	;;#ASMSTART
	v_dot2_f32_f16 v26, v8, v12, v26
	;;#ASMEND
	;;#ASMSTART
	v_dot2_f32_f16 v26, v9, v13, v26
	;;#ASMEND
	;;#ASMSTART
	v_dot2_f32_f16 v26, v10, v14, v26
	;;#ASMEND
	;;#ASMSTART
	v_dot2_f32_f16 v26, v11, v15, v26
	;;#ASMEND
	s_wait_dscnt 0x3
	;;#ASMSTART
	v_dot2_f32_f16 v27, v8, v106, v27
	;;#ASMEND
	;;#ASMSTART
	v_dot2_f32_f16 v27, v9, v107, v27
	;;#ASMEND
	;;#ASMSTART
	v_dot2_f32_f16 v27, v10, v108, v27
	;;#ASMEND
	;;#ASMSTART
	v_dot2_f32_f16 v27, v11, v109, v27
	;;#ASMEND
	;; [unrolled: 13-line block ×5, first 2 shown]
	;;#ASMSTART
	v_dot2_f32_f16 v55, v118, v106, v55
	;;#ASMEND
	;;#ASMSTART
	v_dot2_f32_f16 v55, v119, v107, v55
	;;#ASMEND
	;; [unrolled: 3-line block ×12, first 2 shown]
	ds_load_b128 v[8:11], v75 offset:48
	ds_load_b128 v[12:15], v63 offset:304
	;; [unrolled: 1-line block ×6, first 2 shown]
	s_wait_dscnt 0x4
	;;#ASMSTART
	v_dot2_f32_f16 v26, v8, v12, v26
	;;#ASMEND
	;;#ASMSTART
	v_dot2_f32_f16 v26, v9, v13, v26
	;;#ASMEND
	;;#ASMSTART
	v_dot2_f32_f16 v26, v10, v14, v26
	;;#ASMEND
	;;#ASMSTART
	v_dot2_f32_f16 v26, v11, v15, v26
	;;#ASMEND
	s_wait_dscnt 0x3
	;;#ASMSTART
	v_dot2_f32_f16 v27, v8, v106, v27
	;;#ASMEND
	;;#ASMSTART
	v_dot2_f32_f16 v27, v9, v107, v27
	;;#ASMEND
	;;#ASMSTART
	v_dot2_f32_f16 v27, v10, v108, v27
	;;#ASMEND
	;;#ASMSTART
	v_dot2_f32_f16 v27, v11, v109, v27
	;;#ASMEND
	;; [unrolled: 13-line block ×5, first 2 shown]
	;;#ASMSTART
	v_dot2_f32_f16 v55, v118, v106, v55
	;;#ASMEND
	;;#ASMSTART
	v_dot2_f32_f16 v55, v119, v107, v55
	;;#ASMEND
	;; [unrolled: 3-line block ×12, first 2 shown]
	ds_load_b128 v[8:11], v75 offset:64
	ds_load_b128 v[12:15], v63 offset:320
	;; [unrolled: 1-line block ×6, first 2 shown]
	s_wait_dscnt 0x4
	;;#ASMSTART
	v_dot2_f32_f16 v26, v8, v12, v26
	;;#ASMEND
	;;#ASMSTART
	v_dot2_f32_f16 v26, v9, v13, v26
	;;#ASMEND
	;;#ASMSTART
	v_dot2_f32_f16 v26, v10, v14, v26
	;;#ASMEND
	;;#ASMSTART
	v_dot2_f32_f16 v26, v11, v15, v26
	;;#ASMEND
	s_wait_dscnt 0x3
	;;#ASMSTART
	v_dot2_f32_f16 v27, v8, v106, v27
	;;#ASMEND
	;;#ASMSTART
	v_dot2_f32_f16 v27, v9, v107, v27
	;;#ASMEND
	;;#ASMSTART
	v_dot2_f32_f16 v27, v10, v108, v27
	;;#ASMEND
	;;#ASMSTART
	v_dot2_f32_f16 v27, v11, v109, v27
	;;#ASMEND
	;; [unrolled: 13-line block ×5, first 2 shown]
	;;#ASMSTART
	v_dot2_f32_f16 v55, v118, v106, v55
	;;#ASMEND
	;;#ASMSTART
	v_dot2_f32_f16 v55, v119, v107, v55
	;;#ASMEND
	;; [unrolled: 3-line block ×12, first 2 shown]
	ds_load_b128 v[8:11], v75 offset:80
	ds_load_b128 v[12:15], v63 offset:336
	;; [unrolled: 1-line block ×6, first 2 shown]
	s_wait_dscnt 0x4
	;;#ASMSTART
	v_dot2_f32_f16 v26, v8, v12, v26
	;;#ASMEND
	;;#ASMSTART
	v_dot2_f32_f16 v26, v9, v13, v26
	;;#ASMEND
	;;#ASMSTART
	v_dot2_f32_f16 v26, v10, v14, v26
	;;#ASMEND
	;;#ASMSTART
	v_dot2_f32_f16 v26, v11, v15, v26
	;;#ASMEND
	s_wait_dscnt 0x3
	;;#ASMSTART
	v_dot2_f32_f16 v27, v8, v106, v27
	;;#ASMEND
	;;#ASMSTART
	v_dot2_f32_f16 v27, v9, v107, v27
	;;#ASMEND
	;;#ASMSTART
	v_dot2_f32_f16 v27, v10, v108, v27
	;;#ASMEND
	;;#ASMSTART
	v_dot2_f32_f16 v27, v11, v109, v27
	;;#ASMEND
	;; [unrolled: 13-line block ×5, first 2 shown]
	;;#ASMSTART
	v_dot2_f32_f16 v55, v118, v106, v55
	;;#ASMEND
	;;#ASMSTART
	v_dot2_f32_f16 v55, v119, v107, v55
	;;#ASMEND
	;; [unrolled: 3-line block ×12, first 2 shown]
	ds_load_b128 v[8:11], v75 offset:96
	ds_load_b128 v[12:15], v63 offset:352
	ds_load_b128 v[106:109], v63 offset:864
	ds_load_b128 v[110:113], v63 offset:1376
	ds_load_b128 v[114:117], v63 offset:1888
	ds_load_b128 v[118:121], v75 offset:8800
	s_wait_dscnt 0x4
	;;#ASMSTART
	v_dot2_f32_f16 v26, v8, v12, v26
	;;#ASMEND
	;;#ASMSTART
	v_dot2_f32_f16 v26, v9, v13, v26
	;;#ASMEND
	;;#ASMSTART
	v_dot2_f32_f16 v26, v10, v14, v26
	;;#ASMEND
	;;#ASMSTART
	v_dot2_f32_f16 v26, v11, v15, v26
	;;#ASMEND
	s_wait_dscnt 0x3
	;;#ASMSTART
	v_dot2_f32_f16 v27, v8, v106, v27
	;;#ASMEND
	;;#ASMSTART
	v_dot2_f32_f16 v27, v9, v107, v27
	;;#ASMEND
	;;#ASMSTART
	v_dot2_f32_f16 v27, v10, v108, v27
	;;#ASMEND
	;;#ASMSTART
	v_dot2_f32_f16 v27, v11, v109, v27
	;;#ASMEND
	;; [unrolled: 13-line block ×5, first 2 shown]
	;;#ASMSTART
	v_dot2_f32_f16 v55, v118, v106, v55
	;;#ASMEND
	;;#ASMSTART
	v_dot2_f32_f16 v55, v119, v107, v55
	;;#ASMEND
	;; [unrolled: 3-line block ×12, first 2 shown]
	ds_load_b128 v[8:11], v75 offset:112
	ds_load_b128 v[12:15], v63 offset:368
	;; [unrolled: 1-line block ×6, first 2 shown]
	s_wait_dscnt 0x4
	;;#ASMSTART
	v_dot2_f32_f16 v26, v8, v12, v26
	;;#ASMEND
	;;#ASMSTART
	v_dot2_f32_f16 v26, v9, v13, v26
	;;#ASMEND
	;;#ASMSTART
	v_dot2_f32_f16 v26, v10, v14, v26
	;;#ASMEND
	;;#ASMSTART
	v_dot2_f32_f16 v26, v11, v15, v26
	;;#ASMEND
	s_wait_dscnt 0x3
	;;#ASMSTART
	v_dot2_f32_f16 v27, v8, v106, v27
	;;#ASMEND
	;;#ASMSTART
	v_dot2_f32_f16 v27, v9, v107, v27
	;;#ASMEND
	;;#ASMSTART
	v_dot2_f32_f16 v27, v10, v108, v27
	;;#ASMEND
	;;#ASMSTART
	v_dot2_f32_f16 v27, v11, v109, v27
	;;#ASMEND
	;; [unrolled: 13-line block ×5, first 2 shown]
	;;#ASMSTART
	v_dot2_f32_f16 v55, v118, v106, v55
	;;#ASMEND
	;;#ASMSTART
	v_dot2_f32_f16 v55, v119, v107, v55
	;;#ASMEND
	;; [unrolled: 3-line block ×12, first 2 shown]
	ds_load_b128 v[8:11], v75 offset:128
	ds_load_b128 v[12:15], v63 offset:384
	;; [unrolled: 1-line block ×6, first 2 shown]
	s_wait_dscnt 0x4
	;;#ASMSTART
	v_dot2_f32_f16 v26, v8, v12, v26
	;;#ASMEND
	;;#ASMSTART
	v_dot2_f32_f16 v26, v9, v13, v26
	;;#ASMEND
	;;#ASMSTART
	v_dot2_f32_f16 v26, v10, v14, v26
	;;#ASMEND
	;;#ASMSTART
	v_dot2_f32_f16 v26, v11, v15, v26
	;;#ASMEND
	s_wait_dscnt 0x3
	;;#ASMSTART
	v_dot2_f32_f16 v27, v8, v106, v27
	;;#ASMEND
	;;#ASMSTART
	v_dot2_f32_f16 v27, v9, v107, v27
	;;#ASMEND
	;;#ASMSTART
	v_dot2_f32_f16 v27, v10, v108, v27
	;;#ASMEND
	;;#ASMSTART
	v_dot2_f32_f16 v27, v11, v109, v27
	;;#ASMEND
	;; [unrolled: 13-line block ×5, first 2 shown]
	;;#ASMSTART
	v_dot2_f32_f16 v55, v118, v106, v55
	;;#ASMEND
	;;#ASMSTART
	v_dot2_f32_f16 v55, v119, v107, v55
	;;#ASMEND
	;; [unrolled: 3-line block ×12, first 2 shown]
	ds_load_b128 v[8:11], v75 offset:144
	ds_load_b128 v[12:15], v63 offset:400
	;; [unrolled: 1-line block ×6, first 2 shown]
	s_wait_dscnt 0x4
	;;#ASMSTART
	v_dot2_f32_f16 v26, v8, v12, v26
	;;#ASMEND
	;;#ASMSTART
	v_dot2_f32_f16 v26, v9, v13, v26
	;;#ASMEND
	;;#ASMSTART
	v_dot2_f32_f16 v26, v10, v14, v26
	;;#ASMEND
	;;#ASMSTART
	v_dot2_f32_f16 v26, v11, v15, v26
	;;#ASMEND
	s_wait_dscnt 0x3
	;;#ASMSTART
	v_dot2_f32_f16 v27, v8, v106, v27
	;;#ASMEND
	;;#ASMSTART
	v_dot2_f32_f16 v27, v9, v107, v27
	;;#ASMEND
	;;#ASMSTART
	v_dot2_f32_f16 v27, v10, v108, v27
	;;#ASMEND
	;;#ASMSTART
	v_dot2_f32_f16 v27, v11, v109, v27
	;;#ASMEND
	;; [unrolled: 13-line block ×5, first 2 shown]
	;;#ASMSTART
	v_dot2_f32_f16 v55, v118, v106, v55
	;;#ASMEND
	;;#ASMSTART
	v_dot2_f32_f16 v55, v119, v107, v55
	;;#ASMEND
	;; [unrolled: 3-line block ×12, first 2 shown]
	ds_load_b128 v[8:11], v75 offset:160
	ds_load_b128 v[12:15], v63 offset:416
	;; [unrolled: 1-line block ×6, first 2 shown]
	s_wait_dscnt 0x4
	;;#ASMSTART
	v_dot2_f32_f16 v26, v8, v12, v26
	;;#ASMEND
	;;#ASMSTART
	v_dot2_f32_f16 v26, v9, v13, v26
	;;#ASMEND
	;;#ASMSTART
	v_dot2_f32_f16 v26, v10, v14, v26
	;;#ASMEND
	;;#ASMSTART
	v_dot2_f32_f16 v26, v11, v15, v26
	;;#ASMEND
	s_wait_dscnt 0x3
	;;#ASMSTART
	v_dot2_f32_f16 v27, v8, v106, v27
	;;#ASMEND
	;;#ASMSTART
	v_dot2_f32_f16 v27, v9, v107, v27
	;;#ASMEND
	;;#ASMSTART
	v_dot2_f32_f16 v27, v10, v108, v27
	;;#ASMEND
	;;#ASMSTART
	v_dot2_f32_f16 v27, v11, v109, v27
	;;#ASMEND
	;; [unrolled: 13-line block ×5, first 2 shown]
	;;#ASMSTART
	v_dot2_f32_f16 v55, v118, v106, v55
	;;#ASMEND
	;;#ASMSTART
	v_dot2_f32_f16 v55, v119, v107, v55
	;;#ASMEND
	;; [unrolled: 3-line block ×12, first 2 shown]
	ds_load_b128 v[8:11], v75 offset:176
	ds_load_b128 v[12:15], v63 offset:432
	;; [unrolled: 1-line block ×6, first 2 shown]
	s_wait_dscnt 0x4
	;;#ASMSTART
	v_dot2_f32_f16 v26, v8, v12, v26
	;;#ASMEND
	;;#ASMSTART
	v_dot2_f32_f16 v26, v9, v13, v26
	;;#ASMEND
	;;#ASMSTART
	v_dot2_f32_f16 v26, v10, v14, v26
	;;#ASMEND
	;;#ASMSTART
	v_dot2_f32_f16 v26, v11, v15, v26
	;;#ASMEND
	s_wait_dscnt 0x3
	;;#ASMSTART
	v_dot2_f32_f16 v27, v8, v106, v27
	;;#ASMEND
	;;#ASMSTART
	v_dot2_f32_f16 v27, v9, v107, v27
	;;#ASMEND
	;;#ASMSTART
	v_dot2_f32_f16 v27, v10, v108, v27
	;;#ASMEND
	;;#ASMSTART
	v_dot2_f32_f16 v27, v11, v109, v27
	;;#ASMEND
	;; [unrolled: 13-line block ×5, first 2 shown]
	;;#ASMSTART
	v_dot2_f32_f16 v55, v118, v106, v55
	;;#ASMEND
	;;#ASMSTART
	v_dot2_f32_f16 v55, v119, v107, v55
	;;#ASMEND
	;; [unrolled: 3-line block ×12, first 2 shown]
	ds_load_b128 v[8:11], v75 offset:192
	ds_load_b128 v[12:15], v63 offset:448
	ds_load_b128 v[106:109], v63 offset:960
	ds_load_b128 v[110:113], v63 offset:1472
	ds_load_b128 v[114:117], v63 offset:1984
	ds_load_b128 v[118:121], v75 offset:8896
	s_wait_dscnt 0x4
	;;#ASMSTART
	v_dot2_f32_f16 v26, v8, v12, v26
	;;#ASMEND
	;;#ASMSTART
	v_dot2_f32_f16 v26, v9, v13, v26
	;;#ASMEND
	;;#ASMSTART
	v_dot2_f32_f16 v26, v10, v14, v26
	;;#ASMEND
	;;#ASMSTART
	v_dot2_f32_f16 v26, v11, v15, v26
	;;#ASMEND
	s_wait_dscnt 0x3
	;;#ASMSTART
	v_dot2_f32_f16 v27, v8, v106, v27
	;;#ASMEND
	;;#ASMSTART
	v_dot2_f32_f16 v27, v9, v107, v27
	;;#ASMEND
	;;#ASMSTART
	v_dot2_f32_f16 v27, v10, v108, v27
	;;#ASMEND
	;;#ASMSTART
	v_dot2_f32_f16 v27, v11, v109, v27
	;;#ASMEND
	;; [unrolled: 13-line block ×5, first 2 shown]
	;;#ASMSTART
	v_dot2_f32_f16 v55, v118, v106, v55
	;;#ASMEND
	;;#ASMSTART
	v_dot2_f32_f16 v55, v119, v107, v55
	;;#ASMEND
	;;#ASMSTART
	v_dot2_f32_f16 v55, v120, v108, v55
	;;#ASMEND
	;;#ASMSTART
	v_dot2_f32_f16 v55, v121, v109, v55
	;;#ASMEND
	;;#ASMSTART
	v_dot2_f32_f16 v56, v118, v110, v56
	;;#ASMEND
	;;#ASMSTART
	v_dot2_f32_f16 v56, v119, v111, v56
	;;#ASMEND
	;;#ASMSTART
	v_dot2_f32_f16 v56, v120, v112, v56
	;;#ASMEND
	;;#ASMSTART
	v_dot2_f32_f16 v56, v121, v113, v56
	;;#ASMEND
	;;#ASMSTART
	v_dot2_f32_f16 v57, v118, v114, v57
	;;#ASMEND
	;;#ASMSTART
	v_dot2_f32_f16 v57, v119, v115, v57
	;;#ASMEND
	;;#ASMSTART
	v_dot2_f32_f16 v57, v120, v116, v57
	;;#ASMEND
	;;#ASMSTART
	v_dot2_f32_f16 v57, v121, v117, v57
	;;#ASMEND
	ds_load_b128 v[8:11], v75 offset:208
	ds_load_b128 v[12:15], v63 offset:464
	;; [unrolled: 1-line block ×6, first 2 shown]
	s_wait_dscnt 0x4
	;;#ASMSTART
	v_dot2_f32_f16 v26, v8, v12, v26
	;;#ASMEND
	;;#ASMSTART
	v_dot2_f32_f16 v26, v9, v13, v26
	;;#ASMEND
	;;#ASMSTART
	v_dot2_f32_f16 v26, v10, v14, v26
	;;#ASMEND
	;;#ASMSTART
	v_dot2_f32_f16 v26, v11, v15, v26
	;;#ASMEND
	s_wait_dscnt 0x3
	;;#ASMSTART
	v_dot2_f32_f16 v27, v8, v106, v27
	;;#ASMEND
	;;#ASMSTART
	v_dot2_f32_f16 v27, v9, v107, v27
	;;#ASMEND
	;;#ASMSTART
	v_dot2_f32_f16 v27, v10, v108, v27
	;;#ASMEND
	;;#ASMSTART
	v_dot2_f32_f16 v27, v11, v109, v27
	;;#ASMEND
	;; [unrolled: 13-line block ×5, first 2 shown]
	;;#ASMSTART
	v_dot2_f32_f16 v55, v118, v106, v55
	;;#ASMEND
	;;#ASMSTART
	v_dot2_f32_f16 v55, v119, v107, v55
	;;#ASMEND
	;; [unrolled: 3-line block ×12, first 2 shown]
	ds_load_b128 v[8:11], v75 offset:224
	ds_load_b128 v[12:15], v63 offset:480
	ds_load_b128 v[106:109], v63 offset:992
	ds_load_b128 v[110:113], v63 offset:1504
	ds_load_b128 v[114:117], v63 offset:2016
	ds_load_b128 v[118:121], v75 offset:8928
	s_wait_dscnt 0x4
	;;#ASMSTART
	v_dot2_f32_f16 v26, v8, v12, v26
	;;#ASMEND
	;;#ASMSTART
	v_dot2_f32_f16 v26, v9, v13, v26
	;;#ASMEND
	;;#ASMSTART
	v_dot2_f32_f16 v26, v10, v14, v26
	;;#ASMEND
	;;#ASMSTART
	v_dot2_f32_f16 v26, v11, v15, v26
	;;#ASMEND
	s_wait_dscnt 0x3
	;;#ASMSTART
	v_dot2_f32_f16 v27, v8, v106, v27
	;;#ASMEND
	;;#ASMSTART
	v_dot2_f32_f16 v27, v9, v107, v27
	;;#ASMEND
	;;#ASMSTART
	v_dot2_f32_f16 v27, v10, v108, v27
	;;#ASMEND
	;;#ASMSTART
	v_dot2_f32_f16 v27, v11, v109, v27
	;;#ASMEND
	;; [unrolled: 13-line block ×5, first 2 shown]
	;;#ASMSTART
	v_dot2_f32_f16 v55, v118, v106, v55
	;;#ASMEND
	;;#ASMSTART
	v_dot2_f32_f16 v55, v119, v107, v55
	;;#ASMEND
	;; [unrolled: 3-line block ×12, first 2 shown]
	ds_load_b128 v[8:11], v75 offset:240
	ds_load_b128 v[12:15], v63 offset:496
	;; [unrolled: 1-line block ×6, first 2 shown]
	s_wait_dscnt 0x4
	;;#ASMSTART
	v_dot2_f32_f16 v26, v8, v12, v26
	;;#ASMEND
	;;#ASMSTART
	v_dot2_f32_f16 v26, v9, v13, v26
	;;#ASMEND
	;;#ASMSTART
	v_dot2_f32_f16 v26, v10, v14, v26
	;;#ASMEND
	;;#ASMSTART
	v_dot2_f32_f16 v26, v11, v15, v26
	;;#ASMEND
	s_wait_dscnt 0x3
	;;#ASMSTART
	v_dot2_f32_f16 v27, v8, v106, v27
	;;#ASMEND
	;;#ASMSTART
	v_dot2_f32_f16 v27, v9, v107, v27
	;;#ASMEND
	;;#ASMSTART
	v_dot2_f32_f16 v27, v10, v108, v27
	;;#ASMEND
	;;#ASMSTART
	v_dot2_f32_f16 v27, v11, v109, v27
	;;#ASMEND
	s_wait_dscnt 0x2
	;;#ASMSTART
	v_dot2_f32_f16 v52, v8, v110, v52
	;;#ASMEND
	;;#ASMSTART
	v_dot2_f32_f16 v52, v9, v111, v52
	;;#ASMEND
	;;#ASMSTART
	v_dot2_f32_f16 v52, v10, v112, v52
	;;#ASMEND
	;;#ASMSTART
	v_dot2_f32_f16 v52, v11, v113, v52
	;;#ASMEND
	s_wait_dscnt 0x1
	;;#ASMSTART
	v_dot2_f32_f16 v53, v8, v114, v53
	;;#ASMEND
	;;#ASMSTART
	v_dot2_f32_f16 v53, v9, v115, v53
	;;#ASMEND
	;; [unrolled: 3-line block ×3, first 2 shown]
	v_cndmask_b32_e32 v4, v65, v66, vcc_lo
	;;#ASMSTART
	v_dot2_f32_f16 v53, v11, v117, v53
	;;#ASMEND
	s_wait_dscnt 0x0
	;;#ASMSTART
	v_dot2_f32_f16 v54, v118, v12, v54
	;;#ASMEND
	;;#ASMSTART
	v_dot2_f32_f16 v54, v119, v13, v54
	;;#ASMEND
	;; [unrolled: 3-line block ×6, first 2 shown]
	v_lshlrev_b32_e32 v21, 2, v4
	v_add_nc_u64_e32 v[4:5], s[2:3], v[48:49]
	;;#ASMSTART
	v_dot2_f32_f16 v55, v120, v108, v55
	;;#ASMEND
	;;#ASMSTART
	v_dot2_f32_f16 v55, v121, v109, v55
	;;#ASMEND
	;; [unrolled: 3-line block ×9, first 2 shown]
	v_dual_lshlrev_b32 v23, 2, v2 :: v_dual_lshlrev_b32 v22, 2, v3
	v_add_nc_u64_e32 v[2:3], s[2:3], v[46:47]
	v_add_nc_u64_e32 v[6:7], v[4:5], v[44:45]
	;; [unrolled: 1-line block ×3, first 2 shown]
	;;#ASMSTART
	v_dot2_f32_f16 v57, v121, v117, v57
	;;#ASMEND
	s_clause 0x1
	global_load_u16 v58, v20, s[36:37] scale_offset
	global_load_u16 v59, v20, s[36:37] offset:64 scale_offset
	v_add_nc_u64_e32 v[0:1], v[0:1], v[44:45]
	s_wait_loadcnt 0x0
	v_add_nc_u64_e32 v[2:3], v[2:3], v[44:45]
	s_barrier_signal -1
	s_barrier_wait -1
	s_clause 0x3
	global_load_b128 v[8:11], v[0:1], off
	global_load_b128 v[12:15], v[2:3], off
	;; [unrolled: 1-line block ×4, first 2 shown]
	s_wait_xcnt 0x3
	v_cvt_f32_f16_e32 v0, v58
	v_cvt_f32_f16_e32 v1, v59
	s_wait_xcnt 0x0
	s_delay_alu instid0(VALU_DEP_2) | instskip(NEXT) | instid1(VALU_DEP_2)
	v_dual_add_f32 v4, v26, v0 :: v_dual_add_f32 v6, v27, v0
	v_add_f32_e32 v5, v54, v1
	s_wait_loadcnt 0x3
	ds_store_b128 v76, v[8:11]
	v_dual_add_f32 v7, v55, v1 :: v_dual_add_f32 v8, v52, v0
	v_dual_add_f32 v9, v56, v1 :: v_dual_add_f32 v10, v53, v0
	;; [unrolled: 1-line block ×4, first 2 shown]
	s_wait_loadcnt 0x2
	ds_store_b128 v79, v[12:15]
	s_wait_loadcnt 0x1
	ds_store_b128 v80, v[106:109]
	;; [unrolled: 2-line block ×3, first 2 shown]
	v_dual_add_f32 v3, 0x40051340, v7 :: v_dual_add_f32 v12, 0x40051340, v8
	v_dual_add_f32 v13, 0x40051340, v9 :: v_dual_add_f32 v14, 0x40051340, v10
	v_max3_num_f32 v0, v16, v0, v1
	s_delay_alu instid0(VALU_DEP_3) | instskip(NEXT) | instid1(VALU_DEP_3)
	v_max3_num_f32 v1, v17, v2, v3
	v_max3_num_f32 v2, v18, v12, v13
	ds_bpermute_b32 v12, v25, v0
	v_add_f32_e32 v15, 0x40051340, v11
	ds_bpermute_b32 v13, v25, v1
	s_wait_dscnt 0x1
	v_max_num_f32_e32 v12, v12, v12
	v_max3_num_f32 v3, v19, v14, v15
	ds_bpermute_b32 v14, v25, v2
	s_wait_dscnt 0x1
	v_dual_max_num_f32 v13, v13, v13 :: v_dual_max_num_f32 v0, v0, v12
	ds_bpermute_b32 v15, v25, v3
	ds_bpermute_b32 v12, v24, v0
	s_wait_dscnt 0x2
	v_dual_max_num_f32 v14, v14, v14 :: v_dual_max_num_f32 v1, v1, v13
	s_wait_dscnt 0x1
	s_delay_alu instid0(VALU_DEP_1)
	v_dual_max_num_f32 v15, v15, v15 :: v_dual_max_num_f32 v2, v2, v14
	ds_bpermute_b32 v13, v24, v1
	s_wait_dscnt 0x1
	v_dual_max_num_f32 v12, v12, v12 :: v_dual_max_num_f32 v3, v3, v15
	ds_bpermute_b32 v14, v24, v2
	v_max_num_f32_e32 v0, v0, v12
	ds_bpermute_b32 v15, v24, v3
	ds_bpermute_b32 v12, v23, v0
	s_wait_dscnt 0x2
	v_dual_max_num_f32 v13, v13, v13 :: v_dual_max_num_f32 v14, v14, v14
	s_wait_dscnt 0x1
	s_delay_alu instid0(VALU_DEP_1) | instskip(NEXT) | instid1(VALU_DEP_2)
	v_dual_max_num_f32 v1, v1, v13 :: v_dual_max_num_f32 v15, v15, v15
	v_max_num_f32_e32 v2, v2, v14
	ds_bpermute_b32 v13, v23, v1
	s_wait_dscnt 0x1
	v_dual_max_num_f32 v12, v12, v12 :: v_dual_max_num_f32 v3, v3, v15
	ds_bpermute_b32 v14, v23, v2
	v_max_num_f32_e32 v0, v0, v12
	ds_bpermute_b32 v15, v23, v3
	ds_bpermute_b32 v12, v22, v0
	s_wait_dscnt 0x2
	v_dual_max_num_f32 v13, v13, v13 :: v_dual_max_num_f32 v14, v14, v14
	s_wait_dscnt 0x1
	s_delay_alu instid0(VALU_DEP_1) | instskip(NEXT) | instid1(VALU_DEP_2)
	v_dual_max_num_f32 v1, v1, v13 :: v_dual_max_num_f32 v15, v15, v15
	v_max_num_f32_e32 v2, v2, v14
	;; [unrolled: 13-line block ×3, first 2 shown]
	ds_bpermute_b32 v13, v21, v1
	s_wait_dscnt 0x1
	v_dual_max_num_f32 v12, v12, v12 :: v_dual_max_num_f32 v3, v3, v15
	ds_bpermute_b32 v14, v21, v2
	v_max_num_f32_e32 v0, v0, v12
	ds_bpermute_b32 v15, v21, v3
	v_sub_f32_e32 v4, v4, v0
	v_sub_f32_e32 v12, v16, v0
	s_delay_alu instid0(VALU_DEP_2) | instskip(NEXT) | instid1(VALU_DEP_2)
	v_mul_f32_e32 v16, 0x3fb8aa3b, v4
	v_mul_f32_e32 v24, 0x3fb8aa3b, v12
	v_cmp_ngt_f32_e64 s7, 0xc2ce8ed0, v4
	s_wait_dscnt 0x2
	v_max_num_f32_e32 v13, v13, v13
	v_cmp_ngt_f32_e64 s11, 0xc2ce8ed0, v12
	v_fma_f32 v52, 0x3fb8aa3b, v4, -v16
	v_fma_f32 v106, 0x3fb8aa3b, v12, -v24
	s_wait_dscnt 0x1
	v_dual_max_num_f32 v14, v14, v14 :: v_dual_max_num_f32 v1, v1, v13
	v_rndne_f32_e32 v110, v16
	v_rndne_f32_e32 v118, v24
	s_wait_dscnt 0x0
	s_delay_alu instid0(VALU_DEP_3) | instskip(SKIP_2) | instid1(VALU_DEP_3)
	v_dual_max_num_f32 v15, v15, v15 :: v_dual_max_num_f32 v2, v2, v14
	v_dual_sub_f32 v5, v5, v0 :: v_dual_sub_f32 v6, v6, v1
	v_sub_f32_e32 v7, v7, v1
	v_dual_max_num_f32 v3, v3, v15 :: v_dual_sub_f32 v13, v17, v1
	s_delay_alu instid0(VALU_DEP_3) | instskip(NEXT) | instid1(VALU_DEP_2)
	v_dual_sub_f32 v14, v18, v2 :: v_dual_mul_f32 v17, 0x3fb8aa3b, v5
	v_dual_mul_f32 v18, 0x3fb8aa3b, v6 :: v_dual_sub_f32 v11, v11, v3
	v_dual_sub_f32 v15, v19, v3 :: v_dual_sub_f32 v8, v8, v2
	v_dual_sub_f32 v9, v9, v2 :: v_dual_sub_f32 v10, v10, v3
	v_mul_f32_e32 v19, 0x3fb8aa3b, v7
	v_fma_f32 v53, 0x3fb8aa3b, v5, -v17
	v_fma_f32 v54, 0x3fb8aa3b, v6, -v18
	v_rndne_f32_e32 v111, v17
	v_rndne_f32_e32 v112, v18
	v_dual_mul_f32 v20, 0x3fb8aa3b, v8 :: v_dual_mul_f32 v21, 0x3fb8aa3b, v9
	v_dual_mul_f32 v22, 0x3fb8aa3b, v10 :: v_dual_mul_f32 v23, 0x3fb8aa3b, v11
	v_fma_f32 v55, 0x3fb8aa3b, v7, -v19
	v_rndne_f32_e32 v113, v19
	v_dual_fmac_f32 v52, 0x32a5705f, v4 :: v_dual_fmac_f32 v53, 0x32a5705f, v5
	s_delay_alu instid0(VALU_DEP_3)
	v_dual_fmac_f32 v54, 0x32a5705f, v6 :: v_dual_fmac_f32 v55, 0x32a5705f, v7
	v_dual_sub_f32 v17, v17, v111 :: v_dual_sub_f32 v18, v18, v112
	v_dual_mul_f32 v25, 0x3fb8aa3b, v13 :: v_dual_mul_f32 v26, 0x3fb8aa3b, v14
	v_dual_mul_f32 v27, 0x3fb8aa3b, v15 :: v_dual_sub_f32 v16, v16, v110
	v_fma_f32 v56, 0x3fb8aa3b, v8, -v20
	v_fma_f32 v57, 0x3fb8aa3b, v9, -v21
	;; [unrolled: 1-line block ×4, first 2 shown]
	v_rndne_f32_e32 v114, v20
	v_rndne_f32_e32 v115, v21
	;; [unrolled: 1-line block ×4, first 2 shown]
	s_delay_alu instid0(VALU_DEP_4)
	v_dual_sub_f32 v19, v19, v113 :: v_dual_sub_f32 v20, v20, v114
	v_dual_add_f32 v17, v17, v53 :: v_dual_add_f32 v18, v18, v54
	v_fma_f32 v107, 0x3fb8aa3b, v13, -v25
	v_fma_f32 v108, 0x3fb8aa3b, v14, -v26
	;; [unrolled: 1-line block ×3, first 2 shown]
	v_rndne_f32_e32 v119, v25
	v_rndne_f32_e32 v120, v26
	;; [unrolled: 1-line block ×3, first 2 shown]
	v_dual_fmac_f32 v56, 0x32a5705f, v8 :: v_dual_fmac_f32 v57, 0x32a5705f, v9
	v_dual_fmac_f32 v58, 0x32a5705f, v10 :: v_dual_fmac_f32 v59, 0x32a5705f, v11
	;; [unrolled: 1-line block ×3, first 2 shown]
	v_dual_sub_f32 v21, v21, v115 :: v_dual_sub_f32 v22, v22, v116
	v_dual_sub_f32 v23, v23, v117 :: v_dual_sub_f32 v24, v24, v118
	v_dual_add_f32 v19, v19, v55 :: v_dual_add_f32 v20, v20, v56
	v_exp_f32_e32 v17, v17
	v_exp_f32_e32 v18, v18
	v_dual_fmac_f32 v108, 0x32a5705f, v14 :: v_dual_fmac_f32 v109, 0x32a5705f, v15
	v_dual_sub_f32 v25, v25, v119 :: v_dual_sub_f32 v26, v26, v120
	v_dual_sub_f32 v27, v27, v121 :: v_dual_add_f32 v16, v16, v52
	v_cvt_i32_f32_e32 v111, v111
	v_cvt_i32_f32_e32 v112, v112
	v_dual_add_f32 v21, v21, v57 :: v_dual_add_f32 v22, v22, v58
	v_dual_add_f32 v23, v23, v59 :: v_dual_add_f32 v24, v24, v106
	v_exp_f32_e32 v19, v19
	v_cvt_i32_f32_e32 v113, v113
	v_dual_add_f32 v25, v25, v107 :: v_dual_add_f32 v26, v26, v108
	v_exp_f32_e32 v16, v16
	v_exp_f32_e32 v20, v20
	;; [unrolled: 1-line block ×6, first 2 shown]
	v_ldexp_f32 v18, v18, v112
	v_cmp_ngt_f32_e32 vcc_lo, 0xc2ce8ed0, v6
	v_add_f32_e32 v27, v27, v109
	v_ldexp_f32 v17, v17, v111
	v_cmp_ngt_f32_e64 s12, 0xc2ce8ed0, v5
	v_cvt_i32_f32_e32 v110, v110
	v_cvt_i32_f32_e32 v114, v114
	;; [unrolled: 1-line block ×6, first 2 shown]
	v_exp_f32_e32 v25, v25
	v_exp_f32_e32 v26, v26
	v_ldexp_f32 v19, v19, v113
	v_cmp_ngt_f32_e64 s2, 0xc2ce8ed0, v7
	v_cndmask_b32_e64 v17, 0, v17, s12
	v_cmp_nlt_f32_e64 s12, 0x42b17218, v5
	v_cndmask_b32_e32 v5, 0, v18, vcc_lo
	v_exp_f32_e32 v27, v27
	v_cvt_i32_f32_e32 v119, v119
	v_cvt_i32_f32_e32 v120, v120
	;; [unrolled: 1-line block ×3, first 2 shown]
	v_ldexp_f32 v20, v20, v114
	v_cmp_ngt_f32_e64 s3, 0xc2ce8ed0, v8
	v_ldexp_f32 v21, v21, v115
	v_cmp_ngt_f32_e64 s4, 0xc2ce8ed0, v9
	;; [unrolled: 2-line block ×4, first 2 shown]
	v_ldexp_f32 v16, v16, v110
	v_ldexp_f32 v24, v24, v118
	;; [unrolled: 1-line block ×3, first 2 shown]
	v_cmp_ngt_f32_e64 s8, 0xc2ce8ed0, v13
	v_ldexp_f32 v26, v26, v120
	v_cmp_ngt_f32_e64 s9, 0xc2ce8ed0, v14
	v_ldexp_f32 v27, v27, v121
	v_cmp_ngt_f32_e64 s10, 0xc2ce8ed0, v15
	v_cmp_nlt_f32_e32 vcc_lo, 0x42b17218, v6
	v_cndmask_b32_e64 v18, 0, v19, s2
	v_cmp_nlt_f32_e64 s2, 0x42b17218, v7
	v_cndmask_b32_e64 v6, 0, v20, s3
	v_cmp_nlt_f32_e64 s3, 0x42b17218, v8
	;; [unrolled: 2-line block ×3, first 2 shown]
	v_dual_cndmask_b32 v7, 0, v22, s5 :: v_dual_cndmask_b32 v9, 0, v23, s6
	v_cmp_nlt_f32_e64 s5, 0x42b17218, v10
	v_cmp_nlt_f32_e64 s6, 0x42b17218, v11
	v_cndmask_b32_e64 v10, 0, v16, s7
	v_cmp_nlt_f32_e64 s7, 0x42b17218, v15
	v_cndmask_b32_e64 v15, 0, v24, s11
	;; [unrolled: 2-line block ×6, first 2 shown]
	v_cndmask_b32_e32 v5, 0x7f800000, v5, vcc_lo
	v_cndmask_b32_e64 v6, 0x7f800000, v6, s3
	v_cndmask_b32_e64 v7, 0x7f800000, v7, s5
	;; [unrolled: 1-line block ×9, first 2 shown]
	v_cvt_pk_f16_f32 v13, v6, v7
	v_cvt_pk_f16_f32 v12, v4, v5
	;; [unrolled: 1-line block ×4, first 2 shown]
	v_pk_add_f32 v[58:59], v[6:7], v[8:9]
	v_pk_add_f32 v[56:57], v[4:5], v[10:11]
	v_cvt_f16_f32_e32 v16, v55
	v_cndmask_b32_e64 v53, 0x7f800000, v19, s8
	ds_store_2addr_b64 v82, v[12:13], v[14:15] offset1:32
	s_wait_dscnt 0x0
	s_barrier_signal -1
	s_barrier_wait -1
	ds_load_b128 v[4:7], v78
	ds_load_b128 v[8:11], v78 offset:16
	v_and_b32_e32 v109, 0xffff, v16
	ds_load_b128 v[12:15], v78 offset:32
	ds_load_b128 v[16:19], v78 offset:48
	;; [unrolled: 1-line block ×4, first 2 shown]
	v_cvt_f16_f32_e32 v106, v52
	v_cvt_f16_f32_e32 v107, v53
	;; [unrolled: 1-line block ×3, first 2 shown]
	v_pk_fma_f32 v[28:29], v[28:29], v[54:55], v[58:59]
	v_pk_fma_f32 v[30:31], v[30:31], v[52:53], v[56:57]
	s_or_b32 s2, s14, 32
	s_delay_alu instid0(SALU_CYCLE_1) | instskip(NEXT) | instid1(SALU_CYCLE_1)
	s_ashr_i32 s3, s2, 31
	s_mul_u64 s[2:3], s[2:3], s[18:19]
	s_delay_alu instid0(SALU_CYCLE_1) | instskip(NEXT) | instid1(SALU_CYCLE_1)
	s_lshl_b64 s[2:3], s[2:3], 2
	s_add_nc_u64 s[2:3], s[40:41], s[2:3]
	s_wait_dscnt 0x5
	v_lshrrev_b32_e32 v52, 16, v5
	v_and_b32_e32 v53, 0xffff, v4
	v_lshrrev_b32_e32 v54, 16, v4
	v_and_b32_e32 v55, 0xffff, v5
	v_dual_lshrrev_b32 v56, 16, v6 :: v_dual_lshrrev_b32 v57, 16, v7
	v_and_b32_e32 v58, 0xffff, v6
	v_and_b32_e32 v59, 0xffff, v7
	ds_load_2addr_b64 v[4:7], v64 offset1:32
	s_wait_dscnt 0x5
	v_dual_lshrrev_b32 v110, 16, v9 :: v_dual_lshrrev_b32 v112, 16, v8
	v_and_b32_e32 v111, 0xffff, v8
	v_and_b32_e32 v113, 0xffff, v9
	v_dual_lshrrev_b32 v114, 16, v11 :: v_dual_lshrrev_b32 v115, 16, v10
	v_and_b32_e32 v116, 0xffff, v10
	v_and_b32_e32 v117, 0xffff, v11
	;; [unrolled: 1-line block ×5, first 2 shown]
	v_mul_u32_u24_e32 v11, 0x10001, v109
	s_wait_dscnt 0x4
	v_dual_lshrrev_b32 v118, 16, v13 :: v_dual_lshrrev_b32 v120, 16, v12
	v_and_b32_e32 v119, 0xffff, v12
	v_and_b32_e32 v121, 0xffff, v13
	v_dual_lshrrev_b32 v122, 16, v15 :: v_dual_lshrrev_b32 v123, 16, v14
	v_and_b32_e32 v124, 0xffff, v14
	v_mul_u32_u24_e32 v8, 0x10001, v8
	v_mul_u32_u24_e32 v9, 0x10001, v9
	;; [unrolled: 1-line block ×3, first 2 shown]
	v_pk_mul_f16 v12, v93, v11
	v_pk_mul_f16 v13, v92, v11
	;; [unrolled: 1-line block ×4, first 2 shown]
	v_mul_u32_u24_e32 v52, 0x10001, v52
	v_and_b32_e32 v125, 0xffff, v15
	v_pk_mul_f16 v15, v105, v8
	v_pk_mul_f16 v90, v104, v8
	;; [unrolled: 1-line block ×9, first 2 shown]
	s_wait_dscnt 0x0
	v_pk_fma_f16 v12, v4, v52, v12
	v_pk_fma_f16 v13, v5, v52, v13
	;; [unrolled: 1-line block ×4, first 2 shown]
	v_mul_u32_u24_e32 v11, 0x10001, v53
	v_mul_u32_u24_e32 v53, 0x10001, v54
	;; [unrolled: 1-line block ×5, first 2 shown]
	v_pk_fma_f16 v15, v5, v11, v15
	v_pk_fma_f16 v55, v6, v11, v90
	v_pk_fma_f16 v90, v7, v11, v91
	v_pk_mul_f16 v11, v4, v11
	v_pk_fma_f16 v91, v5, v53, v92
	v_pk_fma_f16 v92, v6, v53, v93
	v_pk_fma_f16 v93, v7, v53, v99
	v_pk_mul_f16 v53, v4, v53
	;; [unrolled: 4-line block ×3, first 2 shown]
	ds_load_2addr_b64 v[4:7], v64 offset0:64 offset1:96
	v_pk_fma_f16 v53, v98, v9, v53
	v_pk_fma_f16 v102, v102, v8, v11
	v_mul_u32_u24_e32 v58, 0x10001, v58
	v_pk_fma_f16 v54, v95, v10, v54
	ds_load_b128 v[8:11], v78 offset:96
	v_lshrrev_b32_e32 v126, 16, v17
	v_and_b32_e32 v127, 0xffff, v16
	v_lshrrev_b32_e32 v16, 16, v16
	v_and_b32_e32 v17, 0xffff, v17
	v_dual_lshrrev_b32 v128, 16, v19 :: v_dual_lshrrev_b32 v129, 16, v18
	v_and_b32_e32 v18, 0xffff, v18
	s_delay_alu instid0(VALU_DEP_4) | instskip(NEXT) | instid1(VALU_DEP_4)
	v_mul_u32_u24_e32 v16, 0x10001, v16
	v_mul_u32_u24_e32 v17, 0x10001, v17
	v_and_b32_e32 v19, 0xffff, v19
	v_lshrrev_b32_e32 v130, 16, v21
	v_mul_u32_u24_e32 v18, 0x10001, v18
	v_and_b32_e32 v131, 0xffff, v20
	v_lshrrev_b32_e32 v20, 16, v20
	s_wait_dscnt 0x1
	v_pk_fma_f16 v91, v5, v56, v91
	v_pk_fma_f16 v92, v6, v56, v92
	;; [unrolled: 1-line block ×4, first 2 shown]
	v_mul_u32_u24_e32 v56, 0x10001, v59
	v_pk_fma_f16 v95, v4, v57, v12
	v_pk_fma_f16 v98, v5, v57, v13
	;; [unrolled: 1-line block ×12, first 2 shown]
	ds_load_2addr_b64 v[4:7], v64 offset0:128 offset1:160
	ds_load_b128 v[12:15], v78 offset:112
	s_wait_dscnt 0x2
	v_dual_lshrrev_b32 v56, 16, v9 :: v_dual_lshrrev_b32 v102, 16, v8
	v_and_b32_e32 v97, 0xffff, v8
	v_mul_u32_u24_e32 v8, 0x10001, v110
	v_and_b32_e32 v105, 0xffff, v9
	v_dual_lshrrev_b32 v106, 16, v11 :: v_dual_lshrrev_b32 v107, 16, v10
	v_and_b32_e32 v108, 0xffff, v10
	v_and_b32_e32 v109, 0xffff, v11
	v_mul_u32_u24_e32 v19, 0x10001, v19
	v_and_b32_e32 v21, 0xffff, v21
	v_dual_lshrrev_b32 v132, 16, v23 :: v_dual_lshrrev_b32 v133, 16, v22
	v_and_b32_e32 v22, 0xffff, v22
	v_and_b32_e32 v23, 0xffff, v23
	s_delay_alu instid0(VALU_DEP_4)
	v_mul_u32_u24_e32 v21, 0x10001, v21
	v_lshrrev_b32_e32 v100, 16, v25
	v_and_b32_e32 v101, 0xffff, v24
	s_wait_dscnt 0x1
	v_pk_fma_f16 v9, v4, v8, v95
	v_pk_fma_f16 v10, v5, v8, v98
	;; [unrolled: 1-line block ×4, first 2 shown]
	v_mul_u32_u24_e32 v52, 0x10001, v111
	s_wait_dscnt 0x0
	v_lshrrev_b32_e32 v98, 16, v12
	v_and_b32_e32 v104, 0xffff, v13
	v_dual_lshrrev_b32 v110, 16, v15 :: v_dual_lshrrev_b32 v111, 16, v14
	v_pk_fma_f16 v57, v5, v52, v57
	v_pk_fma_f16 v55, v6, v52, v55
	;; [unrolled: 1-line block ×4, first 2 shown]
	v_mul_u32_u24_e32 v58, 0x10001, v112
	v_and_b32_e32 v112, 0xffff, v14
	v_mul_u32_u24_e32 v22, 0x10001, v22
	v_lshrrev_b32_e32 v24, 16, v24
	v_and_b32_e32 v25, 0xffff, v25
	v_pk_fma_f16 v91, v5, v58, v91
	v_pk_fma_f16 v92, v6, v58, v92
	;; [unrolled: 1-line block ×4, first 2 shown]
	v_mul_u32_u24_e32 v58, 0x10001, v113
	v_and_b32_e32 v113, 0xffff, v15
	v_mul_u32_u24_e32 v24, 0x10001, v24
	v_dual_lshrrev_b32 v99, 16, v27 :: v_dual_lshrrev_b32 v103, 16, v26
	s_delay_alu instid0(VALU_DEP_4)
	v_pk_fma_f16 v59, v5, v58, v59
	v_pk_fma_f16 v95, v6, v58, v96
	;; [unrolled: 1-line block ×4, first 2 shown]
	ds_load_2addr_b64 v[4:7], v64 offset0:192 offset1:224
	v_lshrrev_b32_e32 v58, 16, v13
	v_and_b32_e32 v96, 0xffff, v12
	v_mul_u32_u24_e32 v12, 0x10001, v114
	v_and_b32_e32 v26, 0xffff, v26
	v_and_b32_e32 v27, 0xffff, v27
	s_wait_dscnt 0x0
	s_delay_alu instid0(VALU_DEP_3)
	v_pk_fma_f16 v9, v4, v12, v9
	v_pk_fma_f16 v10, v5, v12, v10
	;; [unrolled: 1-line block ×4, first 2 shown]
	v_mul_u32_u24_e32 v12, 0x10001, v116
	v_mul_u32_u24_e32 v116, 0x10001, v123
	s_delay_alu instid0(VALU_DEP_2) | instskip(SKIP_4) | instid1(VALU_DEP_1)
	v_pk_fma_f16 v13, v5, v12, v57
	v_pk_fma_f16 v14, v6, v12, v55
	;; [unrolled: 1-line block ×4, first 2 shown]
	v_mul_u32_u24_e32 v52, 0x10001, v115
	v_pk_fma_f16 v55, v5, v52, v91
	v_pk_fma_f16 v57, v6, v52, v92
	;; [unrolled: 1-line block ×4, first 2 shown]
	v_mul_u32_u24_e32 v53, 0x10001, v117
	v_mul_u32_u24_e32 v93, 0x10001, v119
	s_delay_alu instid0(VALU_DEP_2)
	v_pk_fma_f16 v59, v5, v53, v59
	v_pk_fma_f16 v91, v6, v53, v95
	;; [unrolled: 1-line block ×4, first 2 shown]
	ds_load_2addr_b64 v[4:7], v83 offset1:32
	v_mul_u32_u24_e32 v54, 0x10001, v118
	v_mul_u32_u24_e32 v94, 0x10001, v120
	s_wait_dscnt 0x0
	s_delay_alu instid0(VALU_DEP_2)
	v_pk_fma_f16 v95, v4, v54, v9
	v_pk_fma_f16 v114, v5, v54, v10
	;; [unrolled: 1-line block ×8, first 2 shown]
	ds_load_2addr_b64 v[8:11], v83 offset0:64 offset1:96
	v_mul_u32_u24_e32 v93, 0x10001, v121
	v_pk_fma_f16 v55, v5, v94, v55
	v_pk_fma_f16 v57, v6, v94, v57
	;; [unrolled: 1-line block ×8, first 2 shown]
	ds_load_b128 v[4:7], v78 offset:128
	v_mul_u32_u24_e32 v93, 0x10001, v122
	v_mul_u32_u24_e32 v94, 0x10001, v124
	;; [unrolled: 1-line block ×3, first 2 shown]
	s_wait_dscnt 0x1
	v_pk_fma_f16 v55, v9, v116, v55
	v_pk_fma_f16 v57, v10, v116, v57
	;; [unrolled: 1-line block ×4, first 2 shown]
	v_mul_u32_u24_e32 v116, 0x10001, v125
	v_pk_fma_f16 v95, v8, v93, v95
	v_pk_fma_f16 v114, v9, v93, v114
	;; [unrolled: 1-line block ×8, first 2 shown]
	ds_load_b128 v[12:15], v78 offset:144
	v_pk_fma_f16 v9, v9, v116, v59
	v_pk_fma_f16 v10, v10, v116, v91
	;; [unrolled: 1-line block ×4, first 2 shown]
	s_wait_dscnt 0x1
	v_dual_lshrrev_b32 v53, 16, v5 :: v_dual_lshrrev_b32 v91, 16, v4
	v_and_b32_e32 v59, 0xffff, v4
	v_and_b32_e32 v92, 0xffff, v5
	v_dual_lshrrev_b32 v116, 16, v7 :: v_dual_lshrrev_b32 v119, 16, v6
	v_and_b32_e32 v120, 0xffff, v6
	v_and_b32_e32 v121, 0xffff, v7
	ds_load_2addr_b64 v[4:7], v83 offset0:128 offset1:160
	s_wait_dscnt 0x1
	v_and_b32_e32 v123, 0xffff, v13
	v_dual_lshrrev_b32 v124, 16, v15 :: v_dual_lshrrev_b32 v125, 16, v14
	v_and_b32_e32 v126, 0xffff, v14
	s_wait_dscnt 0x0
	v_pk_fma_f16 v95, v4, v122, v95
	v_pk_fma_f16 v114, v5, v122, v114
	v_pk_fma_f16 v115, v6, v122, v115
	v_pk_fma_f16 v54, v7, v122, v54
	v_mul_u32_u24_e32 v122, 0x10001, v127
	v_pk_fma_f16 v55, v5, v16, v55
	v_pk_fma_f16 v57, v6, v16, v57
	v_pk_fma_f16 v90, v7, v16, v90
	v_pk_fma_f16 v16, v4, v16, v52
	v_pk_fma_f16 v93, v5, v122, v93
	v_pk_fma_f16 v117, v6, v122, v117
	v_pk_fma_f16 v118, v7, v122, v118
	v_pk_fma_f16 v94, v4, v122, v94
	v_pk_fma_f16 v9, v5, v17, v9
	v_pk_fma_f16 v10, v6, v17, v10
	v_pk_fma_f16 v11, v7, v17, v11
	v_pk_fma_f16 v8, v4, v17, v8
	ds_load_2addr_b64 v[4:7], v83 offset0:192 offset1:224
	v_dual_lshrrev_b32 v17, 16, v13 :: v_dual_lshrrev_b32 v122, 16, v12
	v_and_b32_e32 v52, 0xffff, v12
	v_mul_u32_u24_e32 v12, 0x10001, v128
	v_and_b32_e32 v127, 0xffff, v15
	s_delay_alu instid0(VALU_DEP_4) | instskip(NEXT) | instid1(VALU_DEP_4)
	v_mul_u32_u24_e32 v17, 0x10001, v17
	v_mul_u32_u24_e32 v52, 0x10001, v52
	s_wait_dscnt 0x0
	v_pk_fma_f16 v13, v4, v12, v95
	v_pk_fma_f16 v14, v5, v12, v114
	;; [unrolled: 1-line block ×8, first 2 shown]
	v_mul_u32_u24_e32 v94, 0x10001, v129
	v_pk_fma_f16 v114, v6, v19, v10
	v_pk_fma_f16 v115, v7, v19, v11
	v_mul_u32_u24_e32 v10, 0x10001, v20
	s_delay_alu instid0(VALU_DEP_4)
	v_pk_fma_f16 v55, v5, v94, v55
	v_pk_fma_f16 v57, v6, v94, v57
	;; [unrolled: 1-line block ×6, first 2 shown]
	ds_load_2addr_b64 v[4:7], v84 offset1:32
	v_mul_u32_u24_e32 v8, 0x10001, v130
	v_mul_u32_u24_e32 v9, 0x10001, v131
	s_wait_dscnt 0x0
	s_delay_alu instid0(VALU_DEP_2)
	v_pk_fma_f16 v13, v4, v8, v13
	v_pk_fma_f16 v14, v5, v8, v14
	;; [unrolled: 1-line block ×12, first 2 shown]
	ds_load_2addr_b64 v[8:11], v84 offset0:64 offset1:96
	v_pk_fma_f16 v94, v5, v21, v94
	v_pk_fma_f16 v95, v6, v21, v114
	v_pk_fma_f16 v114, v7, v21, v115
	v_pk_fma_f16 v19, v4, v21, v19
	ds_load_b128 v[4:7], v78 offset:160
	v_mul_u32_u24_e32 v21, 0x10001, v132
	v_mul_u32_u24_e32 v115, 0x10001, v133
	s_wait_dscnt 0x1
	v_pk_fma_f16 v20, v9, v22, v20
	v_pk_fma_f16 v54, v10, v22, v54
	;; [unrolled: 1-line block ×4, first 2 shown]
	v_mul_u32_u24_e32 v22, 0x10001, v23
	v_pk_fma_f16 v117, v8, v21, v13
	v_pk_fma_f16 v118, v9, v21, v14
	;; [unrolled: 1-line block ×8, first 2 shown]
	ds_load_b128 v[12:15], v78 offset:176
	v_pk_fma_f16 v9, v9, v22, v94
	v_pk_fma_f16 v10, v10, v22, v95
	;; [unrolled: 1-line block ×4, first 2 shown]
	s_wait_dscnt 0x1
	v_dual_lshrrev_b32 v19, 16, v5 :: v_dual_lshrrev_b32 v23, 16, v4
	v_and_b32_e32 v22, 0xffff, v4
	v_and_b32_e32 v114, 0xffff, v5
	v_dual_lshrrev_b32 v115, 16, v7 :: v_dual_lshrrev_b32 v129, 16, v6
	v_and_b32_e32 v130, 0xffff, v6
	v_and_b32_e32 v131, 0xffff, v7
	ds_load_2addr_b64 v[4:7], v84 offset0:128 offset1:160
	v_mul_u32_u24_e32 v94, 0x10001, v100
	s_wait_dscnt 0x1
	v_lshrrev_b32_e32 v132, 16, v14
	v_and_b32_e32 v133, 0xffff, v14
	v_and_b32_e32 v134, 0xffff, v15
	s_wait_dscnt 0x0
	v_pk_fma_f16 v95, v4, v94, v117
	v_pk_fma_f16 v100, v5, v94, v118
	;; [unrolled: 1-line block ×4, first 2 shown]
	v_mul_u32_u24_e32 v94, 0x10001, v101
	v_pk_fma_f16 v55, v5, v24, v55
	v_pk_fma_f16 v57, v6, v24, v57
	;; [unrolled: 1-line block ×4, first 2 shown]
	v_mul_u32_u24_e32 v24, 0x10001, v25
	v_pk_fma_f16 v20, v5, v94, v20
	v_pk_fma_f16 v54, v6, v94, v54
	;; [unrolled: 1-line block ×8, first 2 shown]
	ds_load_2addr_b64 v[4:7], v84 offset0:192 offset1:224
	v_dual_lshrrev_b32 v24, 16, v13 :: v_dual_lshrrev_b32 v101, 16, v12
	v_and_b32_e32 v25, 0xffff, v12
	v_mul_u32_u24_e32 v12, 0x10001, v99
	v_and_b32_e32 v118, 0xffff, v13
	v_lshrrev_b32_e32 v128, 16, v15
	s_wait_dscnt 0x0
	s_delay_alu instid0(VALU_DEP_3)
	v_pk_fma_f16 v13, v4, v12, v95
	v_pk_fma_f16 v14, v5, v12, v100
	;; [unrolled: 1-line block ×4, first 2 shown]
	v_mul_u32_u24_e32 v21, 0x10001, v26
	v_mul_u32_u24_e32 v95, 0x10001, v108
	s_delay_alu instid0(VALU_DEP_2) | instskip(SKIP_4) | instid1(VALU_DEP_1)
	v_pk_fma_f16 v20, v5, v21, v20
	v_pk_fma_f16 v26, v6, v21, v54
	;; [unrolled: 1-line block ×4, first 2 shown]
	v_mul_u32_u24_e32 v21, 0x10001, v103
	v_pk_fma_f16 v55, v5, v21, v55
	v_pk_fma_f16 v57, v6, v21, v57
	v_pk_fma_f16 v90, v7, v21, v90
	v_pk_fma_f16 v16, v4, v21, v16
	v_mul_u32_u24_e32 v21, 0x10001, v27
	s_delay_alu instid0(VALU_DEP_1)
	v_pk_fma_f16 v27, v5, v21, v9
	v_pk_fma_f16 v93, v6, v21, v10
	;; [unrolled: 1-line block ×4, first 2 shown]
	ds_load_2addr_b64 v[4:7], v85 offset1:32
	v_mul_u32_u24_e32 v8, 0x10001, v56
	v_mul_u32_u24_e32 v9, 0x10001, v97
	;; [unrolled: 1-line block ×4, first 2 shown]
	s_wait_dscnt 0x0
	v_pk_fma_f16 v13, v4, v8, v13
	v_pk_fma_f16 v14, v5, v8, v14
	;; [unrolled: 1-line block ×12, first 2 shown]
	ds_load_2addr_b64 v[8:11], v85 offset0:64 offset1:96
	v_mul_u32_u24_e32 v90, 0x10001, v105
	s_delay_alu instid0(VALU_DEP_1)
	v_pk_fma_f16 v27, v5, v90, v27
	v_pk_fma_f16 v93, v6, v90, v93
	;; [unrolled: 1-line block ×4, first 2 shown]
	ds_load_b128 v[4:7], v78 offset:192
	v_mul_u32_u24_e32 v90, 0x10001, v106
	s_wait_dscnt 0x1
	v_pk_fma_f16 v20, v9, v95, v20
	v_pk_fma_f16 v26, v10, v95, v26
	;; [unrolled: 1-line block ×4, first 2 shown]
	v_mul_u32_u24_e32 v95, 0x10001, v109
	v_pk_fma_f16 v99, v8, v90, v13
	v_pk_fma_f16 v100, v9, v90, v14
	;; [unrolled: 1-line block ×8, first 2 shown]
	ds_load_b128 v[12:15], v78 offset:208
	v_pk_fma_f16 v9, v9, v95, v27
	s_wait_dscnt 0x1
	v_dual_lshrrev_b32 v27, 16, v5 :: v_dual_lshrrev_b32 v103, 16, v4
	v_and_b32_e32 v97, 0xffff, v4
	v_and_b32_e32 v105, 0xffff, v5
	v_dual_lshrrev_b32 v106, 16, v7 :: v_dual_lshrrev_b32 v107, 16, v6
	v_and_b32_e32 v108, 0xffff, v6
	v_and_b32_e32 v109, 0xffff, v7
	ds_load_2addr_b64 v[4:7], v85 offset0:128 offset1:160
	v_pk_fma_f16 v8, v8, v95, v21
	v_mul_u32_u24_e32 v21, 0x10001, v58
	v_pk_fma_f16 v10, v10, v95, v93
	v_pk_fma_f16 v11, v11, v95, v94
	v_mul_u32_u24_e32 v97, 0x10001, v97
	v_mul_u32_u24_e32 v103, 0x10001, v103
	;; [unrolled: 1-line block ×4, first 2 shown]
	s_wait_dscnt 0x1
	v_and_b32_e32 v117, 0xffff, v14
	v_and_b32_e32 v135, 0xffff, v15
	s_wait_dscnt 0x0
	v_pk_fma_f16 v58, v4, v21, v99
	v_pk_fma_f16 v93, v5, v21, v100
	;; [unrolled: 1-line block ×4, first 2 shown]
	v_mul_u32_u24_e32 v90, 0x10001, v96
	v_dual_lshrrev_b32 v96, 16, v13 :: v_dual_lshrrev_b32 v99, 16, v12
	v_and_b32_e32 v100, 0xffff, v13
	v_lshrrev_b32_e32 v102, 16, v15
	s_delay_alu instid0(VALU_DEP_4)
	v_pk_fma_f16 v20, v5, v90, v20
	v_pk_fma_f16 v26, v6, v90, v26
	;; [unrolled: 1-line block ×4, first 2 shown]
	v_mul_u32_u24_e32 v90, 0x10001, v98
	v_and_b32_e32 v98, 0xffff, v12
	v_mul_u32_u24_e32 v12, 0x10001, v110
	v_mul_u32_u24_e32 v99, 0x10001, v99
	;; [unrolled: 1-line block ×3, first 2 shown]
	v_pk_fma_f16 v55, v5, v90, v55
	v_pk_fma_f16 v56, v6, v90, v56
	;; [unrolled: 1-line block ×4, first 2 shown]
	v_mul_u32_u24_e32 v90, 0x10001, v104
	v_lshrrev_b32_e32 v104, 16, v14
	v_mul_u32_u24_e32 v98, 0x10001, v98
	s_delay_alu instid0(VALU_DEP_3)
	v_pk_fma_f16 v9, v5, v90, v9
	v_pk_fma_f16 v10, v6, v90, v10
	;; [unrolled: 1-line block ×4, first 2 shown]
	ds_load_2addr_b64 v[4:7], v85 offset0:192 offset1:224
	s_wait_dscnt 0x0
	v_pk_fma_f16 v13, v4, v12, v58
	v_pk_fma_f16 v14, v5, v12, v93
	v_pk_fma_f16 v15, v6, v12, v94
	v_pk_fma_f16 v12, v7, v12, v21
	v_mul_u32_u24_e32 v21, 0x10001, v112
	s_delay_alu instid0(VALU_DEP_1) | instskip(SKIP_4) | instid1(VALU_DEP_1)
	v_pk_fma_f16 v20, v5, v21, v20
	v_pk_fma_f16 v26, v6, v21, v26
	;; [unrolled: 1-line block ×4, first 2 shown]
	v_mul_u32_u24_e32 v21, 0x10001, v111
	v_pk_fma_f16 v55, v5, v21, v55
	v_pk_fma_f16 v56, v6, v21, v56
	;; [unrolled: 1-line block ×4, first 2 shown]
	v_mul_u32_u24_e32 v21, 0x10001, v113
	s_delay_alu instid0(VALU_DEP_1)
	v_pk_fma_f16 v58, v5, v21, v9
	v_pk_fma_f16 v90, v6, v21, v10
	;; [unrolled: 1-line block ×4, first 2 shown]
	ds_load_2addr_b64 v[4:7], v86 offset1:32
	v_mul_u32_u24_e32 v9, 0x10001, v59
	v_mul_u32_u24_e32 v10, 0x10001, v91
	;; [unrolled: 1-line block ×4, first 2 shown]
	s_wait_dscnt 0x0
	v_pk_fma_f16 v53, v7, v9, v54
	v_pk_fma_f16 v54, v5, v10, v55
	v_pk_fma_f16 v55, v6, v10, v56
	v_pk_fma_f16 v56, v7, v10, v57
	v_mul_u32_u24_e32 v57, 0x10001, v92
	v_pk_fma_f16 v13, v4, v8, v13
	v_pk_fma_f16 v14, v5, v8, v14
	;; [unrolled: 1-line block ×8, first 2 shown]
	ds_load_2addr_b64 v[8:11], v86 offset0:64 offset1:96
	v_pk_fma_f16 v58, v5, v57, v58
	v_pk_fma_f16 v59, v6, v57, v90
	;; [unrolled: 1-line block ×4, first 2 shown]
	ds_load_b128 v[4:7], v78 offset:224
	v_mul_u32_u24_e32 v57, 0x10001, v116
	v_mul_u32_u24_e32 v92, 0x10001, v119
	s_wait_dscnt 0x1
	s_delay_alu instid0(VALU_DEP_2)
	v_pk_fma_f16 v93, v8, v57, v13
	v_pk_fma_f16 v94, v9, v57, v14
	;; [unrolled: 1-line block ×8, first 2 shown]
	ds_load_b128 v[12:15], v78 offset:240
	v_mul_u32_u24_e32 v91, 0x10001, v121
	s_wait_dscnt 0x1
	v_dual_lshrrev_b32 v110, 16, v5 :: v_dual_lshrrev_b32 v112, 16, v4
	v_and_b32_e32 v111, 0xffff, v4
	v_and_b32_e32 v113, 0xffff, v5
	v_dual_lshrrev_b32 v116, 16, v7 :: v_dual_lshrrev_b32 v119, 16, v6
	v_and_b32_e32 v120, 0xffff, v6
	v_and_b32_e32 v121, 0xffff, v7
	ds_load_2addr_b64 v[4:7], v86 offset0:128 offset1:160
	v_pk_fma_f16 v54, v9, v92, v54
	v_pk_fma_f16 v55, v10, v92, v55
	;; [unrolled: 1-line block ×8, first 2 shown]
	v_mul_u32_u24_e32 v119, 0x10001, v119
	s_wait_dscnt 0x0
	v_pk_fma_f16 v20, v5, v52, v20
	v_pk_fma_f16 v26, v6, v52, v26
	;; [unrolled: 1-line block ×4, first 2 shown]
	v_mul_u32_u24_e32 v52, 0x10001, v122
	v_pk_fma_f16 v21, v4, v17, v93
	v_pk_fma_f16 v58, v5, v17, v94
	;; [unrolled: 1-line block ×8, first 2 shown]
	v_mul_u32_u24_e32 v52, 0x10001, v123
	s_delay_alu instid0(VALU_DEP_1)
	v_pk_fma_f16 v57, v5, v52, v9
	v_pk_fma_f16 v90, v6, v52, v10
	;; [unrolled: 1-line block ×4, first 2 shown]
	ds_load_2addr_b64 v[4:7], v86 offset0:192 offset1:224
	v_mul_u32_u24_e32 v11, 0x10001, v125
	v_mul_u32_u24_e32 v8, 0x10001, v124
	;; [unrolled: 1-line block ×3, first 2 shown]
	s_wait_dscnt 0x0
	s_delay_alu instid0(VALU_DEP_3)
	v_pk_fma_f16 v92, v4, v11, v16
	v_mul_u32_u24_e32 v16, 0x10001, v127
	v_pk_fma_f16 v21, v4, v8, v21
	v_pk_fma_f16 v58, v5, v8, v58
	;; [unrolled: 1-line block ×15, first 2 shown]
	ds_load_2addr_b64 v[4:7], v87 offset1:32
	v_add_nc_u64_e32 v[8:9], s[2:3], v[42:43]
	v_mul_u32_u24_e32 v16, 0x10001, v19
	v_mul_u32_u24_e32 v19, 0x10001, v22
	;; [unrolled: 1-line block ×3, first 2 shown]
	v_add_nc_u64_e32 v[10:11], s[2:3], v[46:47]
	s_delay_alu instid0(VALU_DEP_1)
	v_add_nc_u64_e32 v[90:91], v[10:11], v[44:45]
	v_mul_u32_u24_e32 v10, 0x10001, v129
	v_and_b32_e32 v129, 0xffff, v14
	s_wait_dscnt 0x0
	v_pk_fma_f16 v21, v4, v16, v21
	v_pk_fma_f16 v58, v5, v16, v58
	;; [unrolled: 1-line block ×4, first 2 shown]
	v_add_nc_u64_e32 v[16:17], s[2:3], v[48:49]
	v_pk_fma_f16 v20, v5, v19, v20
	v_pk_fma_f16 v23, v6, v19, v26
	;; [unrolled: 1-line block ×4, first 2 shown]
	v_add_nc_u64_e32 v[18:19], s[2:3], v[50:51]
	v_pk_fma_f16 v53, v5, v22, v54
	v_pk_fma_f16 v54, v6, v22, v55
	;; [unrolled: 1-line block ×3, first 2 shown]
	v_add_nc_u64_e32 v[56:57], v[8:9], v[44:45]
	v_mul_u32_u24_e32 v8, 0x10001, v114
	v_pk_fma_f16 v22, v4, v22, v92
	v_add_nc_u64_e32 v[92:93], v[16:17], v[44:45]
	v_add_nc_u64_e32 v[94:95], v[18:19], v[44:45]
	v_mul_u32_u24_e32 v9, 0x10001, v130
	v_pk_fma_f16 v16, v5, v8, v122
	v_pk_fma_f16 v17, v6, v8, v123
	;; [unrolled: 1-line block ×4, first 2 shown]
	ds_load_2addr_b64 v[4:7], v87 offset0:64 offset1:96
	v_mul_u32_u24_e32 v8, 0x10001, v115
	v_mul_u32_u24_e32 v115, 0x10001, v131
	v_and_b32_e32 v130, 0xffff, v15
	s_wait_dscnt 0x0
	s_delay_alu instid0(VALU_DEP_3)
	v_pk_fma_f16 v21, v4, v8, v21
	v_pk_fma_f16 v52, v5, v8, v58
	;; [unrolled: 1-line block ×12, first 2 shown]
	ds_load_2addr_b64 v[8:11], v87 offset0:128 offset1:160
	v_pk_fma_f16 v122, v5, v115, v16
	v_pk_fma_f16 v123, v6, v115, v17
	;; [unrolled: 1-line block ×4, first 2 shown]
	ds_load_2addr_b64 v[4:7], v87 offset0:192 offset1:224
	v_mul_u32_u24_e32 v16, 0x10001, v24
	v_mul_u32_u24_e32 v17, 0x10001, v25
	;; [unrolled: 1-line block ×3, first 2 shown]
	s_wait_dscnt 0x1
	s_delay_alu instid0(VALU_DEP_3)
	v_pk_fma_f16 v21, v8, v16, v21
	v_pk_fma_f16 v24, v9, v16, v52
	;; [unrolled: 1-line block ×12, first 2 shown]
	ds_load_2addr_b64 v[16:19], v88 offset1:32
	v_mul_u32_u24_e32 v59, 0x10001, v118
	s_delay_alu instid0(VALU_DEP_1)
	v_pk_fma_f16 v101, v9, v59, v122
	v_pk_fma_f16 v114, v10, v59, v123
	;; [unrolled: 1-line block ×4, first 2 shown]
	ds_load_2addr_b64 v[8:11], v88 offset0:64 offset1:96
	v_mul_u32_u24_e32 v115, 0x10001, v128
	v_mul_u32_u24_e32 v122, 0x10001, v133
	;; [unrolled: 1-line block ×3, first 2 shown]
	v_lshrrev_b32_e32 v128, 16, v14
	s_wait_dscnt 0x2
	v_pk_fma_f16 v124, v4, v115, v21
	v_pk_fma_f16 v24, v5, v115, v24
	;; [unrolled: 1-line block ×12, first 2 shown]
	v_mul_u32_u24_e32 v123, 0x10001, v134
	ds_load_2addr_b64 v[20:23], v88 offset0:128 offset1:160
	s_wait_dscnt 0x2
	v_pk_fma_f16 v115, v17, v97, v115
	v_pk_fma_f16 v125, v18, v97, v125
	;; [unrolled: 1-line block ×12, first 2 shown]
	v_mul_u32_u24_e32 v103, 0x10001, v105
	ds_load_2addr_b64 v[4:7], v88 offset0:192 offset1:224
	v_pk_fma_f16 v123, v16, v27, v124
	v_pk_fma_f16 v124, v17, v27, v24
	;; [unrolled: 1-line block ×7, first 2 shown]
	v_mul_u32_u24_e32 v103, 0x10001, v106
	v_mul_u32_u24_e32 v106, 0x10001, v108
	v_pk_fma_f16 v52, v19, v27, v52
	s_wait_dscnt 0x2
	v_pk_fma_f16 v97, v8, v107, v97
	ds_load_2addr_b64 v[24:27], v89 offset1:32
	v_pk_fma_f16 v108, v8, v103, v123
	v_pk_fma_f16 v118, v9, v103, v124
	;; [unrolled: 1-line block ×6, first 2 shown]
	v_mul_u32_u24_e32 v58, 0x10001, v109
	v_pk_fma_f16 v122, v10, v103, v126
	v_pk_fma_f16 v103, v11, v103, v52
	;; [unrolled: 1-line block ×9, first 2 shown]
	v_mul_u32_u24_e32 v58, 0x10001, v96
	s_wait_dscnt 0x2
	v_pk_fma_f16 v115, v21, v98, v115
	v_pk_fma_f16 v97, v20, v99, v97
	v_pk_fma_f16 v101, v21, v100, v101
	v_pk_fma_f16 v105, v22, v100, v105
	v_pk_fma_f16 v96, v20, v58, v108
	v_pk_fma_f16 v108, v21, v58, v118
	v_pk_fma_f16 v114, v22, v58, v122
	v_pk_fma_f16 v103, v23, v58, v103
	v_pk_fma_f16 v118, v22, v98, v123
	v_pk_fma_f16 v122, v23, v98, v124
	v_pk_fma_f16 v98, v20, v98, v106
	v_pk_fma_f16 v107, v23, v100, v107
	v_pk_fma_f16 v100, v20, v100, v109
	v_mul_u32_u24_e32 v20, 0x10001, v102
	ds_load_2addr_b64 v[16:19], v89 offset0:64 offset1:96
	ds_load_2addr_b64 v[52:55], v89 offset0:128 offset1:160
	;; [unrolled: 1-line block ×3, first 2 shown]
	s_wait_dscnt 0x0
	s_barrier_signal -1
	s_barrier_wait -1
	global_load_b128 v[56:59], v[56:57], off
	v_dual_lshrrev_b32 v106, 16, v13 :: v_dual_lshrrev_b32 v109, 16, v12
	v_pk_fma_f16 v123, v21, v99, v125
	v_pk_fma_f16 v124, v22, v99, v126
	;; [unrolled: 1-line block ×3, first 2 shown]
	v_and_b32_e32 v99, 0xffff, v12
	v_and_b32_e32 v126, 0xffff, v13
	v_lshrrev_b32_e32 v127, 16, v15
	global_load_b128 v[12:15], v[90:91], off
	s_wait_xcnt 0x0
	v_mul_u32_u24_e32 v90, 0x10001, v117
	v_mul_u32_u24_e32 v91, 0x10001, v104
	v_pk_fma_f16 v96, v4, v20, v96
	v_pk_fma_f16 v102, v5, v20, v108
	;; [unrolled: 1-line block ×4, first 2 shown]
	global_load_b128 v[20:23], v[92:93], off
	v_pk_fma_f16 v104, v5, v90, v115
	v_pk_fma_f16 v114, v6, v90, v118
	;; [unrolled: 1-line block ×8, first 2 shown]
	global_load_b128 v[90:93], v[94:95], off
	s_wait_xcnt 0x0
	v_mul_u32_u24_e32 v94, 0x10001, v135
	v_mul_u32_u24_e32 v95, 0x10001, v110
	;; [unrolled: 1-line block ×5, first 2 shown]
	v_pk_fma_f16 v5, v5, v94, v101
	v_pk_fma_f16 v6, v6, v94, v105
	;; [unrolled: 1-line block ×4, first 2 shown]
	v_mul_u32_u24_e32 v113, 0x10001, v116
	v_mul_u32_u24_e32 v116, 0x10001, v120
	;; [unrolled: 1-line block ×3, first 2 shown]
	v_pk_fma_f16 v94, v24, v95, v96
	v_pk_fma_f16 v96, v25, v95, v102
	;; [unrolled: 1-line block ×16, first 2 shown]
	v_mul_u32_u24_e32 v106, 0x10001, v106
	v_mul_u32_u24_e32 v99, 0x10001, v99
	;; [unrolled: 1-line block ×4, first 2 shown]
	v_pk_fma_f16 v24, v16, v113, v94
	v_pk_fma_f16 v27, v17, v113, v96
	;; [unrolled: 1-line block ×16, first 2 shown]
	v_mul_u32_u24_e32 v123, 0x10001, v127
	v_mul_u32_u24_e32 v124, 0x10001, v129
	;; [unrolled: 1-line block ×4, first 2 shown]
	v_pk_fma_f16 v16, v52, v106, v24
	v_pk_fma_f16 v19, v53, v106, v27
	;; [unrolled: 1-line block ×32, first 2 shown]
	s_wait_loadcnt 0x3
	ds_store_b128 v76, v[56:59]
	s_wait_loadcnt 0x2
	ds_store_b128 v79, v[12:15]
	s_wait_loadcnt 0x1
	ds_store_b128 v80, v[20:23]
	s_wait_loadcnt 0x0
	ds_store_b128 v81, v[90:93]
	s_wait_dscnt 0x0
	s_barrier_signal -1
	s_barrier_wait -1
	ds_load_b128 v[4:7], v78 offset:256
	ds_load_b128 v[8:11], v78 offset:272
	;; [unrolled: 1-line block ×6, first 2 shown]
	s_wait_dscnt 0x5
	v_and_b32_e32 v56, 0xffff, v4
	v_dual_lshrrev_b32 v57, 16, v4 :: v_dual_lshrrev_b32 v59, 16, v5
	v_and_b32_e32 v58, 0xffff, v5
	v_and_b32_e32 v90, 0xffff, v6
	v_dual_lshrrev_b32 v91, 16, v6 :: v_dual_lshrrev_b32 v92, 16, v7
	v_and_b32_e32 v93, 0xffff, v7
	ds_load_2addr_b64 v[4:7], v64 offset1:32
	s_wait_dscnt 0x5
	v_and_b32_e32 v106, 0xffff, v8
	v_dual_lshrrev_b32 v107, 16, v8 :: v_dual_lshrrev_b32 v109, 16, v9
	v_and_b32_e32 v108, 0xffff, v9
	v_and_b32_e32 v110, 0xffff, v10
	v_dual_lshrrev_b32 v111, 16, v10 :: v_dual_lshrrev_b32 v112, 16, v11
	v_mul_u32_u24_e32 v8, 0x10001, v56
	v_mul_u32_u24_e32 v9, 0x10001, v57
	;; [unrolled: 1-line block ×4, first 2 shown]
	v_and_b32_e32 v113, 0xffff, v11
	s_wait_dscnt 0x4
	v_and_b32_e32 v114, 0xffff, v12
	v_dual_lshrrev_b32 v115, 16, v12 :: v_dual_lshrrev_b32 v117, 16, v13
	v_and_b32_e32 v116, 0xffff, v13
	v_and_b32_e32 v118, 0xffff, v14
	v_dual_lshrrev_b32 v119, 16, v14 :: v_dual_lshrrev_b32 v120, 16, v15
	v_and_b32_e32 v121, 0xffff, v15
	s_wait_dscnt 0x0
	v_pk_fma_f16 v12, v4, v8, v103
	v_pk_fma_f16 v13, v5, v8, v98
	;; [unrolled: 1-line block ×12, first 2 shown]
	ds_load_2addr_b64 v[8:11], v64 offset0:64 offset1:96
	v_pk_fma_f16 v52, v4, v59, v52
	v_pk_fma_f16 v53, v5, v59, v53
	;; [unrolled: 1-line block ×4, first 2 shown]
	ds_load_b128 v[4:7], v78 offset:352
	v_mul_u32_u24_e32 v59, 0x10001, v90
	v_mul_u32_u24_e32 v90, 0x10001, v91
	;; [unrolled: 1-line block ×5, first 2 shown]
	v_and_b32_e32 v122, 0xffff, v16
	v_lshrrev_b32_e32 v16, 16, v16
	v_and_b32_e32 v123, 0xffff, v17
	v_lshrrev_b32_e32 v17, 16, v17
	v_and_b32_e32 v124, 0xffff, v18
	v_dual_lshrrev_b32 v18, 16, v18 :: v_dual_lshrrev_b32 v125, 16, v19
	v_mul_u32_u24_e32 v16, 0x10001, v16
	s_delay_alu instid0(VALU_DEP_4)
	v_mul_u32_u24_e32 v17, 0x10001, v17
	s_wait_dscnt 0x1
	v_pk_fma_f16 v93, v8, v59, v12
	v_pk_fma_f16 v99, v9, v59, v13
	;; [unrolled: 1-line block ×12, first 2 shown]
	ds_load_b128 v[12:15], v78 offset:368
	v_pk_fma_f16 v8, v8, v92, v52
	v_pk_fma_f16 v9, v9, v92, v53
	;; [unrolled: 1-line block ×4, first 2 shown]
	s_wait_dscnt 0x1
	v_and_b32_e32 v52, 0xffff, v4
	v_dual_lshrrev_b32 v53, 16, v4 :: v_dual_lshrrev_b32 v55, 16, v5
	v_and_b32_e32 v54, 0xffff, v5
	v_and_b32_e32 v92, 0xffff, v6
	v_dual_lshrrev_b32 v97, 16, v6 :: v_dual_lshrrev_b32 v98, 16, v7
	v_and_b32_e32 v101, 0xffff, v7
	ds_load_2addr_b64 v[4:7], v64 offset0:128 offset1:160
	v_and_b32_e32 v19, 0xffff, v19
	v_mul_u32_u24_e32 v18, 0x10001, v18
	v_and_b32_e32 v126, 0xffff, v20
	v_lshrrev_b32_e32 v20, 16, v20
	v_and_b32_e32 v127, 0xffff, v21
	s_wait_dscnt 0x1
	v_dual_lshrrev_b32 v21, 16, v21 :: v_dual_lshrrev_b32 v103, 16, v12
	v_lshrrev_b32_e32 v105, 16, v13
	v_and_b32_e32 v104, 0xffff, v13
	v_and_b32_e32 v106, 0xffff, v14
	s_delay_alu instid0(VALU_DEP_4)
	v_mul_u32_u24_e32 v21, 0x10001, v21
	v_and_b32_e32 v128, 0xffff, v22
	v_dual_lshrrev_b32 v22, 16, v22 :: v_dual_lshrrev_b32 v129, 16, v23
	v_and_b32_e32 v23, 0xffff, v23
	v_and_b32_e32 v130, 0xffff, v24
	v_lshrrev_b32_e32 v24, 16, v24
	s_delay_alu instid0(VALU_DEP_4)
	v_mul_u32_u24_e32 v22, 0x10001, v22
	v_and_b32_e32 v131, 0xffff, v25
	s_wait_dscnt 0x0
	v_pk_fma_f16 v93, v4, v102, v93
	v_pk_fma_f16 v99, v5, v102, v99
	;; [unrolled: 1-line block ×4, first 2 shown]
	v_mul_u32_u24_e32 v102, 0x10001, v107
	v_lshrrev_b32_e32 v107, 16, v14
	v_mul_u32_u24_e32 v23, 0x10001, v23
	v_lshrrev_b32_e32 v25, 16, v25
	v_mul_u32_u24_e32 v24, 0x10001, v24
	v_pk_fma_f16 v56, v4, v102, v56
	v_pk_fma_f16 v57, v5, v102, v57
	;; [unrolled: 1-line block ×4, first 2 shown]
	v_mul_u32_u24_e32 v102, 0x10001, v108
	v_lshrrev_b32_e32 v108, 16, v15
	v_and_b32_e32 v132, 0xffff, v26
	v_dual_lshrrev_b32 v26, 16, v26 :: v_dual_lshrrev_b32 v133, 16, v27
	s_delay_alu instid0(VALU_DEP_4)
	v_pk_fma_f16 v94, v4, v102, v94
	v_pk_fma_f16 v95, v5, v102, v95
	;; [unrolled: 1-line block ×4, first 2 shown]
	v_mul_u32_u24_e32 v102, 0x10001, v109
	v_and_b32_e32 v109, 0xffff, v15
	v_and_b32_e32 v27, 0xffff, v27
	v_mul_u32_u24_e32 v26, 0x10001, v26
	s_delay_alu instid0(VALU_DEP_4)
	v_pk_fma_f16 v8, v4, v102, v8
	v_pk_fma_f16 v9, v5, v102, v9
	;; [unrolled: 1-line block ×4, first 2 shown]
	ds_load_2addr_b64 v[4:7], v64 offset0:192 offset1:224
	v_and_b32_e32 v102, 0xffff, v12
	v_mul_u32_u24_e32 v12, 0x10001, v110
	v_mul_u32_u24_e32 v110, 0x10001, v117
	s_delay_alu instid0(VALU_DEP_3) | instskip(SKIP_1) | instid1(VALU_DEP_3)
	v_mul_u32_u24_e32 v102, 0x10001, v102
	s_wait_dscnt 0x0
	v_pk_fma_f16 v13, v4, v12, v93
	v_pk_fma_f16 v14, v5, v12, v99
	;; [unrolled: 1-line block ×4, first 2 shown]
	v_mul_u32_u24_e32 v59, 0x10001, v111
	v_mul_u32_u24_e32 v111, 0x10001, v119
	s_delay_alu instid0(VALU_DEP_2) | instskip(SKIP_4) | instid1(VALU_DEP_1)
	v_pk_fma_f16 v56, v4, v59, v56
	v_pk_fma_f16 v57, v5, v59, v57
	;; [unrolled: 1-line block ×4, first 2 shown]
	v_mul_u32_u24_e32 v90, 0x10001, v113
	v_pk_fma_f16 v93, v4, v90, v94
	v_pk_fma_f16 v94, v5, v90, v95
	;; [unrolled: 1-line block ×4, first 2 shown]
	v_mul_u32_u24_e32 v91, 0x10001, v112
	v_mul_u32_u24_e32 v112, 0x10001, v121
	s_delay_alu instid0(VALU_DEP_2)
	v_pk_fma_f16 v96, v4, v91, v8
	v_pk_fma_f16 v99, v5, v91, v9
	;; [unrolled: 1-line block ×4, first 2 shown]
	ds_load_2addr_b64 v[4:7], v83 offset1:32
	v_mul_u32_u24_e32 v8, 0x10001, v114
	v_mul_u32_u24_e32 v9, 0x10001, v115
	;; [unrolled: 1-line block ×3, first 2 shown]
	s_wait_dscnt 0x0
	s_delay_alu instid0(VALU_DEP_3)
	v_pk_fma_f16 v13, v4, v8, v13
	v_pk_fma_f16 v14, v5, v8, v14
	;; [unrolled: 1-line block ×12, first 2 shown]
	ds_load_2addr_b64 v[8:11], v83 offset0:64 offset1:96
	v_pk_fma_f16 v96, v4, v110, v96
	v_pk_fma_f16 v99, v5, v110, v99
	;; [unrolled: 1-line block ×4, first 2 shown]
	ds_load_b128 v[4:7], v78 offset:384
	v_mul_u32_u24_e32 v110, 0x10001, v118
	v_mul_u32_u24_e32 v118, 0x10001, v122
	s_wait_dscnt 0x1
	v_pk_fma_f16 v56, v8, v111, v56
	v_pk_fma_f16 v57, v9, v111, v57
	;; [unrolled: 1-line block ×4, first 2 shown]
	v_mul_u32_u24_e32 v111, 0x10001, v120
	v_pk_fma_f16 v113, v8, v110, v13
	v_pk_fma_f16 v114, v9, v110, v14
	v_pk_fma_f16 v115, v10, v110, v15
	v_pk_fma_f16 v110, v11, v110, v12
	v_pk_fma_f16 v93, v8, v112, v93
	v_pk_fma_f16 v94, v9, v112, v94
	v_pk_fma_f16 v95, v10, v112, v95
	v_pk_fma_f16 v90, v11, v112, v90
	ds_load_b128 v[12:15], v78 offset:400
	v_pk_fma_f16 v8, v8, v111, v96
	v_pk_fma_f16 v9, v9, v111, v99
	;; [unrolled: 1-line block ×4, first 2 shown]
	s_wait_dscnt 0x1
	v_and_b32_e32 v91, 0xffff, v4
	v_dual_lshrrev_b32 v96, 16, v4 :: v_dual_lshrrev_b32 v100, 16, v5
	v_and_b32_e32 v99, 0xffff, v5
	v_and_b32_e32 v111, 0xffff, v6
	v_dual_lshrrev_b32 v112, 16, v6 :: v_dual_lshrrev_b32 v116, 16, v7
	v_and_b32_e32 v117, 0xffff, v7
	ds_load_2addr_b64 v[4:7], v83 offset0:128 offset1:160
	s_wait_dscnt 0x1
	v_lshrrev_b32_e32 v119, 16, v13
	v_and_b32_e32 v120, 0xffff, v14
	v_dual_lshrrev_b32 v121, 16, v14 :: v_dual_lshrrev_b32 v122, 16, v15
	s_wait_dscnt 0x0
	v_pk_fma_f16 v56, v4, v16, v56
	v_pk_fma_f16 v57, v5, v16, v57
	;; [unrolled: 1-line block ×4, first 2 shown]
	v_mul_u32_u24_e32 v59, 0x10001, v123
	v_pk_fma_f16 v113, v4, v118, v113
	v_pk_fma_f16 v114, v5, v118, v114
	v_pk_fma_f16 v115, v6, v118, v115
	v_pk_fma_f16 v110, v7, v118, v110
	v_pk_fma_f16 v93, v4, v59, v93
	v_pk_fma_f16 v94, v5, v59, v94
	v_pk_fma_f16 v95, v6, v59, v95
	v_pk_fma_f16 v59, v7, v59, v90
	v_pk_fma_f16 v8, v4, v17, v8
	v_pk_fma_f16 v9, v5, v17, v9
	v_pk_fma_f16 v10, v6, v17, v10
	v_pk_fma_f16 v11, v7, v17, v11
	ds_load_2addr_b64 v[4:7], v83 offset0:192 offset1:224
	v_and_b32_e32 v17, 0xffff, v12
	v_lshrrev_b32_e32 v90, 16, v12
	v_mul_u32_u24_e32 v12, 0x10001, v124
	v_and_b32_e32 v118, 0xffff, v13
	v_and_b32_e32 v123, 0xffff, v15
	v_mul_u32_u24_e32 v17, 0x10001, v17
	v_mul_u32_u24_e32 v90, 0x10001, v90
	s_wait_dscnt 0x0
	v_pk_fma_f16 v56, v4, v18, v56
	v_pk_fma_f16 v57, v5, v18, v57
	;; [unrolled: 1-line block ×4, first 2 shown]
	v_mul_u32_u24_e32 v18, 0x10001, v19
	v_pk_fma_f16 v13, v4, v12, v113
	v_pk_fma_f16 v14, v5, v12, v114
	;; [unrolled: 1-line block ×8, first 2 shown]
	v_mul_u32_u24_e32 v59, 0x10001, v125
	s_delay_alu instid0(VALU_DEP_1)
	v_pk_fma_f16 v95, v4, v59, v8
	v_pk_fma_f16 v110, v5, v59, v9
	;; [unrolled: 1-line block ×4, first 2 shown]
	ds_load_2addr_b64 v[4:7], v84 offset1:32
	v_mul_u32_u24_e32 v8, 0x10001, v126
	v_mul_u32_u24_e32 v9, 0x10001, v20
	;; [unrolled: 1-line block ×4, first 2 shown]
	s_wait_dscnt 0x0
	v_pk_fma_f16 v13, v4, v8, v13
	v_pk_fma_f16 v14, v5, v8, v14
	;; [unrolled: 1-line block ×12, first 2 shown]
	ds_load_2addr_b64 v[8:11], v84 offset0:64 offset1:96
	v_pk_fma_f16 v94, v4, v21, v95
	v_pk_fma_f16 v95, v5, v21, v110
	;; [unrolled: 1-line block ×4, first 2 shown]
	ds_load_b128 v[4:7], v78 offset:416
	v_mul_u32_u24_e32 v59, 0x10001, v128
	s_wait_dscnt 0x1
	v_pk_fma_f16 v20, v8, v22, v20
	v_pk_fma_f16 v56, v9, v22, v56
	;; [unrolled: 1-line block ×8, first 2 shown]
	v_mul_u32_u24_e32 v23, 0x10001, v129
	v_pk_fma_f16 v113, v8, v59, v13
	v_pk_fma_f16 v114, v9, v59, v14
	;; [unrolled: 1-line block ×4, first 2 shown]
	ds_load_b128 v[12:15], v78 offset:432
	v_pk_fma_f16 v8, v8, v23, v94
	v_pk_fma_f16 v9, v9, v23, v95
	v_pk_fma_f16 v10, v10, v23, v110
	v_pk_fma_f16 v11, v11, v23, v21
	s_wait_dscnt 0x1
	v_and_b32_e32 v21, 0xffff, v4
	v_dual_lshrrev_b32 v23, 16, v4 :: v_dual_lshrrev_b32 v94, 16, v5
	v_and_b32_e32 v93, 0xffff, v5
	v_and_b32_e32 v95, 0xffff, v6
	v_dual_lshrrev_b32 v110, 16, v6 :: v_dual_lshrrev_b32 v124, 16, v7
	v_and_b32_e32 v125, 0xffff, v7
	ds_load_2addr_b64 v[4:7], v84 offset0:128 offset1:160
	s_wait_dscnt 0x1
	v_lshrrev_b32_e32 v127, 16, v13
	v_and_b32_e32 v128, 0xffff, v14
	v_dual_lshrrev_b32 v129, 16, v14 :: v_dual_lshrrev_b32 v130, 16, v15
	s_wait_dscnt 0x0
	v_pk_fma_f16 v20, v4, v24, v20
	v_pk_fma_f16 v56, v5, v24, v56
	;; [unrolled: 1-line block ×4, first 2 shown]
	v_mul_u32_u24_e32 v24, 0x10001, v131
	v_pk_fma_f16 v113, v4, v126, v113
	v_pk_fma_f16 v114, v5, v126, v114
	;; [unrolled: 1-line block ×8, first 2 shown]
	v_mul_u32_u24_e32 v24, 0x10001, v25
	v_lshrrev_b32_e32 v25, 16, v12
	v_and_b32_e32 v126, 0xffff, v13
	v_and_b32_e32 v131, 0xffff, v15
	s_delay_alu instid0(VALU_DEP_4)
	v_pk_fma_f16 v8, v4, v24, v8
	v_pk_fma_f16 v9, v5, v24, v9
	;; [unrolled: 1-line block ×4, first 2 shown]
	ds_load_2addr_b64 v[4:7], v84 offset0:192 offset1:224
	v_and_b32_e32 v24, 0xffff, v12
	v_mul_u32_u24_e32 v12, 0x10001, v132
	s_wait_dscnt 0x0
	v_pk_fma_f16 v20, v4, v26, v20
	v_pk_fma_f16 v56, v5, v26, v56
	;; [unrolled: 1-line block ×4, first 2 shown]
	v_mul_u32_u24_e32 v26, 0x10001, v27
	v_pk_fma_f16 v13, v4, v12, v113
	v_pk_fma_f16 v14, v5, v12, v114
	v_pk_fma_f16 v15, v6, v12, v115
	v_pk_fma_f16 v12, v7, v12, v59
	v_pk_fma_f16 v19, v4, v26, v19
	v_pk_fma_f16 v22, v5, v26, v22
	v_pk_fma_f16 v27, v6, v26, v58
	v_pk_fma_f16 v18, v7, v26, v18
	v_mul_u32_u24_e32 v26, 0x10001, v133
	s_delay_alu instid0(VALU_DEP_1)
	v_pk_fma_f16 v58, v4, v26, v8
	v_pk_fma_f16 v59, v5, v26, v9
	;; [unrolled: 1-line block ×4, first 2 shown]
	ds_load_2addr_b64 v[4:7], v85 offset1:32
	v_mul_u32_u24_e32 v8, 0x10001, v52
	v_mul_u32_u24_e32 v9, 0x10001, v53
	;; [unrolled: 1-line block ×4, first 2 shown]
	s_wait_dscnt 0x0
	v_pk_fma_f16 v13, v4, v8, v13
	v_pk_fma_f16 v14, v5, v8, v14
	;; [unrolled: 1-line block ×12, first 2 shown]
	ds_load_2addr_b64 v[8:11], v85 offset0:64 offset1:96
	v_pk_fma_f16 v55, v4, v54, v58
	v_pk_fma_f16 v56, v5, v54, v59
	;; [unrolled: 1-line block ×4, first 2 shown]
	ds_load_b128 v[4:7], v78 offset:448
	v_mul_u32_u24_e32 v58, 0x10001, v97
	v_mul_u32_u24_e32 v54, 0x10001, v92
	;; [unrolled: 1-line block ×3, first 2 shown]
	s_wait_dscnt 0x1
	s_delay_alu instid0(VALU_DEP_3)
	v_pk_fma_f16 v20, v8, v58, v20
	v_pk_fma_f16 v52, v9, v58, v52
	;; [unrolled: 1-line block ×4, first 2 shown]
	v_mul_u32_u24_e32 v58, 0x10001, v98
	v_pk_fma_f16 v92, v8, v54, v13
	v_pk_fma_f16 v97, v9, v54, v14
	;; [unrolled: 1-line block ×8, first 2 shown]
	ds_load_b128 v[12:15], v78 offset:464
	v_pk_fma_f16 v8, v8, v58, v55
	v_pk_fma_f16 v9, v9, v58, v56
	;; [unrolled: 1-line block ×4, first 2 shown]
	s_wait_dscnt 0x1
	v_and_b32_e32 v26, 0xffff, v4
	v_dual_lshrrev_b32 v55, 16, v4 :: v_dual_lshrrev_b32 v57, 16, v5
	v_and_b32_e32 v56, 0xffff, v5
	v_and_b32_e32 v58, 0xffff, v6
	v_dual_lshrrev_b32 v59, 16, v6 :: v_dual_lshrrev_b32 v98, 16, v7
	v_and_b32_e32 v113, 0xffff, v7
	ds_load_2addr_b64 v[4:7], v85 offset0:128 offset1:160
	v_mul_u32_u24_e32 v26, 0x10001, v26
	v_mul_u32_u24_e32 v55, 0x10001, v55
	;; [unrolled: 1-line block ×4, first 2 shown]
	s_wait_dscnt 0x1
	v_and_b32_e32 v114, 0xffff, v14
	v_dual_lshrrev_b32 v115, 16, v14 :: v_dual_lshrrev_b32 v132, 16, v15
	v_and_b32_e32 v133, 0xffff, v15
	s_wait_dscnt 0x0
	v_pk_fma_f16 v92, v4, v102, v92
	v_pk_fma_f16 v97, v5, v102, v97
	;; [unrolled: 1-line block ×4, first 2 shown]
	v_mul_u32_u24_e32 v102, 0x10001, v103
	v_lshrrev_b32_e32 v103, 16, v12
	s_delay_alu instid0(VALU_DEP_2)
	v_pk_fma_f16 v20, v4, v102, v20
	v_pk_fma_f16 v52, v5, v102, v52
	;; [unrolled: 1-line block ×4, first 2 shown]
	v_mul_u32_u24_e32 v102, 0x10001, v104
	v_and_b32_e32 v104, 0xffff, v13
	s_delay_alu instid0(VALU_DEP_2)
	v_pk_fma_f16 v19, v4, v102, v19
	v_pk_fma_f16 v22, v5, v102, v22
	v_pk_fma_f16 v27, v6, v102, v27
	v_pk_fma_f16 v18, v7, v102, v18
	v_mul_u32_u24_e32 v102, 0x10001, v105
	v_lshrrev_b32_e32 v105, 16, v13
	s_delay_alu instid0(VALU_DEP_2)
	v_pk_fma_f16 v8, v4, v102, v8
	v_pk_fma_f16 v9, v5, v102, v9
	;; [unrolled: 1-line block ×4, first 2 shown]
	ds_load_2addr_b64 v[4:7], v85 offset0:192 offset1:224
	v_and_b32_e32 v102, 0xffff, v12
	v_mul_u32_u24_e32 v12, 0x10001, v106
	s_wait_dscnt 0x0
	s_delay_alu instid0(VALU_DEP_1) | instskip(SKIP_4) | instid1(VALU_DEP_1)
	v_pk_fma_f16 v13, v4, v12, v92
	v_pk_fma_f16 v14, v5, v12, v97
	;; [unrolled: 1-line block ×4, first 2 shown]
	v_mul_u32_u24_e32 v54, 0x10001, v107
	v_pk_fma_f16 v20, v4, v54, v20
	v_pk_fma_f16 v52, v5, v54, v52
	;; [unrolled: 1-line block ×4, first 2 shown]
	v_mul_u32_u24_e32 v54, 0x10001, v109
	s_delay_alu instid0(VALU_DEP_1) | instskip(SKIP_4) | instid1(VALU_DEP_1)
	v_pk_fma_f16 v19, v4, v54, v19
	v_pk_fma_f16 v22, v5, v54, v22
	v_pk_fma_f16 v27, v6, v54, v27
	v_pk_fma_f16 v18, v7, v54, v18
	v_mul_u32_u24_e32 v54, 0x10001, v108
	v_pk_fma_f16 v92, v4, v54, v8
	v_pk_fma_f16 v97, v5, v54, v9
	;; [unrolled: 1-line block ×4, first 2 shown]
	ds_load_2addr_b64 v[4:7], v86 offset1:32
	v_mul_u32_u24_e32 v8, 0x10001, v91
	v_mul_u32_u24_e32 v9, 0x10001, v96
	;; [unrolled: 1-line block ×6, first 2 shown]
	s_wait_dscnt 0x0
	v_pk_fma_f16 v13, v4, v8, v13
	v_pk_fma_f16 v14, v5, v8, v14
	;; [unrolled: 1-line block ×12, first 2 shown]
	ds_load_2addr_b64 v[8:11], v86 offset0:64 offset1:96
	v_pk_fma_f16 v92, v4, v91, v92
	v_pk_fma_f16 v96, v5, v91, v97
	;; [unrolled: 1-line block ×4, first 2 shown]
	ds_load_b128 v[4:7], v78 offset:480
	v_mul_u32_u24_e32 v91, 0x10001, v111
	s_wait_dscnt 0x1
	v_pk_fma_f16 v20, v8, v99, v20
	v_pk_fma_f16 v52, v9, v99, v52
	;; [unrolled: 1-line block ×4, first 2 shown]
	v_mul_u32_u24_e32 v99, 0x10001, v116
	v_pk_fma_f16 v101, v8, v91, v13
	v_pk_fma_f16 v106, v9, v91, v14
	;; [unrolled: 1-line block ×8, first 2 shown]
	ds_load_b128 v[12:15], v78 offset:496
	v_pk_fma_f16 v8, v8, v99, v92
	v_pk_fma_f16 v9, v9, v99, v96
	;; [unrolled: 1-line block ×4, first 2 shown]
	s_wait_dscnt 0x1
	v_and_b32_e32 v92, 0xffff, v4
	v_dual_lshrrev_b32 v96, 16, v4 :: v_dual_lshrrev_b32 v99, 16, v5
	v_and_b32_e32 v97, 0xffff, v5
	v_and_b32_e32 v100, 0xffff, v6
	v_dual_lshrrev_b32 v108, 16, v6 :: v_dual_lshrrev_b32 v109, 16, v7
	v_and_b32_e32 v111, 0xffff, v7
	ds_load_2addr_b64 v[4:7], v86 offset0:128 offset1:160
	v_mul_u32_u24_e32 v92, 0x10001, v92
	v_mul_u32_u24_e32 v96, 0x10001, v96
	;; [unrolled: 1-line block ×6, first 2 shown]
	s_wait_dscnt 0x1
	v_lshrrev_b32_e32 v112, 16, v13
	v_and_b32_e32 v116, 0xffff, v14
	v_lshrrev_b32_e32 v117, 16, v14
	v_mul_u32_u24_e32 v111, 0x10001, v111
	v_mul_u32_u24_e32 v109, 0x10001, v109
	;; [unrolled: 1-line block ×4, first 2 shown]
	s_wait_dscnt 0x0
	v_pk_fma_f16 v20, v4, v90, v20
	v_pk_fma_f16 v52, v5, v90, v52
	;; [unrolled: 1-line block ×4, first 2 shown]
	v_mul_u32_u24_e32 v90, 0x10001, v118
	v_pk_fma_f16 v54, v4, v17, v101
	v_pk_fma_f16 v101, v5, v17, v106
	;; [unrolled: 1-line block ×8, first 2 shown]
	v_mul_u32_u24_e32 v90, 0x10001, v119
	v_lshrrev_b32_e32 v91, 16, v12
	v_and_b32_e32 v107, 0xffff, v13
	v_lshrrev_b32_e32 v118, 16, v15
	v_and_b32_e32 v119, 0xffff, v15
	v_pk_fma_f16 v8, v4, v90, v8
	v_pk_fma_f16 v9, v5, v90, v9
	;; [unrolled: 1-line block ×4, first 2 shown]
	ds_load_2addr_b64 v[4:7], v86 offset0:192 offset1:224
	v_and_b32_e32 v90, 0xffff, v12
	v_mul_u32_u24_e32 v12, 0x10001, v120
	v_mul_u32_u24_e32 v120, 0x10001, v127
	;; [unrolled: 1-line block ×8, first 2 shown]
	s_wait_dscnt 0x0
	v_pk_fma_f16 v13, v4, v12, v54
	v_pk_fma_f16 v14, v5, v12, v101
	;; [unrolled: 1-line block ×4, first 2 shown]
	v_mul_u32_u24_e32 v17, 0x10001, v121
	v_mul_u32_u24_e32 v121, 0x10001, v129
	s_delay_alu instid0(VALU_DEP_2) | instskip(SKIP_4) | instid1(VALU_DEP_1)
	v_pk_fma_f16 v20, v4, v17, v20
	v_pk_fma_f16 v52, v5, v17, v52
	;; [unrolled: 1-line block ×4, first 2 shown]
	v_mul_u32_u24_e32 v17, 0x10001, v123
	v_pk_fma_f16 v19, v4, v17, v19
	v_pk_fma_f16 v22, v5, v17, v22
	;; [unrolled: 1-line block ×4, first 2 shown]
	v_mul_u32_u24_e32 v18, 0x10001, v122
	v_mul_u32_u24_e32 v122, 0x10001, v131
	s_delay_alu instid0(VALU_DEP_2)
	v_pk_fma_f16 v54, v4, v18, v8
	v_pk_fma_f16 v101, v5, v18, v9
	;; [unrolled: 1-line block ×4, first 2 shown]
	ds_load_2addr_b64 v[4:7], v87 offset1:32
	v_mul_u32_u24_e32 v8, 0x10001, v21
	v_mul_u32_u24_e32 v9, 0x10001, v23
	v_mul_u32_u24_e32 v10, 0x10001, v93
	s_wait_dscnt 0x0
	s_delay_alu instid0(VALU_DEP_3)
	v_pk_fma_f16 v13, v4, v8, v13
	v_pk_fma_f16 v14, v5, v8, v14
	v_pk_fma_f16 v15, v6, v8, v15
	v_pk_fma_f16 v12, v7, v8, v12
	v_pk_fma_f16 v20, v4, v9, v20
	v_pk_fma_f16 v21, v5, v9, v52
	v_pk_fma_f16 v23, v6, v9, v53
	v_pk_fma_f16 v16, v7, v9, v16
	v_pk_fma_f16 v19, v4, v10, v19
	v_pk_fma_f16 v22, v5, v10, v22
	v_pk_fma_f16 v27, v6, v10, v27
	v_pk_fma_f16 v17, v7, v10, v17
	ds_load_2addr_b64 v[8:11], v87 offset0:64 offset1:96
	v_mul_u32_u24_e32 v52, 0x10001, v94
	v_mul_u32_u24_e32 v94, 0x10001, v110
	s_delay_alu instid0(VALU_DEP_2)
	v_pk_fma_f16 v53, v4, v52, v54
	v_pk_fma_f16 v54, v5, v52, v101
	v_pk_fma_f16 v93, v6, v52, v106
	v_pk_fma_f16 v18, v7, v52, v18
	ds_load_2addr_b64 v[4:7], v87 offset0:128 offset1:160
	v_mul_u32_u24_e32 v52, 0x10001, v95
	v_mul_u32_u24_e32 v95, 0x10001, v125
	s_wait_dscnt 0x1
	s_delay_alu instid0(VALU_DEP_2)
	v_pk_fma_f16 v101, v8, v52, v13
	v_pk_fma_f16 v106, v9, v52, v14
	v_pk_fma_f16 v110, v10, v52, v15
	v_pk_fma_f16 v52, v11, v52, v12
	ds_load_2addr_b64 v[12:15], v87 offset0:192 offset1:224
	v_pk_fma_f16 v20, v8, v94, v20
	v_pk_fma_f16 v21, v9, v94, v21
	v_pk_fma_f16 v23, v10, v94, v23
	v_pk_fma_f16 v16, v11, v94, v16
	v_mul_u32_u24_e32 v94, 0x10001, v124
	v_pk_fma_f16 v19, v8, v95, v19
	v_pk_fma_f16 v22, v9, v95, v22
	;; [unrolled: 1-line block ×8, first 2 shown]
	ds_load_2addr_b64 v[8:11], v88 offset1:32
	v_mul_u32_u24_e32 v18, 0x10001, v24
	v_mul_u32_u24_e32 v24, 0x10001, v25
	;; [unrolled: 1-line block ×3, first 2 shown]
	s_wait_dscnt 0x2
	v_pk_fma_f16 v53, v4, v120, v53
	v_pk_fma_f16 v54, v5, v120, v54
	;; [unrolled: 1-line block ×14, first 2 shown]
	ds_load_2addr_b64 v[16:19], v88 offset0:64 offset1:96
	v_pk_fma_f16 v93, v6, v120, v93
	v_pk_fma_f16 v94, v7, v120, v94
	v_mul_u32_u24_e32 v120, 0x10001, v128
	s_wait_dscnt 0x2
	v_pk_fma_f16 v123, v13, v121, v21
	v_pk_fma_f16 v124, v14, v121, v23
	;; [unrolled: 1-line block ×12, first 2 shown]
	v_mul_u32_u24_e32 v122, 0x10001, v130
	ds_load_2addr_b64 v[4:7], v88 offset0:128 offset1:160
	ds_load_2addr_b64 v[20:23], v88 offset0:192 offset1:224
	s_wait_dscnt 0x3
	v_pk_fma_f16 v95, v8, v26, v95
	v_pk_fma_f16 v106, v10, v26, v106
	;; [unrolled: 1-line block ×15, first 2 shown]
	v_mul_u32_u24_e32 v53, 0x10001, v58
	v_mul_u32_u24_e32 v54, 0x10001, v59
	;; [unrolled: 1-line block ×3, first 2 shown]
	ds_load_2addr_b64 v[12:15], v89 offset1:32
	v_pk_fma_f16 v101, v9, v26, v101
	v_pk_fma_f16 v52, v11, v26, v52
	;; [unrolled: 1-line block ×5, first 2 shown]
	s_wait_dscnt 0x3
	v_pk_fma_f16 v59, v16, v53, v95
	v_pk_fma_f16 v95, v18, v53, v106
	;; [unrolled: 1-line block ×8, first 2 shown]
	v_mul_u32_u24_e32 v58, 0x10001, v98
	ds_load_2addr_b64 v[24:27], v89 offset0:64 offset1:96
	v_pk_fma_f16 v94, v17, v53, v101
	v_pk_fma_f16 v101, v19, v53, v52
	;; [unrolled: 1-line block ×4, first 2 shown]
	v_mul_u32_u24_e32 v98, 0x10001, v102
	v_mul_u32_u24_e32 v102, 0x10001, v103
	;; [unrolled: 1-line block ×4, first 2 shown]
	v_pk_fma_f16 v16, v16, v58, v125
	v_pk_fma_f16 v17, v17, v58, v126
	;; [unrolled: 1-line block ×4, first 2 shown]
	ds_load_2addr_b64 v[8:11], v89 offset0:128 offset1:160
	v_mul_u32_u24_e32 v105, 0x10001, v114
	v_mul_u32_u24_e32 v114, 0x10001, v115
	;; [unrolled: 1-line block ×4, first 2 shown]
	s_wait_dscnt 0x4
	v_pk_fma_f16 v57, v4, v98, v59
	v_pk_fma_f16 v58, v5, v98, v94
	v_pk_fma_f16 v59, v6, v98, v95
	v_pk_fma_f16 v93, v7, v98, v101
	v_pk_fma_f16 v94, v4, v102, v106
	v_pk_fma_f16 v95, v5, v102, v113
	v_pk_fma_f16 v98, v6, v102, v120
	v_pk_fma_f16 v101, v7, v102, v122
	v_pk_fma_f16 v102, v4, v103, v110
	v_pk_fma_f16 v106, v5, v103, v121
	v_pk_fma_f16 v110, v6, v103, v123
	v_pk_fma_f16 v56, v7, v103, v56
	v_pk_fma_f16 v4, v4, v104, v16
	v_pk_fma_f16 v5, v5, v104, v17
	v_pk_fma_f16 v6, v6, v104, v18
	v_pk_fma_f16 v7, v7, v104, v19
	ds_load_2addr_b64 v[52:55], v89 offset0:192 offset1:224
	s_wait_dscnt 0x0
	s_barrier_signal -1
	s_barrier_wait -1
	s_load_b32 s2, s[42:43], 0x4
	v_pk_fma_f16 v16, v20, v105, v57
	v_pk_fma_f16 v17, v21, v105, v58
	;; [unrolled: 1-line block ×64, first 2 shown]
	s_wait_kmcnt 0x0
	s_lshl_b32 s2, s2, 6
	v_pk_fma_f16 v102, v52, v116, v12
	v_pk_fma_f16 v105, v53, v116, v13
	;; [unrolled: 1-line block ×16, first 2 shown]
	s_add_co_i32 s14, s2, s14
	s_delay_alu instid0(SALU_CYCLE_1)
	s_cmp_ge_i32 s14, s34
	s_cbranch_scc0 .LBB13_9
; %bb.10:
	v_dual_mov_b32 v4, 32 :: v_dual_mov_b32 v5, v65
.LBB13_11:
	s_delay_alu instid0(VALU_DEP_1)
	v_cmp_lt_i32_e32 vcc_lo, v70, v4
	s_cmp_lg_u64 s[16:17], 0
	s_cselect_b32 s2, -1, 0
	s_cmp_eq_u32 s33, 0
	v_cndmask_b32_e32 v6, v5, v70, vcc_lo
	v_cmp_lt_i32_e32 vcc_lo, v69, v4
	s_cselect_b32 s3, -1, 0
	s_delay_alu instid0(SALU_CYCLE_1)
	s_and_b32 s2, s3, s2
	v_cndmask_b32_e32 v10, v5, v69, vcc_lo
	v_cmp_lt_i32_e32 vcc_lo, v68, v4
	v_dual_cndmask_b32 v14, v5, v68 :: v_dual_lshlrev_b32 v9, 2, v6
	ds_bpermute_b32 v6, v9, v30
	ds_bpermute_b32 v7, v9, v31
	ds_bpermute_b32 v8, v9, v28
	ds_bpermute_b32 v9, v9, v29
	v_cmp_lt_i32_e32 vcc_lo, v67, v4
	v_lshlrev_b32_e32 v13, 2, v10
	v_lshlrev_b32_e32 v14, 2, v14
	s_wait_dscnt 0x2
	v_pk_add_f32 v[6:7], v[30:31], v[6:7]
	s_wait_dscnt 0x0
	v_pk_add_f32 v[8:9], v[28:29], v[8:9]
	ds_bpermute_b32 v10, v13, v6
	ds_bpermute_b32 v11, v13, v7
	;; [unrolled: 1-line block ×4, first 2 shown]
	s_wait_dscnt 0x2
	v_pk_add_f32 v[6:7], v[6:7], v[10:11]
	s_wait_dscnt 0x0
	v_pk_add_f32 v[8:9], v[8:9], v[12:13]
	ds_bpermute_b32 v10, v14, v6
	ds_bpermute_b32 v11, v14, v7
	;; [unrolled: 1-line block ×4, first 2 shown]
	v_cndmask_b32_e32 v14, v5, v67, vcc_lo
	v_cmp_lt_i32_e32 vcc_lo, v66, v4
	s_delay_alu instid0(VALU_DEP_2)
	v_lshlrev_b32_e32 v14, 2, v14
	v_cndmask_b32_e32 v4, v5, v66, vcc_lo
	s_and_b32 vcc_lo, exec_lo, s2
	s_wait_dscnt 0x2
	v_pk_add_f32 v[6:7], v[6:7], v[10:11]
	s_wait_dscnt 0x0
	v_pk_add_f32 v[8:9], v[8:9], v[12:13]
	ds_bpermute_b32 v10, v14, v6
	ds_bpermute_b32 v11, v14, v7
	;; [unrolled: 1-line block ×4, first 2 shown]
	v_lshlrev_b32_e32 v14, 2, v4
	s_wait_dscnt 0x2
	v_pk_add_f32 v[4:5], v[6:7], v[10:11]
	s_wait_dscnt 0x0
	v_pk_add_f32 v[8:9], v[8:9], v[12:13]
	ds_bpermute_b32 v6, v14, v4
	ds_bpermute_b32 v7, v14, v5
	;; [unrolled: 1-line block ×4, first 2 shown]
	s_wait_dscnt 0x2
	v_pk_add_f32 v[6:7], v[4:5], v[6:7]
	s_wait_dscnt 0x0
	v_pk_add_f32 v[4:5], v[8:9], v[10:11]
	s_cbranch_vccz .LBB13_13
; %bb.12:
	s_ashr_i32 s31, s30, 31
	v_dual_mov_b32 v8, 0 :: v_dual_max_num_f32 v12, v0, v0
	s_lshl_b64 s[2:3], s[30:31], 2
	v_dual_max_num_f32 v13, v1, v1 :: v_dual_max_num_f32 v14, v2, v2
	s_add_nc_u64 s[2:3], s[16:17], s[2:3]
	v_max_num_f32_e32 v16, v3, v3
	global_load_b128 v[8:11], v8, s[2:3]
	s_wait_loadcnt 0x0
	v_dual_max_num_f32 v15, v8, v8 :: v_dual_max_num_f32 v17, v9, v9
	v_dual_max_num_f32 v18, v10, v10 :: v_dual_max_num_f32 v19, v11, v11
	s_delay_alu instid0(VALU_DEP_2) | instskip(NEXT) | instid1(VALU_DEP_2)
	v_dual_max_num_f32 v12, v12, v15 :: v_dual_max_num_f32 v13, v13, v17
	v_dual_max_num_f32 v14, v14, v18 :: v_dual_max_num_f32 v15, v16, v19
	s_delay_alu instid0(VALU_DEP_2) | instskip(NEXT) | instid1(VALU_DEP_2)
	v_dual_sub_f32 v0, v0, v12 :: v_dual_sub_f32 v9, v9, v13
	v_dual_sub_f32 v8, v8, v12 :: v_dual_sub_f32 v16, v2, v14
	s_delay_alu instid0(VALU_DEP_3) | instskip(NEXT) | instid1(VALU_DEP_3)
	v_dual_sub_f32 v1, v1, v13 :: v_dual_sub_f32 v11, v11, v15
	v_mul_f32_e32 v2, 0x3fb8aa3b, v0
	v_dual_sub_f32 v10, v10, v14 :: v_dual_sub_f32 v17, v3, v15
	s_delay_alu instid0(VALU_DEP_3) | instskip(SKIP_1) | instid1(VALU_DEP_4)
	v_dual_mul_f32 v3, 0x3fb8aa3b, v8 :: v_dual_mul_f32 v18, 0x3fb8aa3b, v1
	v_dual_mul_f32 v19, 0x3fb8aa3b, v9 :: v_dual_mul_f32 v20, 0x3fb8aa3b, v16
	v_fma_f32 v24, 0x3fb8aa3b, v0, -v2
	v_rndne_f32_e32 v25, v2
	v_mul_f32_e32 v23, 0x3fb8aa3b, v11
	v_fma_f32 v26, 0x3fb8aa3b, v8, -v3
	v_rndne_f32_e32 v27, v3
	v_fma_f32 v30, 0x3fb8aa3b, v9, -v19
	v_rndne_f32_e32 v31, v19
	v_rndne_f32_e32 v33, v20
	s_delay_alu instid0(VALU_DEP_4) | instskip(SKIP_4) | instid1(VALU_DEP_4)
	v_dual_fmac_f32 v24, 0x32a5705f, v0 :: v_dual_sub_f32 v3, v3, v27
	v_sub_f32_e32 v2, v2, v25
	v_fma_f32 v32, 0x3fb8aa3b, v16, -v20
	v_dual_fmac_f32 v26, 0x32a5705f, v8 :: v_dual_sub_f32 v19, v19, v31
	v_fmac_f32_e32 v30, 0x32a5705f, v9
	v_dual_sub_f32 v20, v20, v33 :: v_dual_add_f32 v2, v2, v24
	v_dual_mul_f32 v21, 0x3fb8aa3b, v10 :: v_dual_mul_f32 v22, 0x3fb8aa3b, v17
	v_fma_f32 v28, 0x3fb8aa3b, v1, -v18
	v_rndne_f32_e32 v29, v18
	v_dual_add_f32 v3, v3, v26 :: v_dual_fmac_f32 v32, 0x32a5705f, v16
	v_add_f32_e32 v19, v19, v30
	v_exp_f32_e32 v2, v2
	v_rndne_f32_e32 v35, v21
	v_rndne_f32_e32 v39, v23
	v_cvt_i32_f32_e32 v25, v25
	v_fmac_f32_e32 v28, 0x32a5705f, v1
	v_sub_f32_e32 v18, v18, v29
	v_exp_f32_e32 v3, v3
	v_exp_f32_e32 v19, v19
	v_fma_f32 v34, 0x3fb8aa3b, v10, -v21
	v_fma_f32 v38, 0x3fb8aa3b, v11, -v23
	v_cvt_i32_f32_e32 v27, v27
	v_cvt_i32_f32_e32 v31, v31
	v_sub_f32_e32 v21, v21, v35
	v_dual_sub_f32 v23, v23, v39 :: v_dual_add_f32 v18, v18, v28
	v_ldexp_f32 v2, v2, v25
	v_cmp_ngt_f32_e32 vcc_lo, 0xc2ce8ed0, v0
	v_fma_f32 v36, 0x3fb8aa3b, v17, -v22
	v_rndne_f32_e32 v37, v22
	v_exp_f32_e32 v18, v18
	v_ldexp_f32 v3, v3, v27
	v_ldexp_f32 v19, v19, v31
	v_cndmask_b32_e32 v2, 0, v2, vcc_lo
	v_cmp_ngt_f32_e32 vcc_lo, 0xc2ce8ed0, v8
	v_cvt_i32_f32_e32 v29, v29
	v_fmac_f32_e32 v34, 0x32a5705f, v10
	v_dual_sub_f32 v22, v22, v37 :: v_dual_add_f32 v20, v20, v32
	v_dual_cndmask_b32 v3, 0, v3 :: v_dual_fmac_f32 v36, 0x32a5705f, v17
	s_delay_alu instid0(VALU_DEP_3)
	v_add_f32_e32 v21, v21, v34
	v_ldexp_f32 v18, v18, v29
	v_cmp_ngt_f32_e32 vcc_lo, 0xc2ce8ed0, v1
	v_exp_f32_e32 v20, v20
	v_add_f32_e32 v22, v22, v36
	v_cvt_i32_f32_e32 v33, v33
	v_exp_f32_e32 v21, v21
	v_cndmask_b32_e32 v18, 0, v18, vcc_lo
	v_cmp_ngt_f32_e32 vcc_lo, 0xc2ce8ed0, v9
	v_exp_f32_e32 v22, v22
	v_cvt_i32_f32_e32 v35, v35
	v_cvt_i32_f32_e32 v37, v37
	v_ldexp_f32 v20, v20, v33
	v_cndmask_b32_e32 v19, 0, v19, vcc_lo
	v_cmp_ngt_f32_e32 vcc_lo, 0xc2ce8ed0, v16
	v_ldexp_f32 v21, v21, v35
	v_ldexp_f32 v22, v22, v37
	v_cvt_i32_f32_e32 v39, v39
	v_cndmask_b32_e32 v20, 0, v20, vcc_lo
	v_cmp_ngt_f32_e32 vcc_lo, 0xc2ce8ed0, v10
	v_dual_fmac_f32 v38, 0x32a5705f, v11 :: v_dual_cndmask_b32 v21, 0, v21
	s_delay_alu instid0(VALU_DEP_1) | instskip(SKIP_1) | instid1(VALU_DEP_2)
	v_add_f32_e32 v23, v23, v38
	v_cmp_ngt_f32_e32 vcc_lo, 0xc2ce8ed0, v17
	v_exp_f32_e32 v23, v23
	v_cndmask_b32_e32 v22, 0, v22, vcc_lo
	v_cmp_ngt_f32_e32 vcc_lo, 0xc2ce8ed0, v11
	s_delay_alu instid0(TRANS32_DEP_1) | instskip(NEXT) | instid1(VALU_DEP_1)
	v_ldexp_f32 v23, v23, v39
	v_cndmask_b32_e32 v23, 0, v23, vcc_lo
	v_cmp_nlt_f32_e32 vcc_lo, 0x42b17218, v0
	v_cndmask_b32_e32 v0, 0x7f800000, v2, vcc_lo
	v_cmp_nlt_f32_e32 vcc_lo, 0x42b17218, v8
	;; [unrolled: 2-line block ×5, first 2 shown]
	v_cvt_f16_f32_e32 v16, v0
	s_delay_alu instid0(VALU_DEP_3) | instskip(SKIP_2) | instid1(VALU_DEP_4)
	v_pk_fma_f32 v[6:7], v[6:7], v[0:1], v[2:3]
	v_cndmask_b32_e32 v8, 0x7f800000, v20, vcc_lo
	v_cmp_nlt_f32_e32 vcc_lo, 0x42b17218, v10
	v_and_b32_e32 v16, 0xffff, v16
	s_delay_alu instid0(VALU_DEP_3)
	v_cvt_f16_f32_e32 v18, v8
	v_cndmask_b32_e32 v10, 0x7f800000, v21, vcc_lo
	v_cmp_nlt_f32_e32 vcc_lo, 0x42b17218, v17
	v_cvt_f16_f32_e32 v17, v1
	v_mul_u32_u24_e32 v3, 0x10001, v16
	v_and_b32_e32 v1, 0xffff, v18
	v_cndmask_b32_e32 v9, 0x7f800000, v22, vcc_lo
	s_delay_alu instid0(VALU_DEP_4) | instskip(SKIP_1) | instid1(VALU_DEP_4)
	v_and_b32_e32 v0, 0xffff, v17
	v_cmp_nlt_f32_e32 vcc_lo, 0x42b17218, v11
	v_mul_u32_u24_e32 v1, 0x10001, v1
	v_pk_mul_f16 v102, v102, v3
	v_cvt_f16_f32_e32 v19, v9
	v_mul_u32_u24_e32 v0, 0x10001, v0
	v_cndmask_b32_e32 v11, 0x7f800000, v23, vcc_lo
	v_pk_mul_f16 v105, v105, v3
	v_pk_mul_f16 v104, v104, v3
	v_and_b32_e32 v2, 0xffff, v19
	v_pk_mul_f16 v103, v103, v3
	v_pk_mul_f16 v98, v98, v0
	v_pk_mul_f16 v101, v101, v0
	v_pk_mul_f16 v100, v100, v0
	v_mul_u32_u24_e32 v2, 0x10001, v2
	v_pk_mul_f16 v99, v99, v0
	v_pk_mul_f16 v95, v95, v1
	;; [unrolled: 1-line block ×9, first 2 shown]
	v_mov_b64_e32 v[0:1], v[12:13]
	v_mov_b64_e32 v[2:3], v[14:15]
	v_pk_fma_f32 v[4:5], v[4:5], v[8:9], v[10:11]
.LBB13_13:
	s_mov_b32 s2, exec_lo
	v_cmpx_gt_i32_e64 s26, v61
	s_cbranch_execz .LBB13_30
; %bb.14:
	s_load_b32 s0, s[0:1], 0xd4
	v_mov_b32_e32 v8, 1.0
	s_wait_kmcnt 0x0
	s_cmp_lg_u32 s0, 1
	s_cselect_b32 s1, -1, 0
	s_cmp_eq_u32 s0, 1
	s_cselect_b32 s2, -1, 0
	s_and_b32 vcc_lo, exec_lo, s1
	s_cbranch_vccnz .LBB13_16
; %bb.15:
	v_div_scale_f32 v8, null, v6, v6, 1.0
	s_delay_alu instid0(VALU_DEP_1) | instskip(SKIP_1) | instid1(TRANS32_DEP_1)
	v_rcp_f32_e32 v9, v8
	v_nop
	v_fma_f32 v10, -v8, v9, 1.0
	s_delay_alu instid0(VALU_DEP_1) | instskip(SKIP_1) | instid1(VALU_DEP_1)
	v_fmac_f32_e32 v9, v10, v9
	v_div_scale_f32 v10, vcc_lo, 1.0, v6, 1.0
	v_mul_f32_e32 v11, v10, v9
	s_delay_alu instid0(VALU_DEP_1) | instskip(NEXT) | instid1(VALU_DEP_1)
	v_fma_f32 v12, -v8, v11, v10
	v_fmac_f32_e32 v11, v12, v9
	s_delay_alu instid0(VALU_DEP_1) | instskip(NEXT) | instid1(VALU_DEP_1)
	v_fma_f32 v8, -v8, v11, v10
	v_div_fmas_f32 v8, v8, v9, v11
	s_delay_alu instid0(VALU_DEP_1)
	v_div_fixup_f32 v8, v8, v6, 1.0
.LBB13_16:
	v_mad_u32 v9, s28, s26, v61
	v_dual_mov_b32 v17, 0 :: v_dual_lshrrev_b32 v11, 16, v102
	v_dual_lshrrev_b32 v13, 16, v105 :: v_dual_lshrrev_b32 v15, 16, v104
	v_lshrrev_b32_e32 v19, 16, v103
	v_cvt_f32_f16_e32 v10, v102
	v_cvt_f32_f16_e32 v12, v105
	;; [unrolled: 1-line block ×5, first 2 shown]
	v_mad_u32 v9, v9, s27, s30
	v_cvt_f32_f16_e32 v18, v103
	v_cvt_f32_f16_e32 v15, v15
	;; [unrolled: 1-line block ×3, first 2 shown]
	v_cmp_eq_u32_e32 vcc_lo, 0, v62
	s_and_b32 s1, vcc_lo, s1
	v_mad_u32 v9, s0, v9, s33
	s_delay_alu instid0(VALU_DEP_1) | instskip(SKIP_3) | instid1(VALU_DEP_4)
	v_lshl_add_u32 v16, v9, 8, v60
	v_pk_mul_f32 v[10:11], v[8:9], v[10:11] op_sel_hi:[0,1]
	v_pk_mul_f32 v[12:13], v[8:9], v[12:13] op_sel_hi:[0,1]
	;; [unrolled: 1-line block ×3, first 2 shown]
	v_lshl_add_u64 v[20:21], v[16:17], 2, s[20:21]
	v_add_nc_u32_e32 v16, 0x80, v16
	s_delay_alu instid0(VALU_DEP_1)
	v_lshl_add_u64 v[22:23], v[16:17], 2, s[20:21]
	v_pk_mul_f32 v[16:17], v[8:9], v[18:19] op_sel_hi:[0,1]
	s_clause 0x1
	global_store_b128 v[20:21], v[10:13], off
	global_store_b128 v[22:23], v[14:17], off
	s_wait_xcnt 0x0
	s_and_saveexec_b32 s3, s1
	s_cbranch_execz .LBB13_18
; %bb.17:
	v_dual_mov_b32 v10, v0 :: v_dual_mov_b32 v11, v6
	global_store_b64 v9, v[10:11], s[22:23] scale_offset
.LBB13_18:
	s_wait_xcnt 0x0
	s_or_b32 exec_lo, exec_lo, s3
	v_cndmask_b32_e64 v8, 0, 1, s2
	v_mov_b32_e32 v0, 1.0
	s_and_not1_b32 vcc_lo, exec_lo, s2
	s_cbranch_vccnz .LBB13_20
; %bb.19:
	v_div_scale_f32 v0, null, v7, v7, 1.0
	s_delay_alu instid0(VALU_DEP_1) | instskip(SKIP_1) | instid1(TRANS32_DEP_1)
	v_rcp_f32_e32 v6, v0
	v_nop
	v_fma_f32 v10, -v0, v6, 1.0
	s_delay_alu instid0(VALU_DEP_1) | instskip(SKIP_1) | instid1(VALU_DEP_1)
	v_fmac_f32_e32 v6, v10, v6
	v_div_scale_f32 v10, vcc_lo, 1.0, v7, 1.0
	v_mul_f32_e32 v11, v10, v6
	s_delay_alu instid0(VALU_DEP_1) | instskip(NEXT) | instid1(VALU_DEP_1)
	v_fma_f32 v12, -v0, v11, v10
	v_fmac_f32_e32 v11, v12, v6
	s_delay_alu instid0(VALU_DEP_1) | instskip(NEXT) | instid1(VALU_DEP_1)
	v_fma_f32 v0, -v0, v11, v10
	v_div_fmas_f32 v0, v0, v6, v11
	s_delay_alu instid0(VALU_DEP_1)
	v_div_fixup_f32 v0, v0, v7, 1.0
.LBB13_20:
	v_dual_add_nc_u32 v9, s0, v9 :: v_dual_mov_b32 v15, 0
	v_dual_lshrrev_b32 v6, 16, v98 :: v_dual_lshrrev_b32 v12, 16, v101
	v_dual_lshrrev_b32 v16, 16, v100 :: v_dual_lshrrev_b32 v20, 16, v99
	s_delay_alu instid0(VALU_DEP_3) | instskip(SKIP_1) | instid1(VALU_DEP_4)
	v_lshl_add_u32 v14, v9, 8, v60
	v_cvt_f32_f16_e32 v10, v98
	v_cvt_f32_f16_e32 v11, v6
	;; [unrolled: 1-line block ×4, first 2 shown]
	v_lshl_add_u64 v[18:19], v[14:15], 2, s[20:21]
	v_add_nc_u32_e32 v14, 0x80, v14
	v_cvt_f32_f16_e32 v17, v16
	v_cvt_f32_f16_e32 v16, v100
	;; [unrolled: 1-line block ×4, first 2 shown]
	v_pk_mul_f32 v[10:11], v[0:1], v[10:11] op_sel_hi:[0,1]
	v_pk_mul_f32 v[12:13], v[0:1], v[12:13] op_sel_hi:[0,1]
	v_lshl_add_u64 v[22:23], v[14:15], 2, s[20:21]
	v_pk_mul_f32 v[14:15], v[0:1], v[16:17] op_sel_hi:[0,1]
	v_pk_mul_f32 v[16:17], v[0:1], v[20:21] op_sel_hi:[0,1]
	s_clause 0x1
	global_store_b128 v[18:19], v[10:13], off
	global_store_b128 v[22:23], v[14:17], off
	s_wait_xcnt 0x0
	s_and_saveexec_b32 s2, s1
	s_cbranch_execz .LBB13_22
; %bb.21:
	v_mov_b32_e32 v6, v1
	global_store_b64 v9, v[6:7], s[22:23] scale_offset
.LBB13_22:
	s_wait_xcnt 0x0
	s_or_b32 exec_lo, exec_lo, s2
	v_cmp_ne_u32_e32 vcc_lo, 1, v8
	v_mov_b32_e32 v0, 1.0
	s_cbranch_vccnz .LBB13_24
; %bb.23:
	v_div_scale_f32 v0, null, v4, v4, 1.0
	s_delay_alu instid0(VALU_DEP_1) | instskip(SKIP_1) | instid1(TRANS32_DEP_1)
	v_rcp_f32_e32 v1, v0
	v_nop
	v_fma_f32 v6, -v0, v1, 1.0
	s_delay_alu instid0(VALU_DEP_1) | instskip(SKIP_1) | instid1(VALU_DEP_1)
	v_fmac_f32_e32 v1, v6, v1
	v_div_scale_f32 v6, vcc_lo, 1.0, v4, 1.0
	v_mul_f32_e32 v7, v6, v1
	s_delay_alu instid0(VALU_DEP_1) | instskip(NEXT) | instid1(VALU_DEP_1)
	v_fma_f32 v10, -v0, v7, v6
	v_fmac_f32_e32 v7, v10, v1
	s_delay_alu instid0(VALU_DEP_1) | instskip(NEXT) | instid1(VALU_DEP_1)
	v_fma_f32 v0, -v0, v7, v6
	v_div_fmas_f32 v0, v0, v1, v7
	s_delay_alu instid0(VALU_DEP_1)
	v_div_fixup_f32 v0, v0, v4, 1.0
.LBB13_24:
	v_dual_add_nc_u32 v1, s0, v9 :: v_dual_mov_b32 v7, 0
	v_dual_lshrrev_b32 v9, 16, v95 :: v_dual_lshrrev_b32 v12, 16, v97
	v_dual_lshrrev_b32 v14, 16, v96 :: v_dual_lshrrev_b32 v16, 16, v94
	s_delay_alu instid0(VALU_DEP_3) | instskip(SKIP_1) | instid1(VALU_DEP_4)
	v_lshl_add_u32 v6, v1, 8, v60
	v_cvt_f32_f16_e32 v10, v95
	v_cvt_f32_f16_e32 v11, v9
	;; [unrolled: 1-line block ×4, first 2 shown]
	v_lshl_add_u64 v[18:19], v[6:7], 2, s[20:21]
	v_add_nc_u32_e32 v6, 0x80, v6
	v_cvt_f32_f16_e32 v15, v14
	v_cvt_f32_f16_e32 v14, v96
	;; [unrolled: 1-line block ×4, first 2 shown]
	v_pk_mul_f32 v[10:11], v[0:1], v[10:11] op_sel_hi:[0,1]
	v_pk_mul_f32 v[12:13], v[0:1], v[12:13] op_sel_hi:[0,1]
	v_lshl_add_u64 v[6:7], v[6:7], 2, s[20:21]
	v_pk_mul_f32 v[14:15], v[0:1], v[14:15] op_sel_hi:[0,1]
	v_pk_mul_f32 v[16:17], v[0:1], v[16:17] op_sel_hi:[0,1]
	s_clause 0x1
	global_store_b128 v[18:19], v[10:13], off
	global_store_b128 v[6:7], v[14:17], off
	s_wait_xcnt 0x0
	s_and_saveexec_b32 s2, s1
	s_cbranch_execz .LBB13_26
; %bb.25:
	v_dual_mov_b32 v6, v2 :: v_dual_mov_b32 v7, v4
	global_store_b64 v1, v[6:7], s[22:23] scale_offset
.LBB13_26:
	s_wait_xcnt 0x0
	s_or_b32 exec_lo, exec_lo, s2
	v_cmp_ne_u32_e32 vcc_lo, 1, v8
	v_mov_b32_e32 v0, 1.0
	s_cbranch_vccnz .LBB13_28
; %bb.27:
	v_div_scale_f32 v0, null, v5, v5, 1.0
	s_delay_alu instid0(VALU_DEP_1) | instskip(SKIP_1) | instid1(TRANS32_DEP_1)
	v_rcp_f32_e32 v2, v0
	v_nop
	v_fma_f32 v4, -v0, v2, 1.0
	s_delay_alu instid0(VALU_DEP_1) | instskip(SKIP_1) | instid1(VALU_DEP_1)
	v_fmac_f32_e32 v2, v4, v2
	v_div_scale_f32 v4, vcc_lo, 1.0, v5, 1.0
	v_mul_f32_e32 v6, v4, v2
	s_delay_alu instid0(VALU_DEP_1) | instskip(NEXT) | instid1(VALU_DEP_1)
	v_fma_f32 v7, -v0, v6, v4
	v_fmac_f32_e32 v6, v7, v2
	s_delay_alu instid0(VALU_DEP_1) | instskip(NEXT) | instid1(VALU_DEP_1)
	v_fma_f32 v0, -v0, v6, v4
	v_div_fmas_f32 v0, v0, v2, v6
	s_delay_alu instid0(VALU_DEP_1)
	v_div_fixup_f32 v0, v0, v5, 1.0
.LBB13_28:
	v_dual_add_nc_u32 v1, s0, v1 :: v_dual_mov_b32 v11, 0
	v_dual_lshrrev_b32 v2, 16, v93 :: v_dual_lshrrev_b32 v4, 16, v92
	v_dual_lshrrev_b32 v12, 16, v91 :: v_dual_lshrrev_b32 v16, 16, v90
	s_delay_alu instid0(VALU_DEP_3) | instskip(SKIP_1) | instid1(VALU_DEP_4)
	v_lshl_add_u32 v10, v1, 8, v60
	v_cvt_f32_f16_e32 v6, v93
	v_cvt_f32_f16_e32 v7, v2
	;; [unrolled: 1-line block ×4, first 2 shown]
	v_lshl_add_u64 v[14:15], v[10:11], 2, s[20:21]
	v_add_nc_u32_e32 v10, 0x80, v10
	v_cvt_f32_f16_e32 v13, v12
	v_cvt_f32_f16_e32 v12, v91
	;; [unrolled: 1-line block ×4, first 2 shown]
	v_pk_mul_f32 v[6:7], v[0:1], v[6:7] op_sel_hi:[0,1]
	v_pk_mul_f32 v[8:9], v[0:1], v[8:9] op_sel_hi:[0,1]
	v_lshl_add_u64 v[18:19], v[10:11], 2, s[20:21]
	v_pk_mul_f32 v[10:11], v[0:1], v[12:13] op_sel_hi:[0,1]
	v_pk_mul_f32 v[12:13], v[0:1], v[16:17] op_sel_hi:[0,1]
	s_clause 0x1
	global_store_b128 v[14:15], v[6:9], off
	global_store_b128 v[18:19], v[10:13], off
	s_wait_xcnt 0x0
	s_and_b32 exec_lo, exec_lo, s1
	s_cbranch_execz .LBB13_30
; %bb.29:
	v_mov_b32_e32 v4, v3
	global_store_b64 v1, v[4:5], s[22:23] scale_offset
.LBB13_30:
	s_sendmsg sendmsg(MSG_DEALLOC_VGPRS)
	s_endpgm
	.section	.rodata,"a",@progbits
	.p2align	6, 0x0
	.amdhsa_kernel _ZL15flash_attn_tileILi256ELi256ELi8ELi4ELb0EEvPKcS1_S1_S1_S1_PKiPfP15HIP_vector_typeIfLj2EEffffjfiS5_IjLj3EEiiiiiiiiiiiliiliiiiil
		.amdhsa_group_segment_fixed_size 37888
		.amdhsa_private_segment_fixed_size 0
		.amdhsa_kernarg_size 464
		.amdhsa_user_sgpr_count 2
		.amdhsa_user_sgpr_dispatch_ptr 0
		.amdhsa_user_sgpr_queue_ptr 0
		.amdhsa_user_sgpr_kernarg_segment_ptr 1
		.amdhsa_user_sgpr_dispatch_id 0
		.amdhsa_user_sgpr_kernarg_preload_length 0
		.amdhsa_user_sgpr_kernarg_preload_offset 0
		.amdhsa_user_sgpr_private_segment_size 0
		.amdhsa_wavefront_size32 1
		.amdhsa_uses_dynamic_stack 0
		.amdhsa_enable_private_segment 0
		.amdhsa_system_sgpr_workgroup_id_x 1
		.amdhsa_system_sgpr_workgroup_id_y 1
		.amdhsa_system_sgpr_workgroup_id_z 1
		.amdhsa_system_sgpr_workgroup_info 0
		.amdhsa_system_vgpr_workitem_id 1
		.amdhsa_next_free_vgpr 136
		.amdhsa_next_free_sgpr 44
		.amdhsa_named_barrier_count 0
		.amdhsa_reserve_vcc 1
		.amdhsa_float_round_mode_32 0
		.amdhsa_float_round_mode_16_64 0
		.amdhsa_float_denorm_mode_32 3
		.amdhsa_float_denorm_mode_16_64 3
		.amdhsa_fp16_overflow 0
		.amdhsa_memory_ordered 1
		.amdhsa_forward_progress 1
		.amdhsa_inst_pref_size 186
		.amdhsa_round_robin_scheduling 0
		.amdhsa_exception_fp_ieee_invalid_op 0
		.amdhsa_exception_fp_denorm_src 0
		.amdhsa_exception_fp_ieee_div_zero 0
		.amdhsa_exception_fp_ieee_overflow 0
		.amdhsa_exception_fp_ieee_underflow 0
		.amdhsa_exception_fp_ieee_inexact 0
		.amdhsa_exception_int_div_zero 0
	.end_amdhsa_kernel
	.section	.text._ZL15flash_attn_tileILi256ELi256ELi8ELi4ELb0EEvPKcS1_S1_S1_S1_PKiPfP15HIP_vector_typeIfLj2EEffffjfiS5_IjLj3EEiiiiiiiiiiiliiliiiiil,"axG",@progbits,_ZL15flash_attn_tileILi256ELi256ELi8ELi4ELb0EEvPKcS1_S1_S1_S1_PKiPfP15HIP_vector_typeIfLj2EEffffjfiS5_IjLj3EEiiiiiiiiiiiliiliiiiil,comdat
.Lfunc_end13:
	.size	_ZL15flash_attn_tileILi256ELi256ELi8ELi4ELb0EEvPKcS1_S1_S1_S1_PKiPfP15HIP_vector_typeIfLj2EEffffjfiS5_IjLj3EEiiiiiiiiiiiliiliiiiil, .Lfunc_end13-_ZL15flash_attn_tileILi256ELi256ELi8ELi4ELb0EEvPKcS1_S1_S1_S1_PKiPfP15HIP_vector_typeIfLj2EEffffjfiS5_IjLj3EEiiiiiiiiiiiliiliiiiil
                                        ; -- End function
	.set _ZL15flash_attn_tileILi256ELi256ELi8ELi4ELb0EEvPKcS1_S1_S1_S1_PKiPfP15HIP_vector_typeIfLj2EEffffjfiS5_IjLj3EEiiiiiiiiiiiliiliiiiil.num_vgpr, 136
	.set _ZL15flash_attn_tileILi256ELi256ELi8ELi4ELb0EEvPKcS1_S1_S1_S1_PKiPfP15HIP_vector_typeIfLj2EEffffjfiS5_IjLj3EEiiiiiiiiiiiliiliiiiil.num_agpr, 0
	.set _ZL15flash_attn_tileILi256ELi256ELi8ELi4ELb0EEvPKcS1_S1_S1_S1_PKiPfP15HIP_vector_typeIfLj2EEffffjfiS5_IjLj3EEiiiiiiiiiiiliiliiiiil.numbered_sgpr, 44
	.set _ZL15flash_attn_tileILi256ELi256ELi8ELi4ELb0EEvPKcS1_S1_S1_S1_PKiPfP15HIP_vector_typeIfLj2EEffffjfiS5_IjLj3EEiiiiiiiiiiiliiliiiiil.num_named_barrier, 0
	.set _ZL15flash_attn_tileILi256ELi256ELi8ELi4ELb0EEvPKcS1_S1_S1_S1_PKiPfP15HIP_vector_typeIfLj2EEffffjfiS5_IjLj3EEiiiiiiiiiiiliiliiiiil.private_seg_size, 0
	.set _ZL15flash_attn_tileILi256ELi256ELi8ELi4ELb0EEvPKcS1_S1_S1_S1_PKiPfP15HIP_vector_typeIfLj2EEffffjfiS5_IjLj3EEiiiiiiiiiiiliiliiiiil.uses_vcc, 1
	.set _ZL15flash_attn_tileILi256ELi256ELi8ELi4ELb0EEvPKcS1_S1_S1_S1_PKiPfP15HIP_vector_typeIfLj2EEffffjfiS5_IjLj3EEiiiiiiiiiiiliiliiiiil.uses_flat_scratch, 0
	.set _ZL15flash_attn_tileILi256ELi256ELi8ELi4ELb0EEvPKcS1_S1_S1_S1_PKiPfP15HIP_vector_typeIfLj2EEffffjfiS5_IjLj3EEiiiiiiiiiiiliiliiiiil.has_dyn_sized_stack, 0
	.set _ZL15flash_attn_tileILi256ELi256ELi8ELi4ELb0EEvPKcS1_S1_S1_S1_PKiPfP15HIP_vector_typeIfLj2EEffffjfiS5_IjLj3EEiiiiiiiiiiiliiliiiiil.has_recursion, 0
	.set _ZL15flash_attn_tileILi256ELi256ELi8ELi4ELb0EEvPKcS1_S1_S1_S1_PKiPfP15HIP_vector_typeIfLj2EEffffjfiS5_IjLj3EEiiiiiiiiiiiliiliiiiil.has_indirect_call, 0
	.section	.AMDGPU.csdata,"",@progbits
; Kernel info:
; codeLenInByte = 23716
; TotalNumSgprs: 46
; NumVgprs: 136
; ScratchSize: 0
; MemoryBound: 0
; FloatMode: 240
; IeeeMode: 1
; LDSByteSize: 37888 bytes/workgroup (compile time only)
; SGPRBlocks: 0
; VGPRBlocks: 8
; NumSGPRsForWavesPerEU: 46
; NumVGPRsForWavesPerEU: 136
; NamedBarCnt: 0
; Occupancy: 7
; WaveLimiterHint : 1
; COMPUTE_PGM_RSRC2:SCRATCH_EN: 0
; COMPUTE_PGM_RSRC2:USER_SGPR: 2
; COMPUTE_PGM_RSRC2:TRAP_HANDLER: 0
; COMPUTE_PGM_RSRC2:TGID_X_EN: 1
; COMPUTE_PGM_RSRC2:TGID_Y_EN: 1
; COMPUTE_PGM_RSRC2:TGID_Z_EN: 1
; COMPUTE_PGM_RSRC2:TIDIG_COMP_CNT: 1
	.section	.text._ZL25flash_attn_mask_to_KV_maxILi8EEvPK7__half2Piiii,"axG",@progbits,_ZL25flash_attn_mask_to_KV_maxILi8EEvPK7__half2Piiii,comdat
	.globl	_ZL25flash_attn_mask_to_KV_maxILi8EEvPK7__half2Piiii ; -- Begin function _ZL25flash_attn_mask_to_KV_maxILi8EEvPK7__half2Piiii
	.p2align	8
	.type	_ZL25flash_attn_mask_to_KV_maxILi8EEvPK7__half2Piiii,@function
_ZL25flash_attn_mask_to_KV_maxILi8EEvPK7__half2Piiii: ; @_ZL25flash_attn_mask_to_KV_maxILi8EEvPK7__half2Piiii
; %bb.0:
	s_load_b128 s[4:7], s[0:1], 0x0
	s_mov_b32 s2, exec_lo
	v_cmpx_gt_u32_e32 32, v0
; %bb.1:
	v_dual_mov_b32 v2, 1 :: v_dual_lshlrev_b32 v1, 2, v0
	ds_store_b32 v1, v2
; %bb.2:
	s_or_b32 exec_lo, exec_lo, s2
	s_clause 0x1
	s_load_b96 s[8:10], s[0:1], 0x10
	s_load_b32 s11, s[0:1], 0x20
	s_wait_xcnt 0x0
	s_bfe_u32 s1, ttmp6, 0x4000c
	s_bfe_u32 s2, ttmp6, 0x40010
	s_add_co_i32 s1, s1, 1
	s_add_co_i32 s2, s2, 1
	s_and_b32 s0, ttmp6, 15
	s_bfe_u32 s3, ttmp6, 0x40004
	s_mul_i32 s1, ttmp9, s1
	s_mul_i32 s2, ttmp7, s2
	s_getreg_b32 s12, hwreg(HW_REG_IB_STS2, 6, 4)
	s_add_co_i32 s0, s0, s1
	s_add_co_i32 s3, s3, s2
	s_cmp_eq_u32 s12, 0
	v_dual_lshrrev_b32 v1, 3, v0 :: v_dual_bitop2_b32 v2, 31, v0 bitop3:0x40
	s_cselect_b32 s1, ttmp9, s0
	s_cselect_b32 s12, ttmp7, s3
	s_wait_dscnt 0x0
	s_barrier_signal -1
	s_wait_kmcnt 0x0
	s_mul_i32 s0, s1, s9
	s_mul_i32 s2, s10, s12
	s_lshl_b32 s0, s0, 3
	s_barrier_wait -1
	s_add_co_i32 s2, s2, s0
	v_cmp_eq_u32_e64 s0, 0, v2
	s_ashr_i32 s3, s2, 31
	v_lshlrev_b32_e32 v2, 2, v2
	s_lshl_b64 s[2:3], s[2:3], 2
	s_delay_alu instid0(SALU_CYCLE_1)
	s_add_nc_u64 s[2:3], s[4:5], s[2:3]
	s_lshl_b32 s5, s8, 8
	s_branch .LBB14_4
.LBB14_3:                               ;   in Loop: Header=BB14_4 Depth=1
	s_or_b32 exec_lo, exec_lo, s8
	s_wait_dscnt 0x0
	s_barrier_signal -1
	s_barrier_wait -1
	ds_load_b32 v3, v2
	s_wait_dscnt 0x0
	s_barrier_signal -1
	s_barrier_wait -1
	v_cmp_ne_u32_e32 vcc_lo, 0, v3
	s_cmp_lg_u32 vcc_lo, exec_lo
	s_cselect_b32 s8, -1, 0
	s_delay_alu instid0(SALU_CYCLE_1)
	s_and_b32 vcc_lo, exec_lo, s8
	s_cbranch_vccnz .LBB14_36
.LBB14_4:                               ; =>This Inner Loop Header: Depth=1
	s_mov_b32 s4, s5
	s_addk_co_i32 s5, 0xff00
	s_delay_alu instid0(SALU_CYCLE_1)
	s_cmp_lt_i32 s5, 0
	s_cbranch_scc1 .LBB14_35
; %bb.5:                                ;   in Loop: Header=BB14_4 Depth=1
	s_lshr_b32 s8, s5, 1
	s_delay_alu instid0(SALU_CYCLE_1) | instskip(SKIP_4) | instid1(VALU_DEP_2)
	v_add_nc_u32_e32 v3, s8, v0
	global_load_b32 v4, v3, s[2:3] scale_offset
	s_wait_loadcnt 0x0
	v_lshrrev_b32_e32 v5, 16, v4
	v_cmp_class_f16_e64 s8, v4, 0x204
	v_cmp_class_f16_e64 s10, v5, 0x204
	s_and_b32 s13, s8, s10
	s_mov_b32 s10, 0
	s_and_saveexec_b32 s8, s13
	s_cbranch_execz .LBB14_33
; %bb.6:                                ;   in Loop: Header=BB14_4 Depth=1
	v_add_nc_u32_e32 v3, s9, v3
	s_mov_b32 s13, 0
	global_load_b32 v4, v3, s[2:3] scale_offset
	s_wait_loadcnt 0x0
	v_cmp_class_f16_e64 s14, v4, 0x204
	s_and_saveexec_b32 s10, s14
	s_cbranch_execz .LBB14_32
; %bb.7:                                ;   in Loop: Header=BB14_4 Depth=1
	v_lshrrev_b32_e32 v4, 16, v4
	s_mov_b32 s14, 0
	s_delay_alu instid0(VALU_DEP_1)
	v_cmp_class_f16_e64 s15, v4, 0x204
	s_and_saveexec_b32 s13, s15
	s_cbranch_execz .LBB14_31
; %bb.8:                                ;   in Loop: Header=BB14_4 Depth=1
	v_add_nc_u32_e32 v3, s9, v3
	s_mov_b32 s15, 0
	global_load_b32 v4, v3, s[2:3] scale_offset
	s_wait_loadcnt 0x0
	v_cmp_class_f16_e64 s16, v4, 0x204
	s_and_saveexec_b32 s14, s16
	s_cbranch_execz .LBB14_30
; %bb.9:                                ;   in Loop: Header=BB14_4 Depth=1
	v_lshrrev_b32_e32 v4, 16, v4
	s_mov_b32 s16, 0
	s_delay_alu instid0(VALU_DEP_1)
	v_cmp_class_f16_e64 s17, v4, 0x204
	s_and_saveexec_b32 s15, s17
	s_cbranch_execz .LBB14_29
; %bb.10:                               ;   in Loop: Header=BB14_4 Depth=1
	v_add_nc_u32_e32 v3, s9, v3
	s_mov_b32 s17, 0
	global_load_b32 v4, v3, s[2:3] scale_offset
	s_wait_loadcnt 0x0
	v_cmp_class_f16_e64 s18, v4, 0x204
	s_and_saveexec_b32 s16, s18
	s_cbranch_execz .LBB14_28
; %bb.11:                               ;   in Loop: Header=BB14_4 Depth=1
	v_lshrrev_b32_e32 v4, 16, v4
	s_mov_b32 s18, 0
	s_delay_alu instid0(VALU_DEP_1)
	v_cmp_class_f16_e64 s19, v4, 0x204
	s_and_saveexec_b32 s17, s19
	s_cbranch_execz .LBB14_27
; %bb.12:                               ;   in Loop: Header=BB14_4 Depth=1
	v_add_nc_u32_e32 v3, s9, v3
	s_mov_b32 s19, 0
	global_load_b32 v4, v3, s[2:3] scale_offset
	s_wait_loadcnt 0x0
	v_cmp_class_f16_e64 s20, v4, 0x204
	s_and_saveexec_b32 s18, s20
	s_cbranch_execz .LBB14_26
; %bb.13:                               ;   in Loop: Header=BB14_4 Depth=1
	;; [unrolled: 15-line block ×4, first 2 shown]
	v_lshrrev_b32_e32 v4, 16, v4
	s_mov_b32 s24, 0
	s_delay_alu instid0(VALU_DEP_1)
	v_cmp_class_f16_e64 s25, v4, 0x204
	s_and_saveexec_b32 s23, s25
	s_cbranch_execz .LBB14_21
; %bb.18:                               ;   in Loop: Header=BB14_4 Depth=1
	v_add_nc_u32_e32 v3, s9, v3
	global_load_b32 v3, v3, s[2:3] scale_offset
	s_wait_loadcnt 0x0
	v_cmp_class_f16_e64 s26, v3, 0x204
	s_and_saveexec_b32 s25, s26
; %bb.19:                               ;   in Loop: Header=BB14_4 Depth=1
	v_lshrrev_b32_e32 v3, 16, v3
	s_delay_alu instid0(VALU_DEP_1)
	v_cmp_class_f16_e64 s24, v3, 0x204
	s_and_b32 s24, s24, exec_lo
; %bb.20:                               ;   in Loop: Header=BB14_4 Depth=1
	s_or_b32 exec_lo, exec_lo, s25
	s_delay_alu instid0(SALU_CYCLE_1)
	s_and_b32 s24, s24, exec_lo
.LBB14_21:                              ;   in Loop: Header=BB14_4 Depth=1
	s_or_b32 exec_lo, exec_lo, s23
	s_delay_alu instid0(SALU_CYCLE_1)
	s_and_b32 s23, s24, exec_lo
.LBB14_22:                              ;   in Loop: Header=BB14_4 Depth=1
	s_or_b32 exec_lo, exec_lo, s22
	s_delay_alu instid0(SALU_CYCLE_1)
	s_and_b32 s22, s23, exec_lo
.LBB14_23:                              ;   in Loop: Header=BB14_4 Depth=1
	s_or_b32 exec_lo, exec_lo, s21
	s_delay_alu instid0(SALU_CYCLE_1)
	s_and_b32 s21, s22, exec_lo
.LBB14_24:                              ;   in Loop: Header=BB14_4 Depth=1
	s_or_b32 exec_lo, exec_lo, s20
	s_delay_alu instid0(SALU_CYCLE_1)
	s_and_b32 s20, s21, exec_lo
.LBB14_25:                              ;   in Loop: Header=BB14_4 Depth=1
	s_or_b32 exec_lo, exec_lo, s19
	s_delay_alu instid0(SALU_CYCLE_1)
	s_and_b32 s19, s20, exec_lo
.LBB14_26:                              ;   in Loop: Header=BB14_4 Depth=1
	s_or_b32 exec_lo, exec_lo, s18
	s_delay_alu instid0(SALU_CYCLE_1)
	s_and_b32 s18, s19, exec_lo
.LBB14_27:                              ;   in Loop: Header=BB14_4 Depth=1
	s_or_b32 exec_lo, exec_lo, s17
	s_delay_alu instid0(SALU_CYCLE_1)
	s_and_b32 s17, s18, exec_lo
.LBB14_28:                              ;   in Loop: Header=BB14_4 Depth=1
	s_or_b32 exec_lo, exec_lo, s16
	s_delay_alu instid0(SALU_CYCLE_1)
	s_and_b32 s16, s17, exec_lo
.LBB14_29:                              ;   in Loop: Header=BB14_4 Depth=1
	s_or_b32 exec_lo, exec_lo, s15
	s_delay_alu instid0(SALU_CYCLE_1)
	s_and_b32 s15, s16, exec_lo
.LBB14_30:                              ;   in Loop: Header=BB14_4 Depth=1
	s_or_b32 exec_lo, exec_lo, s14
	s_delay_alu instid0(SALU_CYCLE_1)
	s_and_b32 s14, s15, exec_lo
.LBB14_31:                              ;   in Loop: Header=BB14_4 Depth=1
	s_or_b32 exec_lo, exec_lo, s13
	s_delay_alu instid0(SALU_CYCLE_1)
	s_and_b32 s13, s14, exec_lo
.LBB14_32:                              ;   in Loop: Header=BB14_4 Depth=1
	s_or_b32 exec_lo, exec_lo, s10
	s_delay_alu instid0(SALU_CYCLE_1)
	s_and_b32 s10, s13, exec_lo
.LBB14_33:                              ;   in Loop: Header=BB14_4 Depth=1
	s_or_b32 exec_lo, exec_lo, s8
	v_cndmask_b32_e64 v3, 0, 1, s10
	s_mov_b32 s13, exec_lo
	s_delay_alu instid0(VALU_DEP_1)
	v_cmp_ne_u32_e32 vcc_lo, 0, v3
	s_and_saveexec_b32 s8, s0
	s_cbranch_execz .LBB14_3
; %bb.34:                               ;   in Loop: Header=BB14_4 Depth=1
	s_cmp_eq_u32 vcc_lo, s13
	s_cselect_b32 s10, -1, 0
	s_delay_alu instid0(SALU_CYCLE_1)
	v_cndmask_b32_e64 v3, 0, 1, s10
	ds_store_b32 v1, v3
	s_branch .LBB14_3
.LBB14_35:                              ;   in Loop: Header=BB14_4 Depth=1
	s_cbranch_execz .LBB14_4
.LBB14_36:
	s_mov_b32 s0, exec_lo
	v_cmpx_eq_u32_e32 0, v0
	s_cbranch_execz .LBB14_38
; %bb.37:
	s_mul_i32 s0, s11, s12
	v_mov_b32_e32 v1, s4
	s_add_co_i32 s0, s0, s1
	s_delay_alu instid0(SALU_CYCLE_1)
	v_mov_b32_e32 v0, s0
	global_store_b32 v0, v1, s[6:7] scale_offset
.LBB14_38:
	s_endpgm
	.section	.rodata,"a",@progbits
	.p2align	6, 0x0
	.amdhsa_kernel _ZL25flash_attn_mask_to_KV_maxILi8EEvPK7__half2Piiii
		.amdhsa_group_segment_fixed_size 128
		.amdhsa_private_segment_fixed_size 0
		.amdhsa_kernarg_size 288
		.amdhsa_user_sgpr_count 2
		.amdhsa_user_sgpr_dispatch_ptr 0
		.amdhsa_user_sgpr_queue_ptr 0
		.amdhsa_user_sgpr_kernarg_segment_ptr 1
		.amdhsa_user_sgpr_dispatch_id 0
		.amdhsa_user_sgpr_kernarg_preload_length 0
		.amdhsa_user_sgpr_kernarg_preload_offset 0
		.amdhsa_user_sgpr_private_segment_size 0
		.amdhsa_wavefront_size32 1
		.amdhsa_uses_dynamic_stack 0
		.amdhsa_enable_private_segment 0
		.amdhsa_system_sgpr_workgroup_id_x 1
		.amdhsa_system_sgpr_workgroup_id_y 1
		.amdhsa_system_sgpr_workgroup_id_z 0
		.amdhsa_system_sgpr_workgroup_info 0
		.amdhsa_system_vgpr_workitem_id 0
		.amdhsa_next_free_vgpr 6
		.amdhsa_next_free_sgpr 27
		.amdhsa_named_barrier_count 0
		.amdhsa_reserve_vcc 1
		.amdhsa_float_round_mode_32 0
		.amdhsa_float_round_mode_16_64 0
		.amdhsa_float_denorm_mode_32 3
		.amdhsa_float_denorm_mode_16_64 3
		.amdhsa_fp16_overflow 0
		.amdhsa_memory_ordered 1
		.amdhsa_forward_progress 1
		.amdhsa_inst_pref_size 9
		.amdhsa_round_robin_scheduling 0
		.amdhsa_exception_fp_ieee_invalid_op 0
		.amdhsa_exception_fp_denorm_src 0
		.amdhsa_exception_fp_ieee_div_zero 0
		.amdhsa_exception_fp_ieee_overflow 0
		.amdhsa_exception_fp_ieee_underflow 0
		.amdhsa_exception_fp_ieee_inexact 0
		.amdhsa_exception_int_div_zero 0
	.end_amdhsa_kernel
	.section	.text._ZL25flash_attn_mask_to_KV_maxILi8EEvPK7__half2Piiii,"axG",@progbits,_ZL25flash_attn_mask_to_KV_maxILi8EEvPK7__half2Piiii,comdat
.Lfunc_end14:
	.size	_ZL25flash_attn_mask_to_KV_maxILi8EEvPK7__half2Piiii, .Lfunc_end14-_ZL25flash_attn_mask_to_KV_maxILi8EEvPK7__half2Piiii
                                        ; -- End function
	.set _ZL25flash_attn_mask_to_KV_maxILi8EEvPK7__half2Piiii.num_vgpr, 6
	.set _ZL25flash_attn_mask_to_KV_maxILi8EEvPK7__half2Piiii.num_agpr, 0
	.set _ZL25flash_attn_mask_to_KV_maxILi8EEvPK7__half2Piiii.numbered_sgpr, 27
	.set _ZL25flash_attn_mask_to_KV_maxILi8EEvPK7__half2Piiii.num_named_barrier, 0
	.set _ZL25flash_attn_mask_to_KV_maxILi8EEvPK7__half2Piiii.private_seg_size, 0
	.set _ZL25flash_attn_mask_to_KV_maxILi8EEvPK7__half2Piiii.uses_vcc, 1
	.set _ZL25flash_attn_mask_to_KV_maxILi8EEvPK7__half2Piiii.uses_flat_scratch, 0
	.set _ZL25flash_attn_mask_to_KV_maxILi8EEvPK7__half2Piiii.has_dyn_sized_stack, 0
	.set _ZL25flash_attn_mask_to_KV_maxILi8EEvPK7__half2Piiii.has_recursion, 0
	.set _ZL25flash_attn_mask_to_KV_maxILi8EEvPK7__half2Piiii.has_indirect_call, 0
	.section	.AMDGPU.csdata,"",@progbits
; Kernel info:
; codeLenInByte = 1148
; TotalNumSgprs: 29
; NumVgprs: 6
; ScratchSize: 0
; MemoryBound: 0
; FloatMode: 240
; IeeeMode: 1
; LDSByteSize: 128 bytes/workgroup (compile time only)
; SGPRBlocks: 0
; VGPRBlocks: 0
; NumSGPRsForWavesPerEU: 29
; NumVGPRsForWavesPerEU: 6
; NamedBarCnt: 0
; Occupancy: 16
; WaveLimiterHint : 0
; COMPUTE_PGM_RSRC2:SCRATCH_EN: 0
; COMPUTE_PGM_RSRC2:USER_SGPR: 2
; COMPUTE_PGM_RSRC2:TRAP_HANDLER: 0
; COMPUTE_PGM_RSRC2:TGID_X_EN: 1
; COMPUTE_PGM_RSRC2:TGID_Y_EN: 1
; COMPUTE_PGM_RSRC2:TGID_Z_EN: 0
; COMPUTE_PGM_RSRC2:TIDIG_COMP_CNT: 0
	.section	.text._ZL33flash_attn_stream_k_fixup_uniformILi256ELi8ELi4EEvPfPK15HIP_vector_typeIfLj2EEiiiiiiS1_IjLj3EES5_S5_,"axG",@progbits,_ZL33flash_attn_stream_k_fixup_uniformILi256ELi8ELi4EEvPfPK15HIP_vector_typeIfLj2EEiiiiiiS1_IjLj3EES5_S5_,comdat
	.globl	_ZL33flash_attn_stream_k_fixup_uniformILi256ELi8ELi4EEvPfPK15HIP_vector_typeIfLj2EEiiiiiiS1_IjLj3EES5_S5_ ; -- Begin function _ZL33flash_attn_stream_k_fixup_uniformILi256ELi8ELi4EEvPfPK15HIP_vector_typeIfLj2EEiiiiiiS1_IjLj3EES5_S5_
	.p2align	8
	.type	_ZL33flash_attn_stream_k_fixup_uniformILi256ELi8ELi4EEvPfPK15HIP_vector_typeIfLj2EEiiiiiiS1_IjLj3EES5_S5_,@function
_ZL33flash_attn_stream_k_fixup_uniformILi256ELi8ELi4EEvPfPK15HIP_vector_typeIfLj2EEiiiiiiS1_IjLj3EES5_S5_: ; @_ZL33flash_attn_stream_k_fixup_uniformILi256ELi8ELi4EEvPfPK15HIP_vector_typeIfLj2EEiiiiiiS1_IjLj3EES5_S5_
; %bb.0:
	s_load_b256 s[4:11], s[0:1], 0x1c
	s_bfe_u32 s2, ttmp6, 0x40014
	s_lshr_b32 s3, ttmp7, 16
	s_add_co_i32 s2, s2, 1
	s_bfe_u32 s13, ttmp6, 0x40010
	s_mul_i32 s2, s3, s2
	s_bfe_u32 s12, ttmp6, 0x40008
	s_and_b32 s15, ttmp7, 0xffff
	s_add_co_i32 s13, s13, 1
	s_bfe_u32 s14, ttmp6, 0x4000c
	s_add_co_i32 s12, s12, s2
	s_mul_i32 s2, s15, s13
	s_bfe_u32 s13, ttmp6, 0x40004
	s_add_co_i32 s14, s14, 1
	s_add_co_i32 s13, s13, s2
	s_and_b32 s2, ttmp6, 15
	s_mul_i32 s14, ttmp9, s14
	s_getreg_b32 s20, hwreg(HW_REG_IB_STS2, 6, 4)
	s_add_co_i32 s2, s2, s14
	s_load_b128 s[16:19], s[0:1], 0x3c
	s_cmp_eq_u32 s20, 0
	s_cselect_b32 s14, ttmp9, s2
	s_cselect_b32 s13, s15, s13
	s_wait_kmcnt 0x0
	s_mul_hi_u32 s2, s7, s14
	s_cselect_b32 s12, s3, s12
	s_add_co_i32 s2, s14, s2
	s_delay_alu instid0(SALU_CYCLE_1) | instskip(NEXT) | instid1(SALU_CYCLE_1)
	s_lshr_b32 s7, s2, s8
	s_mul_i32 s2, s7, s9
	s_delay_alu instid0(SALU_CYCLE_1) | instskip(NEXT) | instid1(SALU_CYCLE_1)
	s_sub_co_i32 s8, s14, s2
	s_mul_hi_u32 s2, s8, s10
	s_delay_alu instid0(SALU_CYCLE_1) | instskip(SKIP_2) | instid1(SALU_CYCLE_1)
	s_add_co_i32 s9, s8, s2
	s_load_b64 s[2:3], s[0:1], 0x10
	s_lshr_b32 s15, s9, s11
	s_mul_i32 s9, s15, s16
	s_delay_alu instid0(SALU_CYCLE_1) | instskip(NEXT) | instid1(SALU_CYCLE_1)
	s_sub_co_i32 s8, s8, s9
	s_mul_hi_u32 s9, s8, s17
	s_delay_alu instid0(SALU_CYCLE_1) | instskip(NEXT) | instid1(SALU_CYCLE_1)
	s_add_co_i32 s9, s8, s9
	s_lshr_b32 s9, s9, s18
	s_delay_alu instid0(SALU_CYCLE_1) | instskip(SKIP_2) | instid1(SALU_CYCLE_1)
	s_mul_i32 s10, s9, s19
	s_lshl_b32 s17, s9, 2
	s_sub_co_i32 s16, s8, s10
	s_lshl_b32 s8, s16, 3
	s_delay_alu instid0(SALU_CYCLE_1) | instskip(SKIP_4) | instid1(SALU_CYCLE_1)
	s_add_co_i32 s8, s8, s13
	s_wait_kmcnt 0x0
	s_cmp_lt_i32 s8, s2
	s_cselect_b32 s8, -1, 0
	s_add_co_i32 s9, s17, s12
	s_cmp_lt_i32 s9, s5
	s_cselect_b32 s9, -1, 0
	s_delay_alu instid0(SALU_CYCLE_1) | instskip(NEXT) | instid1(SALU_CYCLE_1)
	s_and_b32 s8, s8, s9
	s_and_not1_b32 vcc_lo, exec_lo, s8
	s_cbranch_vccnz .LBB15_6
; %bb.1:
	s_mul_i32 s2, s7, s2
	s_load_b128 s[8:11], s[0:1], 0x0
	s_wait_xcnt 0x0
	s_add_co_i32 s0, s2, s13
	s_mul_i32 s15, s15, s5
	s_mul_i32 s0, s0, s3
	s_mul_i32 s1, s3, s16
	s_add_co_i32 s0, s0, s12
	s_lshl_b32 s1, s1, 11
	s_add_co_i32 s0, s0, s15
	s_mul_i32 s7, s6, s14
	s_add_co_i32 s0, s0, s17
	s_lshl_b32 s5, s13, 2
	s_lshl_b32 s0, s0, 8
	s_add_co_i32 s15, s7, s6
	s_add_co_i32 s1, s1, s0
	;; [unrolled: 1-line block ×3, first 2 shown]
	v_or_b32_e32 v4, s1, v0
	s_lshl_b32 s1, s15, 5
	s_add_co_i32 s2, s15, -2
	s_add_co_i32 s0, s0, s1
	s_delay_alu instid0(SALU_CYCLE_1)
	s_sub_co_i32 s0, s0, 32
	s_wait_kmcnt 0x0
	global_load_b32 v3, v4, s[8:9] scale_offset
	s_ashr_i32 s1, s0, 31
	v_ashrrev_i32_e32 v5, 31, v4
	s_lshl_b64 s[0:1], s[0:1], 3
	s_cmp_lt_i32 s2, s7
	s_add_nc_u64 s[0:1], s[10:11], s[0:1]
	s_load_b32 s16, s[0:1], 0x4
	s_cbranch_scc1 .LBB15_4
; %bb.2:
	s_wait_xcnt 0x0
	s_load_b32 s0, s[0:1], 0x0
	s_add_co_i32 s14, s14, 1
	s_lshl_b32 s3, s13, 10
	s_wait_xcnt 0x0
	s_mul_i32 s1, s6, s14
	s_lshl_b32 s6, s12, 8
	s_lshl_b32 s13, s1, 13
	s_add_co_i32 s6, s6, s3
	s_lshl_b32 s1, s1, 5
	s_add_co_i32 s6, s6, s13
	s_lshl_b32 s2, s4, 7
	s_wait_kmcnt 0x0
	v_dual_mov_b32 v2, s16 :: v_dual_bitop2_b32 v0, s6, v0 bitop3:0x54
	s_add_co_i32 s1, s12, s1
	s_lshl_b32 s4, s4, 5
	s_ashr_i32 s3, s2, 31
	s_add_co_i32 s1, s1, s4
	v_add_nc_u32_e32 v0, 0xffffc000, v0
	s_lshl_b64 s[2:3], s[2:3], 2
	s_add_co_i32 s4, s1, s5
	s_add_nc_u64 s[2:3], s[10:11], s[2:3]
	s_add_co_i32 s1, s15, -1
	s_sub_co_i32 s4, s4, 64
.LBB15_3:                               ; =>This Inner Loop Header: Depth=1
	global_load_b32 v7, v0, s[2:3] scale_offset
	s_ashr_i32 s5, s4, 31
	v_max_num_f32_e64 v1, s0, s0
	s_lshl_b64 s[12:13], s[4:5], 3
	s_delay_alu instid0(SALU_CYCLE_1) | instskip(SKIP_1) | instid1(VALU_DEP_1)
	s_add_nc_u64 s[12:13], s[10:11], s[12:13]
	s_load_b64 s[12:13], s[12:13], 0x0
	v_readfirstlane_b32 s5, v1
	v_add_nc_u32_e32 v0, 0xffffe000, v0
	s_wait_kmcnt 0x0
	v_max_num_f32_e64 v1, s12, s12
	s_delay_alu instid0(VALU_DEP_1) | instskip(SKIP_1) | instid1(SALU_CYCLE_3)
	v_readfirstlane_b32 s6, v1
	s_max_num_f32 s5, s5, s6
	s_sub_f32 s0, s0, s5
	s_sub_f32 s6, s12, s5
	s_delay_alu instid0(SALU_CYCLE_2) | instskip(NEXT) | instid1(SALU_CYCLE_2)
	s_mul_f32 s12, s0, 0x3fb8aa3b
	s_mul_f32 s14, s6, 0x3fb8aa3b
	s_delay_alu instid0(SALU_CYCLE_2)
	s_xor_b32 s15, s12, 0x80000000
	s_rndne_f32 s16, s12
	s_fmamk_f32 s15, s0, 0x3fb8aa3b, s15
	s_cmp_nlt_f32 s0, 0xc2ce8ed0
	s_rndne_f32 s17, s14
	s_sub_f32 s12, s12, s16
	s_fmamk_f32 s15, s0, 0x32a5705f, s15
	s_cselect_b32 vcc_lo, -1, 0
	s_cmp_ngt_f32 s0, 0x42b17218
	s_delay_alu instid0(SALU_CYCLE_1) | instskip(SKIP_2) | instid1(SALU_CYCLE_1)
	s_add_f32 s12, s12, s15
	s_cvt_i32_f32 s15, s16
	s_sub_f32 s16, s14, s17
	v_s_exp_f32 s12, s12
	v_nop
	s_delay_alu instid0(TRANS32_DEP_1) | instskip(SKIP_1) | instid1(VALU_DEP_1)
	v_ldexp_f32 v1, s12, s15
	s_cvt_i32_f32 s12, s17
	v_cndmask_b32_e32 v1, 0, v1, vcc_lo
	s_cselect_b32 vcc_lo, -1, 0
	s_cmp_ge_f32 s0, 0xc1a00000
	s_delay_alu instid0(VALU_DEP_1)
	v_cndmask_b32_e32 v1, 0x7f800000, v1, vcc_lo
	s_cselect_b32 vcc_lo, -1, 0
	s_xor_b32 s0, s14, 0x80000000
	s_cmp_nlt_f32 s6, 0xc2ce8ed0
	s_fmamk_f32 s0, s6, 0x3fb8aa3b, s0
	v_cndmask_b32_e32 v10, 0, v1, vcc_lo
	s_delay_alu instid0(SALU_CYCLE_2) | instskip(NEXT) | instid1(SALU_CYCLE_3)
	s_fmamk_f32 s0, s6, 0x32a5705f, s0
	s_add_f32 s0, s16, s0
	s_delay_alu instid0(SALU_CYCLE_3) | instskip(SKIP_1) | instid1(TRANS32_DEP_1)
	v_s_exp_f32 s0, s0
	v_nop
	v_ldexp_f32 v6, s0, s12
	s_cselect_b32 s0, -1, 0
	s_cmp_ngt_f32 s6, 0x42b17218
	s_delay_alu instid0(VALU_DEP_1) | instskip(SKIP_2) | instid1(VALU_DEP_1)
	v_cndmask_b32_e64 v6, 0, v6, s0
	s_cselect_b32 s0, -1, 0
	s_cmp_ge_f32 s6, 0xc1a00000
	v_cndmask_b32_e64 v8, 0x7f800000, v6, s0
	s_cselect_b32 s0, -1, 0
	v_mov_b32_e32 v6, s13
	s_add_co_i32 s1, s1, -1
	s_sub_co_i32 s4, s4, 32
	v_cndmask_b32_e64 v8, 0, v8, s0
	s_cmp_le_i32 s1, s7
	s_mov_b32 s0, s5
	s_wait_loadcnt 0x0
	s_delay_alu instid0(VALU_DEP_1) | instskip(NEXT) | instid1(VALU_DEP_1)
	v_pk_mul_f32 v[6:7], v[6:7], v[8:9] op_sel_hi:[1,0]
	v_pk_fma_f32 v[2:3], v[2:3], v[10:11], v[6:7] op_sel_hi:[1,0,1]
	s_cbranch_scc0 .LBB15_3
	s_branch .LBB15_5
.LBB15_4:
	s_wait_kmcnt 0x0
	v_mov_b32_e32 v2, s16
.LBB15_5:
	v_lshl_add_u64 v[0:1], v[4:5], 2, s[8:9]
	s_wait_loadcnt 0x0
	s_delay_alu instid0(VALU_DEP_2) | instskip(NEXT) | instid1(VALU_DEP_1)
	v_div_scale_f32 v4, null, v2, v2, v3
	v_rcp_f32_e32 v5, v4
	v_nop
	s_delay_alu instid0(TRANS32_DEP_1) | instskip(NEXT) | instid1(VALU_DEP_1)
	v_fma_f32 v6, -v4, v5, 1.0
	v_fmac_f32_e32 v5, v6, v5
	v_div_scale_f32 v6, vcc_lo, v3, v2, v3
	s_delay_alu instid0(VALU_DEP_1) | instskip(NEXT) | instid1(VALU_DEP_1)
	v_mul_f32_e32 v7, v6, v5
	v_fma_f32 v8, -v4, v7, v6
	s_delay_alu instid0(VALU_DEP_1) | instskip(NEXT) | instid1(VALU_DEP_1)
	v_fmac_f32_e32 v7, v8, v5
	v_fma_f32 v4, -v4, v7, v6
	s_delay_alu instid0(VALU_DEP_1) | instskip(NEXT) | instid1(VALU_DEP_1)
	v_div_fmas_f32 v4, v4, v5, v7
	v_div_fixup_f32 v2, v4, v2, v3
	global_store_b32 v[0:1], v2, off
.LBB15_6:
	s_endpgm
	.section	.rodata,"a",@progbits
	.p2align	6, 0x0
	.amdhsa_kernel _ZL33flash_attn_stream_k_fixup_uniformILi256ELi8ELi4EEvPfPK15HIP_vector_typeIfLj2EEiiiiiiS1_IjLj3EES5_S5_
		.amdhsa_group_segment_fixed_size 0
		.amdhsa_private_segment_fixed_size 0
		.amdhsa_kernarg_size 76
		.amdhsa_user_sgpr_count 2
		.amdhsa_user_sgpr_dispatch_ptr 0
		.amdhsa_user_sgpr_queue_ptr 0
		.amdhsa_user_sgpr_kernarg_segment_ptr 1
		.amdhsa_user_sgpr_dispatch_id 0
		.amdhsa_user_sgpr_kernarg_preload_length 0
		.amdhsa_user_sgpr_kernarg_preload_offset 0
		.amdhsa_user_sgpr_private_segment_size 0
		.amdhsa_wavefront_size32 1
		.amdhsa_uses_dynamic_stack 0
		.amdhsa_enable_private_segment 0
		.amdhsa_system_sgpr_workgroup_id_x 1
		.amdhsa_system_sgpr_workgroup_id_y 1
		.amdhsa_system_sgpr_workgroup_id_z 1
		.amdhsa_system_sgpr_workgroup_info 0
		.amdhsa_system_vgpr_workitem_id 0
		.amdhsa_next_free_vgpr 12
		.amdhsa_next_free_sgpr 21
		.amdhsa_named_barrier_count 0
		.amdhsa_reserve_vcc 1
		.amdhsa_float_round_mode_32 0
		.amdhsa_float_round_mode_16_64 0
		.amdhsa_float_denorm_mode_32 3
		.amdhsa_float_denorm_mode_16_64 3
		.amdhsa_fp16_overflow 0
		.amdhsa_memory_ordered 1
		.amdhsa_forward_progress 1
		.amdhsa_inst_pref_size 9
		.amdhsa_round_robin_scheduling 0
		.amdhsa_exception_fp_ieee_invalid_op 0
		.amdhsa_exception_fp_denorm_src 0
		.amdhsa_exception_fp_ieee_div_zero 0
		.amdhsa_exception_fp_ieee_overflow 0
		.amdhsa_exception_fp_ieee_underflow 0
		.amdhsa_exception_fp_ieee_inexact 0
		.amdhsa_exception_int_div_zero 0
	.end_amdhsa_kernel
	.section	.text._ZL33flash_attn_stream_k_fixup_uniformILi256ELi8ELi4EEvPfPK15HIP_vector_typeIfLj2EEiiiiiiS1_IjLj3EES5_S5_,"axG",@progbits,_ZL33flash_attn_stream_k_fixup_uniformILi256ELi8ELi4EEvPfPK15HIP_vector_typeIfLj2EEiiiiiiS1_IjLj3EES5_S5_,comdat
.Lfunc_end15:
	.size	_ZL33flash_attn_stream_k_fixup_uniformILi256ELi8ELi4EEvPfPK15HIP_vector_typeIfLj2EEiiiiiiS1_IjLj3EES5_S5_, .Lfunc_end15-_ZL33flash_attn_stream_k_fixup_uniformILi256ELi8ELi4EEvPfPK15HIP_vector_typeIfLj2EEiiiiiiS1_IjLj3EES5_S5_
                                        ; -- End function
	.set _ZL33flash_attn_stream_k_fixup_uniformILi256ELi8ELi4EEvPfPK15HIP_vector_typeIfLj2EEiiiiiiS1_IjLj3EES5_S5_.num_vgpr, 12
	.set _ZL33flash_attn_stream_k_fixup_uniformILi256ELi8ELi4EEvPfPK15HIP_vector_typeIfLj2EEiiiiiiS1_IjLj3EES5_S5_.num_agpr, 0
	.set _ZL33flash_attn_stream_k_fixup_uniformILi256ELi8ELi4EEvPfPK15HIP_vector_typeIfLj2EEiiiiiiS1_IjLj3EES5_S5_.numbered_sgpr, 21
	.set _ZL33flash_attn_stream_k_fixup_uniformILi256ELi8ELi4EEvPfPK15HIP_vector_typeIfLj2EEiiiiiiS1_IjLj3EES5_S5_.num_named_barrier, 0
	.set _ZL33flash_attn_stream_k_fixup_uniformILi256ELi8ELi4EEvPfPK15HIP_vector_typeIfLj2EEiiiiiiS1_IjLj3EES5_S5_.private_seg_size, 0
	.set _ZL33flash_attn_stream_k_fixup_uniformILi256ELi8ELi4EEvPfPK15HIP_vector_typeIfLj2EEiiiiiiS1_IjLj3EES5_S5_.uses_vcc, 1
	.set _ZL33flash_attn_stream_k_fixup_uniformILi256ELi8ELi4EEvPfPK15HIP_vector_typeIfLj2EEiiiiiiS1_IjLj3EES5_S5_.uses_flat_scratch, 0
	.set _ZL33flash_attn_stream_k_fixup_uniformILi256ELi8ELi4EEvPfPK15HIP_vector_typeIfLj2EEiiiiiiS1_IjLj3EES5_S5_.has_dyn_sized_stack, 0
	.set _ZL33flash_attn_stream_k_fixup_uniformILi256ELi8ELi4EEvPfPK15HIP_vector_typeIfLj2EEiiiiiiS1_IjLj3EES5_S5_.has_recursion, 0
	.set _ZL33flash_attn_stream_k_fixup_uniformILi256ELi8ELi4EEvPfPK15HIP_vector_typeIfLj2EEiiiiiiS1_IjLj3EES5_S5_.has_indirect_call, 0
	.section	.AMDGPU.csdata,"",@progbits
; Kernel info:
; codeLenInByte = 1092
; TotalNumSgprs: 23
; NumVgprs: 12
; ScratchSize: 0
; MemoryBound: 0
; FloatMode: 240
; IeeeMode: 1
; LDSByteSize: 0 bytes/workgroup (compile time only)
; SGPRBlocks: 0
; VGPRBlocks: 0
; NumSGPRsForWavesPerEU: 23
; NumVGPRsForWavesPerEU: 12
; NamedBarCnt: 0
; Occupancy: 16
; WaveLimiterHint : 0
; COMPUTE_PGM_RSRC2:SCRATCH_EN: 0
; COMPUTE_PGM_RSRC2:USER_SGPR: 2
; COMPUTE_PGM_RSRC2:TRAP_HANDLER: 0
; COMPUTE_PGM_RSRC2:TGID_X_EN: 1
; COMPUTE_PGM_RSRC2:TGID_Y_EN: 1
; COMPUTE_PGM_RSRC2:TGID_Z_EN: 1
; COMPUTE_PGM_RSRC2:TIDIG_COMP_CNT: 0
	.section	.text._ZL33flash_attn_stream_k_fixup_generalILi256ELi8ELi4EEvPfPK15HIP_vector_typeIfLj2EEiiiiS1_IjLj3EES5_S5_S5_,"axG",@progbits,_ZL33flash_attn_stream_k_fixup_generalILi256ELi8ELi4EEvPfPK15HIP_vector_typeIfLj2EEiiiiS1_IjLj3EES5_S5_S5_,comdat
	.globl	_ZL33flash_attn_stream_k_fixup_generalILi256ELi8ELi4EEvPfPK15HIP_vector_typeIfLj2EEiiiiS1_IjLj3EES5_S5_S5_ ; -- Begin function _ZL33flash_attn_stream_k_fixup_generalILi256ELi8ELi4EEvPfPK15HIP_vector_typeIfLj2EEiiiiS1_IjLj3EES5_S5_S5_
	.p2align	8
	.type	_ZL33flash_attn_stream_k_fixup_generalILi256ELi8ELi4EEvPfPK15HIP_vector_typeIfLj2EEiiiiS1_IjLj3EES5_S5_S5_,@function
_ZL33flash_attn_stream_k_fixup_generalILi256ELi8ELi4EEvPfPK15HIP_vector_typeIfLj2EEiiiiS1_IjLj3EES5_S5_S5_: ; @_ZL33flash_attn_stream_k_fixup_generalILi256ELi8ELi4EEvPfPK15HIP_vector_typeIfLj2EEiiiiS1_IjLj3EES5_S5_S5_
; %bb.0:
	s_clause 0x1
	s_load_b128 s[4:7], s[0:1], 0x10
	s_load_b32 s16, s[0:1], 0x50
	s_bfe_u32 s2, ttmp6, 0x4000c
	s_and_b32 s3, ttmp6, 15
	s_add_co_i32 s2, s2, 1
	s_getreg_b32 s15, hwreg(HW_REG_IB_STS2, 6, 4)
	s_mul_i32 s2, ttmp9, s2
	s_mov_b32 s17, 0
	s_add_co_i32 s3, s3, s2
	s_cmp_eq_u32 s15, 0
	s_cselect_b32 s2, ttmp9, s3
	s_delay_alu instid0(SALU_CYCLE_1) | instskip(SKIP_3) | instid1(SALU_CYCLE_1)
	s_ashr_i32 s3, s2, 31
	s_wait_kmcnt 0x0
	s_ashr_i32 s19, s7, 31
	s_mov_b32 s18, s7
	s_mul_u64 s[8:9], s[18:19], s[2:3]
	s_delay_alu instid0(SALU_CYCLE_1) | instskip(NEXT) | instid1(SALU_CYCLE_1)
	s_and_b64 s[10:11], s[8:9], 0xffffffff00000000
	s_cmp_lg_u64 s[10:11], 0
	s_cbranch_scc0 .LBB16_21
; %bb.1:
	s_add_nc_u64 s[10:11], s[16:17], 0
	s_mov_b32 s23, s17
	s_xor_b64 s[10:11], s[10:11], 0
	s_mov_b32 s27, s17
	s_cvt_f32_u32 s3, s10
	s_cvt_f32_u32 s7, s11
	s_sub_nc_u64 s[20:21], 0, s[10:11]
	s_delay_alu instid0(SALU_CYCLE_2) | instskip(NEXT) | instid1(SALU_CYCLE_3)
	s_fmamk_f32 s3, s7, 0x4f800000, s3
	v_s_rcp_f32 s3, s3
	s_delay_alu instid0(TRANS32_DEP_1) | instskip(NEXT) | instid1(SALU_CYCLE_3)
	s_mul_f32 s3, s3, 0x5f7ffffc
	s_mul_f32 s7, s3, 0x2f800000
	s_delay_alu instid0(SALU_CYCLE_3) | instskip(NEXT) | instid1(SALU_CYCLE_3)
	s_trunc_f32 s7, s7
	s_fmamk_f32 s3, s7, 0xcf800000, s3
	s_cvt_u32_f32 s13, s7
	s_delay_alu instid0(SALU_CYCLE_2) | instskip(NEXT) | instid1(SALU_CYCLE_3)
	s_cvt_u32_f32 s12, s3
	s_mul_u64 s[24:25], s[20:21], s[12:13]
	s_delay_alu instid0(SALU_CYCLE_1)
	s_mul_hi_u32 s29, s12, s25
	s_mul_i32 s28, s12, s25
	s_mul_hi_u32 s22, s12, s24
	s_mul_i32 s7, s13, s24
	s_add_nc_u64 s[22:23], s[22:23], s[28:29]
	s_mul_hi_u32 s3, s13, s24
	s_mul_hi_u32 s14, s13, s25
	s_add_co_u32 s7, s22, s7
	s_add_co_ci_u32 s26, s23, s3
	s_mul_i32 s24, s13, s25
	s_add_co_ci_u32 s25, s14, 0
	s_delay_alu instid0(SALU_CYCLE_1) | instskip(SKIP_3) | instid1(SALU_CYCLE_1)
	s_add_nc_u64 s[22:23], s[26:27], s[24:25]
	s_mov_b32 s25, s17
	s_add_co_u32 s12, s12, s22
	s_cselect_b32 s3, -1, 0
	s_cmp_lg_u32 s3, 0
	s_add_co_ci_u32 s13, s13, s23
	s_mov_b32 s23, s17
	s_mul_u64 s[20:21], s[20:21], s[12:13]
	s_delay_alu instid0(SALU_CYCLE_1)
	s_mul_hi_u32 s27, s12, s21
	s_mul_i32 s26, s12, s21
	s_mul_hi_u32 s22, s12, s20
	s_mul_i32 s7, s13, s20
	s_add_nc_u64 s[22:23], s[22:23], s[26:27]
	s_mul_hi_u32 s3, s13, s20
	s_mul_hi_u32 s14, s13, s21
	s_add_co_u32 s7, s22, s7
	s_add_co_ci_u32 s24, s23, s3
	s_mul_i32 s20, s13, s21
	s_add_co_ci_u32 s21, s14, 0
	s_mov_b32 s23, s17
	s_add_nc_u64 s[20:21], s[24:25], s[20:21]
	s_delay_alu instid0(SALU_CYCLE_1) | instskip(SKIP_1) | instid1(SALU_CYCLE_1)
	s_add_co_u32 s3, s12, s20
	s_cselect_b32 s7, -1, 0
	s_cmp_lg_u32 s7, 0
	s_add_co_ci_u32 s7, s13, s21
	s_ashr_i32 s12, s9, 31
	s_delay_alu instid0(SALU_CYCLE_1) | instskip(NEXT) | instid1(SALU_CYCLE_1)
	s_mov_b32 s13, s12
	s_add_nc_u64 s[20:21], s[8:9], s[12:13]
	s_delay_alu instid0(SALU_CYCLE_1) | instskip(NEXT) | instid1(SALU_CYCLE_1)
	s_xor_b64 s[20:21], s[20:21], s[12:13]
	s_mul_hi_u32 s27, s20, s7
	s_mul_i32 s26, s20, s7
	s_mul_hi_u32 s22, s20, s3
	s_mul_hi_u32 s14, s21, s3
	s_mul_i32 s3, s21, s3
	s_add_nc_u64 s[22:23], s[22:23], s[26:27]
	s_mul_hi_u32 s9, s21, s7
	s_add_co_u32 s3, s22, s3
	s_add_co_ci_u32 s24, s23, s14
	s_mul_i32 s26, s21, s7
	s_add_co_ci_u32 s27, s9, 0
	s_delay_alu instid0(SALU_CYCLE_1) | instskip(NEXT) | instid1(SALU_CYCLE_1)
	s_add_nc_u64 s[22:23], s[24:25], s[26:27]
	s_and_b64 s[24:25], s[22:23], 0xffffffff00000000
	s_delay_alu instid0(SALU_CYCLE_1) | instskip(NEXT) | instid1(SALU_CYCLE_1)
	s_or_b32 s24, s24, s22
	s_mul_u64 s[22:23], s[10:11], s[24:25]
	s_add_nc_u64 s[26:27], s[24:25], 1
	s_sub_co_u32 s3, s20, s22
	s_cselect_b32 s7, -1, 0
	s_sub_co_i32 s9, s21, s23
	s_cmp_lg_u32 s7, 0
	s_add_nc_u64 s[28:29], s[24:25], 2
	s_sub_co_ci_u32 s9, s9, s11
	s_sub_co_u32 s14, s3, s10
	s_cselect_b32 s20, -1, 0
	s_delay_alu instid0(SALU_CYCLE_1) | instskip(SKIP_1) | instid1(SALU_CYCLE_1)
	s_cmp_lg_u32 s20, 0
	s_sub_co_ci_u32 s9, s9, 0
	s_cmp_ge_u32 s9, s11
	s_cselect_b32 s20, -1, 0
	s_cmp_ge_u32 s14, s10
	s_cselect_b32 s14, -1, 0
	s_cmp_eq_u32 s9, s11
	s_cselect_b32 s9, s14, s20
	s_delay_alu instid0(SALU_CYCLE_1) | instskip(SKIP_4) | instid1(SALU_CYCLE_1)
	s_cmp_lg_u32 s9, 0
	s_cselect_b32 s9, s28, s26
	s_cselect_b32 s14, s29, s27
	s_cmp_lg_u32 s7, 0
	s_sub_co_ci_u32 s7, s21, s23
	s_cmp_ge_u32 s7, s11
	s_cselect_b32 s20, -1, 0
	s_cmp_ge_u32 s3, s10
	s_cselect_b32 s3, -1, 0
	s_cmp_eq_u32 s7, s11
	s_cselect_b32 s3, s3, s20
	s_delay_alu instid0(SALU_CYCLE_1) | instskip(SKIP_4) | instid1(SALU_CYCLE_1)
	s_cmp_lg_u32 s3, 0
	s_mov_b32 s3, s17
	s_cselect_b32 s11, s14, s25
	s_cselect_b32 s10, s9, s24
	s_xor_b64 s[12:13], s[12:13], 0
	s_xor_b64 s[10:11], s[10:11], s[12:13]
	s_delay_alu instid0(SALU_CYCLE_1)
	s_sub_nc_u64 s[20:21], s[10:11], s[12:13]
	s_and_not1_b32 vcc_lo, exec_lo, s3
	s_cbranch_vccnz .LBB16_3
.LBB16_2:
	v_cvt_f32_u32_e32 v1, s16
	s_sub_co_i32 s7, 0, s16
	s_mov_b32 s21, 0
	s_delay_alu instid0(VALU_DEP_1) | instskip(SKIP_1) | instid1(TRANS32_DEP_1)
	v_rcp_iflag_f32_e32 v1, v1
	v_nop
	v_mul_f32_e32 v1, 0x4f7ffffe, v1
	s_delay_alu instid0(VALU_DEP_1) | instskip(NEXT) | instid1(VALU_DEP_1)
	v_cvt_u32_f32_e32 v1, v1
	v_readfirstlane_b32 s3, v1
	s_mul_i32 s7, s7, s3
	s_delay_alu instid0(SALU_CYCLE_1) | instskip(NEXT) | instid1(SALU_CYCLE_1)
	s_mul_hi_u32 s7, s3, s7
	s_add_co_i32 s3, s3, s7
	s_delay_alu instid0(SALU_CYCLE_1) | instskip(NEXT) | instid1(SALU_CYCLE_1)
	s_mul_hi_u32 s3, s8, s3
	s_mul_i32 s7, s3, s16
	s_delay_alu instid0(SALU_CYCLE_1)
	s_sub_co_i32 s7, s8, s7
	s_add_co_i32 s8, s3, 1
	s_sub_co_i32 s9, s7, s16
	s_cmp_ge_u32 s7, s16
	s_cselect_b32 s3, s8, s3
	s_cselect_b32 s7, s9, s7
	s_add_co_i32 s8, s3, 1
	s_cmp_ge_u32 s7, s16
	s_cselect_b32 s20, s8, s3
.LBB16_3:
	s_add_co_i32 s8, s2, 1
	s_delay_alu instid0(SALU_CYCLE_1) | instskip(NEXT) | instid1(SALU_CYCLE_1)
	s_ashr_i32 s9, s8, 31
	s_mul_u64 s[8:9], s[18:19], s[8:9]
	s_delay_alu instid0(SALU_CYCLE_1) | instskip(NEXT) | instid1(SALU_CYCLE_1)
	s_and_b64 s[10:11], s[8:9], 0xffffffff00000000
	s_cmp_lg_u64 s[10:11], 0
	s_cbranch_scc0 .LBB16_22
; %bb.4:
	s_add_nc_u64 s[10:11], s[16:17], 0
	s_delay_alu instid0(SALU_CYCLE_1) | instskip(SKIP_4) | instid1(SALU_CYCLE_2)
	s_xor_b64 s[12:13], s[10:11], 0
	s_mov_b32 s11, 0
	s_cvt_f32_u32 s3, s12
	s_cvt_f32_u32 s7, s13
	s_sub_nc_u64 s[24:25], 0, s[12:13]
	s_fmamk_f32 s3, s7, 0x4f800000, s3
	s_delay_alu instid0(SALU_CYCLE_3) | instskip(NEXT) | instid1(TRANS32_DEP_1)
	v_s_rcp_f32 s3, s3
	s_mul_f32 s3, s3, 0x5f7ffffc
	s_delay_alu instid0(SALU_CYCLE_3) | instskip(NEXT) | instid1(SALU_CYCLE_3)
	s_mul_f32 s7, s3, 0x2f800000
	s_trunc_f32 s7, s7
	s_delay_alu instid0(SALU_CYCLE_3) | instskip(SKIP_1) | instid1(SALU_CYCLE_2)
	s_fmamk_f32 s3, s7, 0xcf800000, s3
	s_cvt_u32_f32 s23, s7
	s_cvt_u32_f32 s22, s3
	s_delay_alu instid0(SALU_CYCLE_3) | instskip(NEXT) | instid1(SALU_CYCLE_1)
	s_mul_u64 s[26:27], s[24:25], s[22:23]
	s_mul_hi_u32 s29, s22, s27
	s_mul_i32 s28, s22, s27
	s_mul_hi_u32 s10, s22, s26
	s_mul_i32 s7, s23, s26
	s_add_nc_u64 s[28:29], s[10:11], s[28:29]
	s_mul_hi_u32 s3, s23, s26
	s_mul_hi_u32 s14, s23, s27
	s_add_co_u32 s7, s28, s7
	s_add_co_ci_u32 s10, s29, s3
	s_mul_i32 s26, s23, s27
	s_add_co_ci_u32 s27, s14, 0
	s_delay_alu instid0(SALU_CYCLE_1) | instskip(NEXT) | instid1(SALU_CYCLE_1)
	s_add_nc_u64 s[26:27], s[10:11], s[26:27]
	s_add_co_u32 s22, s22, s26
	s_cselect_b32 s3, -1, 0
	s_delay_alu instid0(SALU_CYCLE_1) | instskip(SKIP_1) | instid1(SALU_CYCLE_1)
	s_cmp_lg_u32 s3, 0
	s_add_co_ci_u32 s23, s23, s27
	s_mul_u64 s[24:25], s[24:25], s[22:23]
	s_delay_alu instid0(SALU_CYCLE_1)
	s_mul_hi_u32 s27, s22, s25
	s_mul_i32 s26, s22, s25
	s_mul_hi_u32 s10, s22, s24
	s_mul_i32 s7, s23, s24
	s_add_nc_u64 s[26:27], s[10:11], s[26:27]
	s_mul_hi_u32 s3, s23, s24
	s_mul_hi_u32 s14, s23, s25
	s_add_co_u32 s7, s26, s7
	s_add_co_ci_u32 s10, s27, s3
	s_mul_i32 s24, s23, s25
	s_add_co_ci_u32 s25, s14, 0
	s_delay_alu instid0(SALU_CYCLE_1) | instskip(NEXT) | instid1(SALU_CYCLE_1)
	s_add_nc_u64 s[24:25], s[10:11], s[24:25]
	s_add_co_u32 s3, s22, s24
	s_cselect_b32 s7, -1, 0
	s_delay_alu instid0(SALU_CYCLE_1) | instskip(SKIP_2) | instid1(SALU_CYCLE_1)
	s_cmp_lg_u32 s7, 0
	s_add_co_ci_u32 s7, s23, s25
	s_ashr_i32 s22, s9, 31
	s_mov_b32 s23, s22
	s_delay_alu instid0(SALU_CYCLE_1) | instskip(NEXT) | instid1(SALU_CYCLE_1)
	s_add_nc_u64 s[24:25], s[8:9], s[22:23]
	s_xor_b64 s[24:25], s[24:25], s[22:23]
	s_delay_alu instid0(SALU_CYCLE_1)
	s_mul_hi_u32 s27, s24, s7
	s_mul_i32 s26, s24, s7
	s_mul_hi_u32 s10, s24, s3
	s_mul_hi_u32 s14, s25, s3
	s_mul_i32 s3, s25, s3
	s_add_nc_u64 s[26:27], s[10:11], s[26:27]
	s_mul_hi_u32 s9, s25, s7
	s_add_co_u32 s3, s26, s3
	s_add_co_ci_u32 s10, s27, s14
	s_mul_i32 s28, s25, s7
	s_add_co_ci_u32 s29, s9, 0
	s_delay_alu instid0(SALU_CYCLE_1) | instskip(NEXT) | instid1(SALU_CYCLE_1)
	s_add_nc_u64 s[26:27], s[10:11], s[28:29]
	s_and_b64 s[28:29], s[26:27], 0xffffffff00000000
	s_delay_alu instid0(SALU_CYCLE_1) | instskip(NEXT) | instid1(SALU_CYCLE_1)
	s_or_b32 s28, s28, s26
	s_mul_u64 s[26:27], s[12:13], s[28:29]
	s_add_nc_u64 s[30:31], s[28:29], 1
	s_sub_co_u32 s3, s24, s26
	s_cselect_b32 s7, -1, 0
	s_sub_co_i32 s9, s25, s27
	s_cmp_lg_u32 s7, 0
	s_add_nc_u64 s[34:35], s[28:29], 2
	s_sub_co_ci_u32 s9, s9, s13
	s_sub_co_u32 s10, s3, s12
	s_cselect_b32 s14, -1, 0
	s_delay_alu instid0(SALU_CYCLE_1) | instskip(SKIP_1) | instid1(SALU_CYCLE_1)
	s_cmp_lg_u32 s14, 0
	s_sub_co_ci_u32 s9, s9, 0
	s_cmp_ge_u32 s9, s13
	s_cselect_b32 s14, -1, 0
	s_cmp_ge_u32 s10, s12
	s_cselect_b32 s10, -1, 0
	s_cmp_eq_u32 s9, s13
	s_cselect_b32 s9, s10, s14
	s_delay_alu instid0(SALU_CYCLE_1) | instskip(SKIP_4) | instid1(SALU_CYCLE_1)
	s_cmp_lg_u32 s9, 0
	s_cselect_b32 s9, s34, s30
	s_cselect_b32 s10, s35, s31
	s_cmp_lg_u32 s7, 0
	s_sub_co_ci_u32 s7, s25, s27
	s_cmp_ge_u32 s7, s13
	s_cselect_b32 s14, -1, 0
	s_cmp_ge_u32 s3, s12
	s_cselect_b32 s3, -1, 0
	s_cmp_eq_u32 s7, s13
	s_cselect_b32 s3, s3, s14
	s_delay_alu instid0(SALU_CYCLE_1) | instskip(SKIP_3) | instid1(SALU_CYCLE_1)
	s_cmp_lg_u32 s3, 0
	s_cselect_b32 s13, s10, s29
	s_cselect_b32 s12, s9, s28
	s_xor_b64 s[22:23], s[22:23], 0
	s_xor_b64 s[12:13], s[12:13], s[22:23]
	s_delay_alu instid0(SALU_CYCLE_1)
	s_sub_nc_u64 s[24:25], s[12:13], s[22:23]
	s_load_b96 s[12:14], s[0:1], 0x44
	s_cbranch_execnz .LBB16_6
.LBB16_5:
	v_cvt_f32_u32_e32 v1, s16
	s_sub_co_i32 s7, 0, s16
	s_delay_alu instid0(VALU_DEP_1) | instskip(SKIP_1) | instid1(TRANS32_DEP_1)
	v_rcp_iflag_f32_e32 v1, v1
	v_nop
	v_mul_f32_e32 v1, 0x4f7ffffe, v1
	s_delay_alu instid0(VALU_DEP_1) | instskip(NEXT) | instid1(VALU_DEP_1)
	v_cvt_u32_f32_e32 v1, v1
	v_readfirstlane_b32 s3, v1
	s_mul_i32 s7, s7, s3
	s_delay_alu instid0(SALU_CYCLE_1) | instskip(NEXT) | instid1(SALU_CYCLE_1)
	s_mul_hi_u32 s7, s3, s7
	s_add_co_i32 s3, s3, s7
	s_delay_alu instid0(SALU_CYCLE_1) | instskip(NEXT) | instid1(SALU_CYCLE_1)
	s_mul_hi_u32 s3, s8, s3
	s_mul_i32 s7, s3, s16
	s_delay_alu instid0(SALU_CYCLE_1)
	s_sub_co_i32 s7, s8, s7
	s_add_co_i32 s8, s3, 1
	s_sub_co_i32 s9, s7, s16
	s_cmp_ge_u32 s7, s16
	s_cselect_b32 s3, s8, s3
	s_cselect_b32 s7, s9, s7
	s_add_co_i32 s8, s3, 1
	s_cmp_ge_u32 s7, s16
	s_cselect_b32 s24, s8, s3
.LBB16_6:
	s_delay_alu instid0(SALU_CYCLE_1)
	s_cmp_eq_u32 s20, s24
	s_mov_b64 s[8:9], 0xffffffff
	s_cselect_b32 s3, -1, 0
	s_and_b64 s[8:9], s[20:21], s[8:9]
	s_mov_b32 s23, 0
	s_wait_kmcnt 0x0
	s_mov_b32 s22, s12
	s_mov_b32 s25, s23
	s_mul_u64 s[10:11], s[8:9], s[22:23]
	s_delay_alu instid0(SALU_CYCLE_1) | instskip(SKIP_2) | instid1(SALU_CYCLE_1)
	s_add_co_i32 s7, s11, s20
	s_mul_u64 s[10:11], s[24:25], s[22:23]
	s_lshr_b32 s12, s7, s13
	s_mul_i32 s7, s12, s14
	s_delay_alu instid0(SALU_CYCLE_1) | instskip(SKIP_2) | instid1(SALU_CYCLE_1)
	s_cmp_eq_u32 s7, s20
	s_cselect_b32 s7, -1, 0
	s_add_co_i32 s10, s11, s24
	s_lshr_b32 s10, s10, s13
	s_delay_alu instid0(SALU_CYCLE_1)
	s_cmp_eq_u32 s12, s10
	s_mul_i32 s10, s10, s14
	s_cselect_b32 s11, -1, 0
	s_cmp_lg_u32 s10, s24
	s_cselect_b32 s10, -1, 0
	s_or_b32 s3, s3, s7
	s_and_b32 s10, s11, s10
	s_delay_alu instid0(SALU_CYCLE_1) | instskip(NEXT) | instid1(SALU_CYCLE_1)
	s_or_b32 s3, s3, s10
	s_and_b32 vcc_lo, exec_lo, s3
	s_cbranch_vccnz .LBB16_24
; %bb.7:
	s_load_b256 s[24:31], s[0:1], 0x20
	s_bfe_u32 s7, ttmp6, 0x40014
	s_bfe_u32 s33, ttmp6, 0x40010
	s_lshr_b32 s3, ttmp7, 16
	s_add_co_i32 s7, s7, 1
	s_and_b32 s21, ttmp7, 0xffff
	s_add_co_i32 s33, s33, 1
	s_bfe_u32 s10, ttmp6, 0x40008
	s_mul_i32 s7, s3, s7
	s_bfe_u32 s34, ttmp6, 0x40004
	s_mul_i32 s33, s21, s33
	s_mov_b32 s11, s23
	s_add_co_i32 s35, s10, s7
	s_add_co_i32 s34, s34, s33
	s_cmp_eq_u32 s15, 0
	s_cselect_b32 s7, s21, s34
	s_cselect_b32 s3, s3, s35
	s_wait_kmcnt 0x0
	s_mov_b32 s10, s24
	s_delay_alu instid0(SALU_CYCLE_1) | instskip(NEXT) | instid1(SALU_CYCLE_1)
	s_mul_u64 s[8:9], s[8:9], s[10:11]
	s_add_co_i32 s8, s9, s20
	s_load_b32 s9, s[0:1], 0x40
	s_lshr_b32 s8, s8, s25
	s_delay_alu instid0(SALU_CYCLE_1) | instskip(NEXT) | instid1(SALU_CYCLE_1)
	s_mul_i32 s10, s8, s26
	s_sub_co_i32 s10, s20, s10
	s_delay_alu instid0(SALU_CYCLE_1) | instskip(NEXT) | instid1(SALU_CYCLE_1)
	s_mul_hi_u32 s11, s10, s27
	s_add_co_i32 s11, s10, s11
	s_delay_alu instid0(SALU_CYCLE_1) | instskip(NEXT) | instid1(SALU_CYCLE_1)
	s_lshr_b32 s15, s11, s28
	s_mul_i32 s11, s15, s29
	s_delay_alu instid0(SALU_CYCLE_1) | instskip(NEXT) | instid1(SALU_CYCLE_1)
	s_sub_co_i32 s10, s10, s11
	s_mul_hi_u32 s11, s10, s30
	s_delay_alu instid0(SALU_CYCLE_1) | instskip(NEXT) | instid1(SALU_CYCLE_1)
	s_add_co_i32 s11, s10, s11
	s_lshr_b32 s26, s11, s31
	s_mov_b32 s11, s23
	s_wait_kmcnt 0x0
	s_mul_i32 s9, s26, s9
	s_delay_alu instid0(SALU_CYCLE_1) | instskip(NEXT) | instid1(SALU_CYCLE_1)
	s_sub_co_i32 s10, s10, s9
	s_mul_u64 s[24:25], s[10:11], s[22:23]
	s_lshl_b32 s24, s26, 2
	s_add_co_i32 s9, s10, s25
	s_delay_alu instid0(SALU_CYCLE_1) | instskip(NEXT) | instid1(SALU_CYCLE_1)
	s_lshr_b32 s21, s9, s13
	s_lshl_b32 s9, s21, 3
	s_delay_alu instid0(SALU_CYCLE_1) | instskip(NEXT) | instid1(SALU_CYCLE_1)
	s_add_co_i32 s9, s9, s7
	s_cmp_lt_i32 s9, s4
	s_cselect_b32 s9, -1, 0
	s_add_co_i32 s10, s24, s3
	s_delay_alu instid0(SALU_CYCLE_1) | instskip(SKIP_1) | instid1(SALU_CYCLE_1)
	s_cmp_lt_i32 s10, s6
	s_cselect_b32 s10, -1, 0
	s_and_b32 s9, s9, s10
	s_delay_alu instid0(SALU_CYCLE_1)
	s_and_not1_b32 vcc_lo, exec_lo, s9
	s_cbranch_vccnz .LBB16_24
; %bb.8:
	s_mul_i32 s4, s8, s4
	s_load_b128 s[8:11], s[0:1], 0x0
	s_wait_xcnt 0x0
	s_add_co_i32 s0, s4, s7
	s_mul_i32 s15, s15, s6
	s_mul_i32 s0, s0, s5
	;; [unrolled: 1-line block ×3, first 2 shown]
	s_add_co_i32 s0, s0, s3
	s_lshl_b32 s1, s1, 11
	s_add_co_i32 s0, s0, s15
	s_lshl_b32 s15, s7, 2
	s_add_co_i32 s0, s0, s24
	s_add_co_i32 s15, s15, s3
	s_lshl_b32 s0, s0, 8
	v_lshl_or_b32 v6, s15, 8, v0
	s_add_co_i32 s1, s1, s0
	v_cvt_f32_u32_e32 v4, s16
	v_or_b32_e32 v2, s1, v0
	s_add_nc_u64 s[0:1], s[16:17], 0
	s_lshl_b32 s24, s16, 7
	s_xor_b64 s[6:7], s[0:1], 0
	s_lshl_b32 s0, s2, 5
	s_cvt_f32_u32 s3, s6
	s_add_co_i32 s0, s15, s0
	s_cvt_f32_u32 s4, s7
	s_ashr_i32 s1, s0, 31
	v_rcp_iflag_f32_e32 v4, v4
	s_lshl_b64 s[0:1], s[0:1], 3
	s_fmamk_f32 s3, s4, 0x4f800000, s3
	s_wait_kmcnt 0x0
	s_add_nc_u64 s[0:1], s[10:11], s[0:1]
	s_mov_b32 s25, 0
	s_load_b64 s[28:29], s[0:1], 0x0
	v_s_rcp_f32 s3, s3
	s_wait_xcnt 0x0
	s_lshl_b64 s[0:1], s[24:25], 2
	s_add_co_i32 s36, s2, -1
	s_add_nc_u64 s[26:27], s[10:11], s[0:1]
	s_sub_nc_u64 s[34:35], 0, s[6:7]
	v_mul_f32_e32 v4, 0x4f7ffffe, v4
	s_delay_alu instid0(TRANS32_DEP_1) | instskip(NEXT) | instid1(VALU_DEP_1)
	s_mul_f32 s3, s3, 0x5f7ffffc
	v_cvt_u32_f32_e32 v7, v4
	s_delay_alu instid0(SALU_CYCLE_2) | instskip(NEXT) | instid1(SALU_CYCLE_3)
	s_mul_f32 s4, s3, 0x2f800000
	s_trunc_f32 s4, s4
	s_wait_kmcnt 0x0
	v_mov_b32_e32 v0, s29
	global_load_b32 v1, v2, s[8:9] scale_offset
	v_ashrrev_i32_e32 v3, 31, v2
	s_fmamk_f32 s0, s4, 0xcf800000, s3
	s_cvt_u32_f32 s31, s4
	s_wait_xcnt 0x0
	s_delay_alu instid0(VALU_DEP_1)
	v_lshl_add_u64 v[2:3], v[2:3], 2, s[8:9]
	s_cvt_u32_f32 s30, s0
	s_mov_b64 s[8:9], 0xffffffff
.LBB16_9:                               ; =>This Inner Loop Header: Depth=1
	s_ashr_i32 s37, s36, 31
                                        ; implicit-def: $sgpr40_sgpr41
	s_delay_alu instid0(SALU_CYCLE_1) | instskip(NEXT) | instid1(SALU_CYCLE_1)
	s_mul_u64 s[0:1], s[36:37], s[18:19]
	s_and_b64 s[2:3], s[0:1], 0xffffffff00000000
	s_delay_alu instid0(SALU_CYCLE_1)
	s_cmp_lg_u64 s[2:3], 0
	s_mov_b32 s2, -1
	s_cbranch_scc0 .LBB16_11
; %bb.10:                               ;   in Loop: Header=BB16_9 Depth=1
	s_mul_u64 s[2:3], s[34:35], s[30:31]
	s_delay_alu instid0(SALU_CYCLE_1)
	s_mul_hi_u32 s5, s30, s3
	s_mul_i32 s4, s30, s3
	s_mul_hi_u32 s24, s30, s2
	s_mul_hi_u32 s17, s31, s2
	s_add_nc_u64 s[4:5], s[24:25], s[4:5]
	s_mul_i32 s2, s31, s2
	s_mul_hi_u32 s21, s31, s3
	s_add_co_u32 s2, s4, s2
	s_add_co_ci_u32 s24, s5, s17
	s_add_co_ci_u32 s5, s21, 0
	s_mul_i32 s4, s31, s3
	s_delay_alu instid0(SALU_CYCLE_1) | instskip(NEXT) | instid1(SALU_CYCLE_1)
	s_add_nc_u64 s[2:3], s[24:25], s[4:5]
	s_add_co_u32 s2, s30, s2
	s_cselect_b32 s4, -1, 0
	s_delay_alu instid0(SALU_CYCLE_1) | instskip(SKIP_1) | instid1(SALU_CYCLE_1)
	s_cmp_lg_u32 s4, 0
	s_add_co_ci_u32 s3, s31, s3
	s_mul_u64 s[4:5], s[34:35], s[2:3]
	s_delay_alu instid0(SALU_CYCLE_1)
	s_mul_hi_u32 s39, s2, s5
	s_mul_i32 s38, s2, s5
	s_mul_hi_u32 s24, s2, s4
	s_mul_hi_u32 s17, s3, s4
	s_mul_i32 s4, s3, s4
	s_add_nc_u64 s[38:39], s[24:25], s[38:39]
	s_mul_hi_u32 s21, s3, s5
	s_add_co_u32 s4, s38, s4
	s_add_co_ci_u32 s24, s39, s17
	s_mul_i32 s4, s3, s5
	s_add_co_ci_u32 s5, s21, 0
	s_delay_alu instid0(SALU_CYCLE_1) | instskip(NEXT) | instid1(SALU_CYCLE_1)
	s_add_nc_u64 s[4:5], s[24:25], s[4:5]
	s_add_co_u32 s17, s2, s4
	s_cselect_b32 s2, -1, 0
	s_delay_alu instid0(SALU_CYCLE_1) | instskip(SKIP_2) | instid1(SALU_CYCLE_1)
	s_cmp_lg_u32 s2, 0
	s_add_co_ci_u32 s21, s3, s5
	s_ashr_i32 s2, s1, 31
	s_mov_b32 s3, s2
	s_delay_alu instid0(SALU_CYCLE_1) | instskip(NEXT) | instid1(SALU_CYCLE_1)
	s_add_nc_u64 s[4:5], s[0:1], s[2:3]
	s_xor_b64 s[4:5], s[4:5], s[2:3]
	s_delay_alu instid0(SALU_CYCLE_1)
	s_mul_hi_u32 s39, s4, s21
	s_mul_i32 s38, s4, s21
	s_mul_hi_u32 s24, s4, s17
	s_mul_hi_u32 s29, s5, s17
	s_mul_i32 s17, s5, s17
	s_add_nc_u64 s[38:39], s[24:25], s[38:39]
	s_mul_hi_u32 s1, s5, s21
	s_add_co_u32 s17, s38, s17
	s_add_co_ci_u32 s24, s39, s29
	s_mul_i32 s40, s5, s21
	s_add_co_ci_u32 s41, s1, 0
	s_delay_alu instid0(SALU_CYCLE_1) | instskip(NEXT) | instid1(SALU_CYCLE_1)
	s_add_nc_u64 s[38:39], s[24:25], s[40:41]
	s_and_b64 s[40:41], s[38:39], 0xffffffff00000000
	s_delay_alu instid0(SALU_CYCLE_1) | instskip(NEXT) | instid1(SALU_CYCLE_1)
	s_or_b32 s40, s40, s38
	s_mul_u64 s[38:39], s[6:7], s[40:41]
	s_add_nc_u64 s[42:43], s[40:41], 1
	s_sub_co_u32 s1, s4, s38
	s_cselect_b32 s4, -1, 0
	s_sub_co_i32 s17, s5, s39
	s_cmp_lg_u32 s4, 0
	s_add_nc_u64 s[44:45], s[40:41], 2
	s_sub_co_ci_u32 s17, s17, s7
	s_sub_co_u32 s21, s1, s6
	s_cselect_b32 s24, -1, 0
	s_delay_alu instid0(SALU_CYCLE_1) | instskip(SKIP_1) | instid1(SALU_CYCLE_1)
	s_cmp_lg_u32 s24, 0
	s_sub_co_ci_u32 s17, s17, 0
	s_cmp_ge_u32 s17, s7
	s_cselect_b32 s24, -1, 0
	s_cmp_ge_u32 s21, s6
	s_cselect_b32 s21, -1, 0
	s_cmp_eq_u32 s17, s7
	s_cselect_b32 s17, s21, s24
	s_delay_alu instid0(SALU_CYCLE_1) | instskip(SKIP_4) | instid1(SALU_CYCLE_1)
	s_cmp_lg_u32 s17, 0
	s_cselect_b32 s17, s44, s42
	s_cselect_b32 s21, s45, s43
	s_cmp_lg_u32 s4, 0
	s_sub_co_ci_u32 s4, s5, s39
	s_cmp_ge_u32 s4, s7
	s_cselect_b32 s5, -1, 0
	s_cmp_ge_u32 s1, s6
	s_cselect_b32 s1, -1, 0
	s_cmp_eq_u32 s4, s7
	s_cselect_b32 s1, s1, s5
	s_delay_alu instid0(SALU_CYCLE_1) | instskip(SKIP_3) | instid1(SALU_CYCLE_1)
	s_cmp_lg_u32 s1, 0
	s_cselect_b32 s5, s21, s41
	s_cselect_b32 s4, s17, s40
	s_xor_b64 s[2:3], s[2:3], 0
	s_xor_b64 s[4:5], s[4:5], s[2:3]
	s_delay_alu instid0(SALU_CYCLE_1)
	s_sub_nc_u64 s[40:41], s[4:5], s[2:3]
	s_mov_b32 s2, 0
.LBB16_11:                              ;   in Loop: Header=BB16_9 Depth=1
	s_delay_alu instid0(SALU_CYCLE_1)
	s_and_not1_b32 vcc_lo, exec_lo, s2
	s_cbranch_vccnz .LBB16_13
; %bb.12:                               ;   in Loop: Header=BB16_9 Depth=1
	v_readfirstlane_b32 s1, v7
	s_sub_co_i32 s2, 0, s16
	s_delay_alu instid0(SALU_CYCLE_1) | instskip(NEXT) | instid1(SALU_CYCLE_1)
	s_mul_i32 s2, s2, s1
	s_mul_hi_u32 s2, s1, s2
	s_delay_alu instid0(SALU_CYCLE_1) | instskip(NEXT) | instid1(SALU_CYCLE_1)
	s_add_co_i32 s1, s1, s2
	s_mul_hi_u32 s1, s0, s1
	s_delay_alu instid0(SALU_CYCLE_1) | instskip(NEXT) | instid1(SALU_CYCLE_1)
	s_mul_i32 s2, s1, s16
	s_sub_co_i32 s0, s0, s2
	s_add_co_i32 s2, s1, 1
	s_sub_co_i32 s3, s0, s16
	s_cmp_ge_u32 s0, s16
	s_cselect_b32 s1, s2, s1
	s_cselect_b32 s0, s3, s0
	s_add_co_i32 s2, s1, 1
	s_cmp_ge_u32 s0, s16
	s_cselect_b32 s24, s2, s1
	s_delay_alu instid0(SALU_CYCLE_1)
	s_mov_b64 s[40:41], s[24:25]
.LBB16_13:                              ;   in Loop: Header=BB16_9 Depth=1
	s_delay_alu instid0(SALU_CYCLE_1)
	s_cmp_lg_u32 s20, s40
	s_mov_b32 s0, -1
                                        ; implicit-def: $vgpr4_vgpr5
                                        ; implicit-def: $sgpr24
                                        ; implicit-def: $sgpr17
                                        ; implicit-def: $sgpr21
                                        ; implicit-def: $sgpr29
	s_cbranch_scc0 .LBB16_18
; %bb.14:                               ;   in Loop: Header=BB16_9 Depth=1
	s_add_co_i32 s0, s36, s16
	v_max_num_f32_e64 v4, s28, s28
	s_lshl_b32 s0, s0, 5
	s_mov_b32 s29, s20
	s_add_co_i32 s0, s0, s15
	s_load_b64 s[38:39], s[10:11], s0 offset:0x0 scale_offset
	s_wait_xcnt 0x0
	v_readfirstlane_b32 s0, v4
	s_wait_kmcnt 0x0
	v_max_num_f32_e64 v5, s38, s38
	s_delay_alu instid0(VALU_DEP_1) | instskip(SKIP_1) | instid1(SALU_CYCLE_3)
	v_readfirstlane_b32 s1, v5
	s_max_num_f32 s17, s0, s1
	s_sub_f32 s33, s28, s17
	s_sub_f32 s37, s38, s17
	s_delay_alu instid0(SALU_CYCLE_2)
	s_cmp_nlt_f32 s33, 0xc2ce8ed0
	s_cselect_b32 s1, -1, 0
	s_cmp_ngt_f32 s33, 0x42b17218
	s_cselect_b32 s2, -1, 0
	s_cmp_ge_f32 s33, 0xc1a00000
	s_cselect_b32 s0, -1, 0
	s_cmp_nlt_f32 s37, 0xc2ce8ed0
	s_cselect_b32 s3, -1, 0
	s_cmp_ngt_f32 s37, 0x42b17218
	s_cselect_b32 s4, -1, 0
	s_cmp_ge_f32 s37, 0xc1a00000
	s_cselect_b32 s5, -1, 0
	s_and_b64 s[42:43], s[40:41], s[8:9]
	s_delay_alu instid0(SALU_CYCLE_1) | instskip(NEXT) | instid1(SALU_CYCLE_1)
	s_mul_u64 s[42:43], s[42:43], s[22:23]
	s_add_co_i32 s21, s43, s40
	s_delay_alu instid0(SALU_CYCLE_1) | instskip(NEXT) | instid1(SALU_CYCLE_1)
	s_lshr_b32 s21, s21, s13
	s_mul_i32 s24, s21, s14
	s_delay_alu instid0(SALU_CYCLE_1) | instskip(SKIP_3) | instid1(SALU_CYCLE_1)
	s_cmp_eq_u32 s24, s40
	s_cselect_b32 s24, -1, 0
	s_cmp_lt_u32 s21, s12
	s_cselect_b32 s21, -1, 0
	s_or_b32 s21, s21, s24
	s_mov_b32 s24, -1
	s_and_b32 vcc_lo, exec_lo, s21
	s_mov_b32 s21, s36
	s_cbranch_vccnz .LBB16_16
; %bb.15:                               ;   in Loop: Header=BB16_9 Depth=1
	s_add_co_i32 s21, s36, -1
	s_mov_b32 s24, 0
	s_mov_b32 s29, s40
.LBB16_16:                              ;   in Loop: Header=BB16_9 Depth=1
	v_lshl_add_u32 v4, s36, 13, v6
	s_mul_f32 s40, s33, 0x3fb8aa3b
	s_mul_f32 s38, s37, 0x3fb8aa3b
	s_delay_alu instid0(SALU_CYCLE_2)
	s_xor_b32 s42, s40, 0x80000000
	global_load_b32 v5, v4, s[26:27] scale_offset
	s_fmamk_f32 s42, s33, 0x3fb8aa3b, s42
	s_rndne_f32 s44, s40
	s_xor_b32 s41, s38, 0x80000000
	s_rndne_f32 s43, s38
	s_fmamk_f32 s33, s33, 0x32a5705f, s42
	s_sub_f32 s40, s40, s44
	s_fmamk_f32 s41, s37, 0x3fb8aa3b, s41
	s_sub_f32 s38, s38, s43
	s_delay_alu instid0(SALU_CYCLE_1) | instskip(NEXT) | instid1(SALU_CYCLE_1)
	s_add_f32 s33, s40, s33
	s_fmamk_f32 s37, s37, 0x32a5705f, s41
	s_cvt_i32_f32 s40, s44
	s_delay_alu instid0(SALU_CYCLE_1) | instskip(NEXT) | instid1(SALU_CYCLE_1)
	v_s_exp_f32 s33, s33
	s_add_f32 s37, s38, s37
	s_cvt_i32_f32 s38, s43
	s_delay_alu instid0(SALU_CYCLE_2) | instskip(NEXT) | instid1(TRANS32_DEP_2)
	v_s_exp_f32 s37, s37
	v_ldexp_f32 v8, s33, s40
	s_wait_xcnt 0x0
	s_delay_alu instid0(TRANS32_DEP_1) | instskip(NEXT) | instid1(VALU_DEP_2)
	v_ldexp_f32 v4, s37, s38
	v_cndmask_b32_e64 v8, 0, v8, s1
	s_delay_alu instid0(VALU_DEP_1) | instskip(NEXT) | instid1(VALU_DEP_1)
	v_cndmask_b32_e64 v9, 0x7f800000, v8, s2
	v_dual_cndmask_b32 v4, 0, v4, s3 :: v_dual_cndmask_b32 v10, 0, v9, s0
	s_delay_alu instid0(VALU_DEP_1) | instskip(NEXT) | instid1(VALU_DEP_1)
	v_cndmask_b32_e64 v4, 0x7f800000, v4, s4
	v_dual_cndmask_b32 v8, 0, v4, s5 :: v_dual_mov_b32 v4, s39
	s_wait_loadcnt 0x0
	s_delay_alu instid0(VALU_DEP_1) | instskip(NEXT) | instid1(VALU_DEP_1)
	v_pk_mul_f32 v[4:5], v[4:5], v[8:9] op_sel_hi:[1,0]
	v_pk_fma_f32 v[4:5], v[0:1], v[10:11], v[4:5] op_sel_hi:[1,0,1]
	s_cbranch_execz .LBB16_19
.LBB16_17:                              ;   in Loop: Header=BB16_9 Depth=1
	s_and_not1_b32 vcc_lo, exec_lo, s24
	s_cbranch_vccnz .LBB16_20
	s_branch .LBB16_23
.LBB16_18:                              ;   in Loop: Header=BB16_9 Depth=1
	s_and_not1_b32 vcc_lo, exec_lo, s0
	s_cbranch_vccnz .LBB16_17
.LBB16_19:                              ;   in Loop: Header=BB16_9 Depth=1
	s_wait_loadcnt 0x0
	v_mov_b64_e32 v[4:5], v[0:1]
	s_add_co_i32 s21, s36, -1
	s_mov_b32 s29, s20
	s_mov_b32 s17, s28
	s_cbranch_execz .LBB16_23
.LBB16_20:                              ;   in Loop: Header=BB16_9 Depth=1
	s_wait_loadcnt 0x0
	s_delay_alu instid0(VALU_DEP_1)
	v_mov_b64_e32 v[0:1], v[4:5]
	s_mov_b32 s20, s29
	s_mov_b32 s36, s21
	s_mov_b32 s28, s17
	s_branch .LBB16_9
.LBB16_21:
                                        ; implicit-def: $sgpr20_sgpr21
	s_branch .LBB16_2
.LBB16_22:
                                        ; implicit-def: $sgpr24_sgpr25
	s_load_b96 s[12:14], s[0:1], 0x44
	s_branch .LBB16_5
.LBB16_23:
	s_delay_alu instid0(VALU_DEP_1) | instskip(SKIP_1) | instid1(VALU_DEP_1)
	v_div_scale_f32 v0, null, v4, v4, v5
	s_wait_loadcnt 0x0
	v_rcp_f32_e32 v1, v0
	v_nop
	s_delay_alu instid0(TRANS32_DEP_1) | instskip(NEXT) | instid1(VALU_DEP_1)
	v_fma_f32 v6, -v0, v1, 1.0
	v_fmac_f32_e32 v1, v6, v1
	v_div_scale_f32 v6, vcc_lo, v5, v4, v5
	s_delay_alu instid0(VALU_DEP_1) | instskip(NEXT) | instid1(VALU_DEP_1)
	v_mul_f32_e32 v7, v6, v1
	v_fma_f32 v8, -v0, v7, v6
	s_delay_alu instid0(VALU_DEP_1) | instskip(NEXT) | instid1(VALU_DEP_1)
	v_fmac_f32_e32 v7, v8, v1
	v_fma_f32 v0, -v0, v7, v6
	s_delay_alu instid0(VALU_DEP_1) | instskip(NEXT) | instid1(VALU_DEP_1)
	v_div_fmas_f32 v0, v0, v1, v7
	v_div_fixup_f32 v0, v0, v4, v5
	global_store_b32 v[2:3], v0, off
.LBB16_24:
	s_endpgm
	.section	.rodata,"a",@progbits
	.p2align	6, 0x0
	.amdhsa_kernel _ZL33flash_attn_stream_k_fixup_generalILi256ELi8ELi4EEvPfPK15HIP_vector_typeIfLj2EEiiiiS1_IjLj3EES5_S5_S5_
		.amdhsa_group_segment_fixed_size 0
		.amdhsa_private_segment_fixed_size 0
		.amdhsa_kernarg_size 336
		.amdhsa_user_sgpr_count 2
		.amdhsa_user_sgpr_dispatch_ptr 0
		.amdhsa_user_sgpr_queue_ptr 0
		.amdhsa_user_sgpr_kernarg_segment_ptr 1
		.amdhsa_user_sgpr_dispatch_id 0
		.amdhsa_user_sgpr_kernarg_preload_length 0
		.amdhsa_user_sgpr_kernarg_preload_offset 0
		.amdhsa_user_sgpr_private_segment_size 0
		.amdhsa_wavefront_size32 1
		.amdhsa_uses_dynamic_stack 0
		.amdhsa_enable_private_segment 0
		.amdhsa_system_sgpr_workgroup_id_x 1
		.amdhsa_system_sgpr_workgroup_id_y 1
		.amdhsa_system_sgpr_workgroup_id_z 1
		.amdhsa_system_sgpr_workgroup_info 0
		.amdhsa_system_vgpr_workitem_id 0
		.amdhsa_next_free_vgpr 12
		.amdhsa_next_free_sgpr 46
		.amdhsa_named_barrier_count 0
		.amdhsa_reserve_vcc 1
		.amdhsa_float_round_mode_32 0
		.amdhsa_float_round_mode_16_64 0
		.amdhsa_float_denorm_mode_32 3
		.amdhsa_float_denorm_mode_16_64 3
		.amdhsa_fp16_overflow 0
		.amdhsa_memory_ordered 1
		.amdhsa_forward_progress 1
		.amdhsa_inst_pref_size 27
		.amdhsa_round_robin_scheduling 0
		.amdhsa_exception_fp_ieee_invalid_op 0
		.amdhsa_exception_fp_denorm_src 0
		.amdhsa_exception_fp_ieee_div_zero 0
		.amdhsa_exception_fp_ieee_overflow 0
		.amdhsa_exception_fp_ieee_underflow 0
		.amdhsa_exception_fp_ieee_inexact 0
		.amdhsa_exception_int_div_zero 0
	.end_amdhsa_kernel
	.section	.text._ZL33flash_attn_stream_k_fixup_generalILi256ELi8ELi4EEvPfPK15HIP_vector_typeIfLj2EEiiiiS1_IjLj3EES5_S5_S5_,"axG",@progbits,_ZL33flash_attn_stream_k_fixup_generalILi256ELi8ELi4EEvPfPK15HIP_vector_typeIfLj2EEiiiiS1_IjLj3EES5_S5_S5_,comdat
.Lfunc_end16:
	.size	_ZL33flash_attn_stream_k_fixup_generalILi256ELi8ELi4EEvPfPK15HIP_vector_typeIfLj2EEiiiiS1_IjLj3EES5_S5_S5_, .Lfunc_end16-_ZL33flash_attn_stream_k_fixup_generalILi256ELi8ELi4EEvPfPK15HIP_vector_typeIfLj2EEiiiiS1_IjLj3EES5_S5_S5_
                                        ; -- End function
	.set _ZL33flash_attn_stream_k_fixup_generalILi256ELi8ELi4EEvPfPK15HIP_vector_typeIfLj2EEiiiiS1_IjLj3EES5_S5_S5_.num_vgpr, 12
	.set _ZL33flash_attn_stream_k_fixup_generalILi256ELi8ELi4EEvPfPK15HIP_vector_typeIfLj2EEiiiiS1_IjLj3EES5_S5_S5_.num_agpr, 0
	.set _ZL33flash_attn_stream_k_fixup_generalILi256ELi8ELi4EEvPfPK15HIP_vector_typeIfLj2EEiiiiS1_IjLj3EES5_S5_S5_.numbered_sgpr, 46
	.set _ZL33flash_attn_stream_k_fixup_generalILi256ELi8ELi4EEvPfPK15HIP_vector_typeIfLj2EEiiiiS1_IjLj3EES5_S5_S5_.num_named_barrier, 0
	.set _ZL33flash_attn_stream_k_fixup_generalILi256ELi8ELi4EEvPfPK15HIP_vector_typeIfLj2EEiiiiS1_IjLj3EES5_S5_S5_.private_seg_size, 0
	.set _ZL33flash_attn_stream_k_fixup_generalILi256ELi8ELi4EEvPfPK15HIP_vector_typeIfLj2EEiiiiS1_IjLj3EES5_S5_S5_.uses_vcc, 1
	.set _ZL33flash_attn_stream_k_fixup_generalILi256ELi8ELi4EEvPfPK15HIP_vector_typeIfLj2EEiiiiS1_IjLj3EES5_S5_S5_.uses_flat_scratch, 0
	.set _ZL33flash_attn_stream_k_fixup_generalILi256ELi8ELi4EEvPfPK15HIP_vector_typeIfLj2EEiiiiS1_IjLj3EES5_S5_S5_.has_dyn_sized_stack, 0
	.set _ZL33flash_attn_stream_k_fixup_generalILi256ELi8ELi4EEvPfPK15HIP_vector_typeIfLj2EEiiiiS1_IjLj3EES5_S5_S5_.has_recursion, 0
	.set _ZL33flash_attn_stream_k_fixup_generalILi256ELi8ELi4EEvPfPK15HIP_vector_typeIfLj2EEiiiiS1_IjLj3EES5_S5_S5_.has_indirect_call, 0
	.section	.AMDGPU.csdata,"",@progbits
; Kernel info:
; codeLenInByte = 3360
; TotalNumSgprs: 48
; NumVgprs: 12
; ScratchSize: 0
; MemoryBound: 0
; FloatMode: 240
; IeeeMode: 1
; LDSByteSize: 0 bytes/workgroup (compile time only)
; SGPRBlocks: 0
; VGPRBlocks: 0
; NumSGPRsForWavesPerEU: 48
; NumVGPRsForWavesPerEU: 12
; NamedBarCnt: 0
; Occupancy: 16
; WaveLimiterHint : 0
; COMPUTE_PGM_RSRC2:SCRATCH_EN: 0
; COMPUTE_PGM_RSRC2:USER_SGPR: 2
; COMPUTE_PGM_RSRC2:TRAP_HANDLER: 0
; COMPUTE_PGM_RSRC2:TGID_X_EN: 1
; COMPUTE_PGM_RSRC2:TGID_Y_EN: 1
; COMPUTE_PGM_RSRC2:TGID_Z_EN: 1
; COMPUTE_PGM_RSRC2:TIDIG_COMP_CNT: 0
	.section	.text._ZL15flash_attn_tileILi256ELi256ELi4ELi4ELb0EEvPKcS1_S1_S1_S1_PKiPfP15HIP_vector_typeIfLj2EEffffjfiS5_IjLj3EEiiiiiiiiiiiliiliiiiil,"axG",@progbits,_ZL15flash_attn_tileILi256ELi256ELi4ELi4ELb0EEvPKcS1_S1_S1_S1_PKiPfP15HIP_vector_typeIfLj2EEffffjfiS5_IjLj3EEiiiiiiiiiiiliiliiiiil,comdat
	.globl	_ZL15flash_attn_tileILi256ELi256ELi4ELi4ELb0EEvPKcS1_S1_S1_S1_PKiPfP15HIP_vector_typeIfLj2EEffffjfiS5_IjLj3EEiiiiiiiiiiiliiliiiiil ; -- Begin function _ZL15flash_attn_tileILi256ELi256ELi4ELi4ELb0EEvPKcS1_S1_S1_S1_PKiPfP15HIP_vector_typeIfLj2EEffffjfiS5_IjLj3EEiiiiiiiiiiiliiliiiiil
	.p2align	8
	.type	_ZL15flash_attn_tileILi256ELi256ELi4ELi4ELb0EEvPKcS1_S1_S1_S1_PKiPfP15HIP_vector_typeIfLj2EEffffjfiS5_IjLj3EEiiiiiiiiiiiliiliiiiil,@function
_ZL15flash_attn_tileILi256ELi256ELi4ELi4ELb0EEvPKcS1_S1_S1_S1_PKiPfP15HIP_vector_typeIfLj2EEffffjfiS5_IjLj3EEiiiiiiiiiiiliiliiiiil: ; @_ZL15flash_attn_tileILi256ELi256ELi4ELi4ELb0EEvPKcS1_S1_S1_S1_PKiPfP15HIP_vector_typeIfLj2EEffffjfiS5_IjLj3EEiiiiiiiiiiiliiliiiiil
; %bb.0:
	s_clause 0x1
	s_load_b128 s[20:23], s[0:1], 0x5c
	s_load_b64 s[30:31], s[0:1], 0x80
	s_bfe_u32 s5, ttmp6, 0x40014
	s_lshr_b32 s4, ttmp7, 16
	s_add_co_i32 s5, s5, 1
	s_bfe_u32 s6, ttmp6, 0x40008
	s_mul_i32 s5, s4, s5
	s_getreg_b32 s27, hwreg(HW_REG_IB_STS2, 6, 4)
	s_add_co_i32 s6, s6, s5
	s_load_b64 s[36:37], s[0:1], 0xb8
	s_mov_b64 s[34:35], 0
	s_wait_kmcnt 0x0
	s_ashr_i32 s2, s23, 31
	s_delay_alu instid0(SALU_CYCLE_1) | instskip(NEXT) | instid1(SALU_CYCLE_1)
	s_lshr_b32 s2, s2, 30
	s_add_co_i32 s2, s23, s2
	s_delay_alu instid0(SALU_CYCLE_1) | instskip(NEXT) | instid1(SALU_CYCLE_1)
	s_ashr_i32 s2, s2, 2
	s_cvt_f32_u32 s3, s2
	s_sub_co_i32 s7, 0, s2
	s_delay_alu instid0(SALU_CYCLE_2) | instskip(SKIP_1) | instid1(TRANS32_DEP_1)
	v_rcp_iflag_f32_e32 v1, s3
	v_nop
	v_readfirstlane_b32 s3, v1
	s_mul_f32 s3, s3, 0x4f7ffffe
	s_delay_alu instid0(SALU_CYCLE_3) | instskip(NEXT) | instid1(SALU_CYCLE_3)
	s_cvt_u32_f32 s3, s3
	s_mul_i32 s7, s7, s3
	s_delay_alu instid0(SALU_CYCLE_1) | instskip(NEXT) | instid1(SALU_CYCLE_1)
	s_mul_hi_u32 s7, s3, s7
	s_add_co_i32 s3, s3, s7
	s_cmp_eq_u32 s27, 0
	s_cselect_b32 s4, s4, s6
	s_delay_alu instid0(SALU_CYCLE_1) | instskip(NEXT) | instid1(SALU_CYCLE_1)
	s_mul_hi_u32 s3, s4, s3
	s_mul_i32 s5, s3, s2
	s_add_co_i32 s6, s3, 1
	s_sub_co_i32 s5, s4, s5
	s_delay_alu instid0(SALU_CYCLE_1)
	s_sub_co_i32 s7, s5, s2
	s_cmp_ge_u32 s5, s2
	s_cselect_b32 s3, s6, s3
	s_cselect_b32 s5, s7, s5
	s_add_co_i32 s6, s3, 1
	s_cmp_ge_u32 s5, s2
	s_cselect_b32 s28, s6, s3
	s_abs_i32 s2, s31
	s_abs_i32 s7, s23
	s_cvt_f32_u32 s3, s2
	s_sub_co_i32 s5, 0, s2
	s_lshl_b32 s4, s4, 2
	s_mul_i32 s6, s28, s23
	v_rcp_iflag_f32_e32 v1, s3
	s_sub_co_i32 s33, s4, s6
	s_xor_b32 s4, s23, s31
	s_delay_alu instid0(SALU_CYCLE_1) | instskip(SKIP_1) | instid1(TRANS32_DEP_1)
	s_ashr_i32 s24, s4, 31
	v_nop
	v_readfirstlane_b32 s3, v1
	s_mul_f32 s3, s3, 0x4f7ffffe
	s_delay_alu instid0(SALU_CYCLE_3) | instskip(NEXT) | instid1(SALU_CYCLE_3)
	s_cvt_u32_f32 s3, s3
	s_mul_i32 s5, s5, s3
	s_delay_alu instid0(SALU_CYCLE_1) | instskip(NEXT) | instid1(SALU_CYCLE_1)
	s_mul_hi_u32 s5, s3, s5
	s_add_co_i32 s3, s3, s5
	s_delay_alu instid0(SALU_CYCLE_1) | instskip(NEXT) | instid1(SALU_CYCLE_1)
	s_mul_hi_u32 s3, s7, s3
	s_mul_i32 s5, s3, s2
	s_delay_alu instid0(SALU_CYCLE_1)
	s_sub_co_i32 s4, s7, s5
	s_add_co_i32 s5, s3, 1
	s_sub_co_i32 s6, s4, s2
	s_cmp_ge_u32 s4, s2
	s_cselect_b32 s3, s5, s3
	s_cselect_b32 s4, s6, s4
	s_add_co_i32 s5, s3, 1
	s_cmp_ge_u32 s4, s2
	s_cselect_b32 s2, s5, s3
	s_load_b512 s[4:19], s[0:1], 0x0
	s_xor_b32 s2, s2, s24
	s_mov_b32 s3, 0
	s_sub_co_i32 s29, s2, s24
	s_delay_alu instid0(SALU_CYCLE_1) | instskip(NEXT) | instid1(SALU_CYCLE_1)
	s_abs_i32 s31, s29
	s_cvt_f32_u32 s2, s31
	s_delay_alu instid0(SALU_CYCLE_3) | instskip(SKIP_1) | instid1(TRANS32_DEP_1)
	v_rcp_iflag_f32_e32 v1, s2
	v_nop
	v_readfirstlane_b32 s2, v1
	s_wait_kmcnt 0x0
	s_cmp_eq_u64 s[10:11], 0
	s_cbranch_scc1 .LBB17_2
; %bb.1:
	s_abs_i32 s26, s36
	s_abs_i32 s34, s28
	s_cvt_f32_u32 s24, s26
	s_sub_co_i32 s25, 0, s26
	s_delay_alu instid0(SALU_CYCLE_2) | instskip(SKIP_1) | instid1(TRANS32_DEP_1)
	v_rcp_iflag_f32_e32 v1, s24
	v_nop
	v_readfirstlane_b32 s24, v1
	s_mul_f32 s24, s24, 0x4f7ffffe
	s_delay_alu instid0(SALU_CYCLE_3) | instskip(NEXT) | instid1(SALU_CYCLE_3)
	s_cvt_u32_f32 s24, s24
	s_mul_i32 s25, s25, s24
	s_delay_alu instid0(SALU_CYCLE_1) | instskip(NEXT) | instid1(SALU_CYCLE_1)
	s_mul_hi_u32 s25, s24, s25
	s_add_co_i32 s24, s24, s25
	s_delay_alu instid0(SALU_CYCLE_1) | instskip(SKIP_2) | instid1(SALU_CYCLE_1)
	s_mul_hi_u32 s35, s34, s24
	s_load_b64 s[24:25], s[0:1], 0xc8
	s_mul_i32 s35, s35, s26
	s_sub_co_i32 s34, s34, s35
	s_ashr_i32 s35, s28, 31
	s_sub_co_i32 s36, s34, s26
	s_cmp_ge_u32 s34, s26
	s_cselect_b32 s34, s36, s34
	s_delay_alu instid0(SALU_CYCLE_1) | instskip(SKIP_2) | instid1(SALU_CYCLE_1)
	s_sub_co_i32 s36, s34, s26
	s_cmp_ge_u32 s34, s26
	s_cselect_b32 s26, s36, s34
	s_xor_b32 s26, s26, s35
	s_delay_alu instid0(SALU_CYCLE_1) | instskip(NEXT) | instid1(SALU_CYCLE_1)
	s_sub_co_i32 s34, s26, s35
	s_ashr_i32 s35, s34, 31
	s_wait_kmcnt 0x0
	s_mul_u64 s[24:25], s[24:25], s[34:35]
	s_delay_alu instid0(SALU_CYCLE_1)
	s_add_nc_u64 s[34:35], s[10:11], s[24:25]
.LBB17_2:
	s_bfe_u32 s10, ttmp6, 0x4000c
	v_dual_lshrrev_b32 v1, 10, v0 :: v_dual_mov_b32 v3, 0
	s_add_co_i32 s10, s10, 1
	s_and_b32 s11, ttmp6, 15
	s_mul_i32 s10, ttmp9, s10
	s_delay_alu instid0(VALU_DEP_1)
	v_bfe_u32 v1, v1, 1, 9
	s_add_co_i32 s11, s11, s10
	s_cmp_eq_u32 s27, 0
	s_load_b96 s[24:26], s[0:1], 0x70
	s_cselect_b32 s10, ttmp9, s11
	v_mov_b32_e32 v13, v3
	v_lshl_add_u32 v38, s10, 2, v1
	s_delay_alu instid0(VALU_DEP_1) | instskip(NEXT) | instid1(VALU_DEP_1)
	v_mul_hi_u32 v1, s20, v38
	v_add_nc_u32_e32 v1, v38, v1
	s_wait_kmcnt 0x0
	s_mul_i32 s20, s33, s25
	s_ashr_i32 s39, s25, 31
	s_mov_b32 s38, s25
	s_ashr_i32 s25, s24, 31
	v_lshrrev_b32_e32 v1, s21, v1
	s_lshr_b64 s[24:25], s[24:25], 2
	s_ashr_i32 s21, s20, 31
	s_delay_alu instid0(VALU_DEP_1) | instskip(NEXT) | instid1(VALU_DEP_1)
	v_mul_lo_u32 v1, v1, s22
	v_sub_nc_u32_e32 v2, v38, v1
	v_bfe_u32 v1, v0, 10, 10
	s_delay_alu instid0(VALU_DEP_1) | instskip(NEXT) | instid1(VALU_DEP_3)
	v_lshlrev_b32_e32 v26, 1, v1
	v_mul_u64_e32 v[4:5], s[24:25], v[2:3]
	s_lshr_b64 s[24:25], s[38:39], 2
	s_delay_alu instid0(VALU_DEP_2) | instskip(SKIP_1) | instid1(VALU_DEP_2)
	v_and_b32_e32 v12, 2, v26
	v_bitop3_b32 v8, v26, 3, 1 bitop3:0xc8
	v_mul_u64_e32 v[6:7], s[24:25], v[12:13]
	v_and_b32_e32 v13, 0x3ff, v0
	v_dual_mov_b32 v9, v3 :: v_dual_mov_b32 v11, v3
	v_lshlrev_b32_e32 v0, 10, v1
	s_delay_alu instid0(VALU_DEP_3) | instskip(NEXT) | instid1(VALU_DEP_3)
	v_lshlrev_b32_e32 v10, 4, v13
	v_mul_u64_e32 v[8:9], s[24:25], v[8:9]
	s_mul_i32 s24, s28, s26
	v_lshlrev_b32_e32 v40, 3, v13
	s_ashr_i32 s25, s24, 31
	s_cmp_eq_u64 s[14:15], 0
	s_add_nc_u64 s[4:5], s[4:5], s[24:25]
	s_delay_alu instid0(SALU_CYCLE_1) | instskip(SKIP_3) | instid1(VALU_DEP_1)
	s_add_nc_u64 s[4:5], s[4:5], s[20:21]
	v_add_nc_u32_e32 v3, 0x4200, v40
	v_lshl_add_u64 v[4:5], v[4:5], 2, s[4:5]
	s_load_b32 s4, s[0:1], 0x40
	v_add_nc_u64_e32 v[10:11], v[4:5], v[10:11]
	s_delay_alu instid0(VALU_DEP_1)
	v_lshl_add_u64 v[22:23], v[6:7], 2, v[10:11]
	v_lshl_add_u64 v[24:25], v[8:9], 2, v[10:11]
	s_clause 0x3
	global_load_b128 v[4:7], v[22:23], off
	global_load_b128 v[8:11], v[22:23], off offset:512
	global_load_b128 v[14:17], v[24:25], off
	global_load_b128 v[18:21], v[24:25], off offset:512
	s_wait_xcnt 0x2
	v_or_b32_e32 v22, 1, v26
	s_wait_loadcnt 0x3
	s_wait_kmcnt 0x0
	v_fma_mixlo_f16 v4, s4, v4, 0
	v_fma_mixlo_f16 v5, s4, v5, 0
	;; [unrolled: 1-line block ×4, first 2 shown]
	s_wait_loadcnt 0x2
	v_fma_mixlo_f16 v8, s4, v8, 0
	v_fma_mixlo_f16 v9, s4, v9, 0
	;; [unrolled: 1-line block ×4, first 2 shown]
	s_wait_loadcnt 0x1
	v_fma_mixlo_f16 v14, s4, v14, 0
	v_fma_mixlo_f16 v15, s4, v15, 0
	s_wait_loadcnt 0x0
	v_fma_mixlo_f16 v18, s4, v18, 0
	v_fma_mixlo_f16 v19, s4, v19, 0
	v_dual_add_nc_u32 v23, v3, v0 :: v_dual_lshlrev_b32 v5, 16, v5
	v_and_b32_e32 v4, 0xffff, v4
	v_dual_lshlrev_b32 v7, 16, v7 :: v_dual_lshlrev_b32 v9, 16, v9
	v_and_b32_e32 v6, 0xffff, v6
	v_and_b32_e32 v8, 0xffff, v8
	v_fma_mixlo_f16 v16, s4, v16, 0
	v_fma_mixlo_f16 v17, s4, v17, 0
	;; [unrolled: 1-line block ×4, first 2 shown]
	v_lshlrev_b32_e32 v11, 16, v11
	v_and_b32_e32 v10, 0xffff, v10
	v_lshlrev_b32_e32 v15, 16, v15
	v_and_b32_e32 v14, 0xffff, v14
	v_dual_lshlrev_b32 v19, 16, v19 :: v_dual_bitop2_b32 v4, v5, v4 bitop3:0x54
	v_and_b32_e32 v18, 0xffff, v18
	v_or3_b32 v5, v7, v6, 0
	v_dual_lshlrev_b32 v17, 16, v17 :: v_dual_bitop2_b32 v6, v9, v8 bitop3:0x54
	v_and_b32_e32 v16, 0xffff, v16
	v_lshlrev_b32_e32 v21, 16, v21
	v_and_b32_e32 v20, 0xffff, v20
	v_or3_b32 v7, v11, v10, 0
	v_or_b32_e32 v8, v15, v14
	v_or_b32_e32 v10, v19, v18
	v_or3_b32 v4, 0, 0, v4
	v_or3_b32 v6, 0, 0, v6
	v_lshl_add_u32 v3, v22, 9, v3
	v_or3_b32 v9, v17, v16, 0
	v_or3_b32 v11, v21, v20, 0
	v_or3_b32 v8, 0, 0, v8
	v_or3_b32 v10, 0, 0, v10
	ds_store_2addr_b64 v23, v[4:5], v[6:7] offset1:32
	ds_store_2addr_b64 v3, v[8:9], v[10:11] offset1:32
	s_wait_dscnt 0x0
	s_barrier_signal -1
	s_barrier_wait -1
	s_cbranch_scc1 .LBB17_4
; %bb.3:
	s_load_b32 s4, s[0:1], 0xd0
	s_wait_kmcnt 0x0
	s_mul_i32 s4, s4, s28
	s_delay_alu instid0(SALU_CYCLE_1)
	s_add_co_i32 s4, s4, s10
	s_load_b32 s30, s[14:15], s4 offset:0x0 scale_offset
.LBB17_4:
	s_wait_xcnt 0x0
	s_bfe_u32 s4, ttmp6, 0x40010
	s_and_b32 s5, ttmp7, 0xffff
	s_add_co_i32 s4, s4, 1
	s_bfe_u32 s10, ttmp6, 0x40004
	s_mul_i32 s4, s5, s4
	v_lshlrev_b32_e32 v39, 2, v13
	s_add_co_i32 s10, s10, s4
	s_cmp_eq_u32 s27, 0
	v_mbcnt_lo_u32_b32 v41, -1, 0
	s_cselect_b32 s5, s5, s10
	s_mov_b32 s4, 0
	s_lshl_b32 s10, s5, 5
	s_wait_kmcnt 0x0
	s_cmp_lt_i32 s10, s30
	s_cbranch_scc1 .LBB17_7
; %bb.5:
	v_mbcnt_lo_u32_b32 v3, -1, 0
	s_delay_alu instid0(VALU_DEP_1)
	v_dual_mov_b32 v42, 32 :: v_dual_bitop2_b32 v47, 16, v3 bitop3:0x14
	v_xor_b32_e32 v46, 8, v3
	v_xor_b32_e32 v45, 4, v3
	;; [unrolled: 1-line block ×4, first 2 shown]
	s_and_not1_b32 vcc_lo, exec_lo, s4
	s_cbranch_vccz .LBB17_8
; %bb.6:
	v_dual_mov_b32 v35, 0xfeffffff :: v_dual_mov_b32 v72, 0
	v_dual_mov_b32 v21, 0 :: v_dual_mov_b32 v69, 0
	;; [unrolled: 1-line block ×3, first 2 shown]
	s_delay_alu instid0(VALU_DEP_2)
	v_dual_mov_b32 v34, v35 :: v_dual_mov_b32 v20, v21
	v_dual_mov_b32 v65, 0 :: v_dual_mov_b32 v68, 0
	;; [unrolled: 1-line block ×3, first 2 shown]
	s_branch .LBB17_11
.LBB17_7:
                                        ; implicit-def: $vgpr3
                                        ; implicit-def: $vgpr42
                                        ; implicit-def: $vgpr47
                                        ; implicit-def: $vgpr46
                                        ; implicit-def: $vgpr45
                                        ; implicit-def: $vgpr44
                                        ; implicit-def: $vgpr43
.LBB17_8:
	s_clause 0x1
	s_load_b64 s[20:21], s[0:1], 0x8c
	s_load_b128 s[24:27], s[0:1], 0x98
	s_mul_f32 s2, s2, 0x4f7ffffe
	s_sub_co_i32 s4, 0, s31
	s_mov_b32 s15, s3
	s_ashr_i32 s36, s33, 31
	s_cvt_u32_f32 s11, s2
	s_abs_i32 s2, s33
	s_ashr_i32 s40, s29, 31
	s_load_b64 s[38:39], s[0:1], 0xa8
	s_mul_i32 s4, s4, s11
	s_ashr_i32 s29, s28, 31
	s_mul_hi_u32 s4, s11, s4
	v_dual_mov_b32 v19, 0 :: v_dual_add_nc_u32 v50, 0x4200, v0
	s_add_co_i32 s14, s11, s4
	s_ashr_i32 s4, s37, 1
	s_mul_u64 s[14:15], s[2:3], s[14:15]
	s_xor_b32 s11, s36, s40
	s_mul_i32 s3, s15, s31
	s_wait_kmcnt 0x0
	s_ashr_i32 s20, s20, 2
	s_sub_co_i32 s2, s2, s3
	s_ashr_i32 s14, s26, 2
	s_add_co_i32 s3, s15, 1
	s_sub_co_i32 s26, s2, s31
	s_cmp_ge_u32 s2, s31
	v_mul_lo_u32 v14, s20, v1
	s_cselect_b32 s3, s3, s15
	s_cselect_b32 s2, s26, s2
	s_add_co_i32 s15, s3, 1
	s_cmp_ge_u32 s2, s31
	v_mul_lo_u32 v22, s14, v1
	s_cselect_b32 s2, s15, s3
	v_mad_u32 v52, v2, s4, v13
	s_xor_b32 s15, s2, s11
	s_mul_u64 s[2:3], s[24:25], s[28:29]
	s_sub_co_i32 s11, s15, s11
	s_lshl_b32 s15, s20, 3
	s_mul_i32 s36, s11, s21
	v_dual_add_nc_u32 v16, s15, v14 :: v_dual_lshlrev_b32 v18, 2, v39
	s_add_nc_u64 s[2:3], s[6:7], s[2:3]
	s_ashr_i32 s37, s36, 31
	s_mul_u64 s[24:25], s[38:39], s[28:29]
	s_add_nc_u64 s[6:7], s[2:3], s[36:37]
	s_mul_i32 s2, s11, s27
	v_dual_add_nc_u32 v24, s15, v16 :: v_dual_ashrrev_i32 v15, 31, v14
	s_add_nc_u64 s[8:9], s[8:9], s[24:25]
	s_ashr_i32 s3, s2, 31
	v_lshl_add_u32 v51, v1, 9, v18
	s_add_nc_u64 s[8:9], s[8:9], s[2:3]
	s_lshl_b32 s2, s14, 3
	v_dual_add_nc_u32 v26, s15, v24 :: v_dual_ashrrev_i32 v25, 31, v24
	v_dual_ashrrev_i32 v17, 31, v16 :: v_dual_add_nc_u32 v28, s2, v22
	v_lshl_add_u32 v53, v1, 7, 0x6200
	s_delay_alu instid0(VALU_DEP_3)
	v_ashrrev_i32_e32 v27, 31, v26
	v_mad_u32_u24 v48, 0x210, v1, v18
	v_mov_b32_e32 v34, 0xfeffffff
	v_add_nc_u32_e32 v30, s2, v28
	v_mul_u32_u24_e32 v49, 0x210, v13
	v_dual_ashrrev_i32 v23, 31, v22 :: v_dual_ashrrev_i32 v29, 31, v28
	v_dual_mov_b32 v67, v19 :: v_dual_add_nc_u32 v54, 0x1000, v51
	s_delay_alu instid0(VALU_DEP_4) | instskip(SKIP_2) | instid1(VALU_DEP_3)
	v_dual_add_nc_u32 v32, s2, v30 :: v_dual_ashrrev_i32 v31, 31, v30
	v_dual_mov_b32 v42, 32 :: v_dual_add_nc_u32 v55, 0x2000, v51
	v_dual_mov_b32 v65, v19 :: v_dual_add_nc_u32 v56, 0x3000, v51
	v_dual_ashrrev_i32 v33, 31, v32 :: v_dual_bitop2_b32 v47, 16, v41 bitop3:0x14
	v_dual_add_nc_u32 v57, v53, v39 :: v_dual_bitop2_b32 v46, 8, v41 bitop3:0x14
	v_dual_mov_b32 v66, v19 :: v_dual_bitop2_b32 v45, 4, v41 bitop3:0x14
	v_dual_mov_b32 v68, v19 :: v_dual_bitop2_b32 v44, 2, v41 bitop3:0x14
	;; [unrolled: 1-line block ×3, first 2 shown]
	v_dual_mov_b32 v71, v19 :: v_dual_add_nc_u32 v58, 0x800, v40
	v_mov_b32_e32 v69, v19
	v_dual_mov_b32 v72, v19 :: v_dual_add_nc_u32 v59, 0x1000, v40
	v_dual_mov_b32 v35, v34 :: v_dual_add_nc_u32 v60, 0x1800, v40
	;; [unrolled: 1-line block ×4, first 2 shown]
	v_add_nc_u32_e32 v63, 0x3000, v40
	v_add_nc_u32_e32 v64, 0x3800, v40
	s_ashr_i32 s21, s20, 31
	s_ashr_i32 s15, s14, 31
	s_add_nc_u64 s[24:25], s[0:1], 0xd0
.LBB17_9:                               ; =>This Inner Loop Header: Depth=1
	v_cmp_gt_i32_e64 s2, 32, v47
	v_dual_mov_b32 v9, v35 :: v_dual_mov_b32 v8, v34
	v_add_nc_u32_e32 v10, s10, v52
	s_ashr_i32 s11, s10, 31
	v_cndmask_b32_e64 v35, v41, v47, s2
	v_cmp_gt_i32_e64 s2, 32, v46
	v_cmp_gt_i32_e32 vcc_lo, 32, v43
	v_dual_max_num_f32 v74, v9, v9 :: v_dual_add_nc_u32 v37, 0x1080, v48
	v_dual_mov_b32 v75, 0 :: v_dual_mov_b32 v76, 0
	s_delay_alu instid0(VALU_DEP_4) | instskip(SKIP_2) | instid1(VALU_DEP_2)
	v_cndmask_b32_e64 v36, v41, v46, s2
	v_cmp_gt_i32_e64 s2, 32, v45
	v_cndmask_b32_e32 v77, v41, v43, vcc_lo
	v_dual_lshlrev_b32 v73, 2, v35 :: v_dual_cndmask_b32 v11, v41, v45, s2
	v_cmp_gt_i32_e64 s2, 32, v44
	s_delay_alu instid0(VALU_DEP_2) | instskip(NEXT) | instid1(VALU_DEP_2)
	v_dual_lshlrev_b32 v35, 2, v36 :: v_dual_lshlrev_b32 v36, 2, v11
	v_cndmask_b32_e64 v34, v41, v44, s2
	s_mul_u64 s[2:3], s[10:11], s[20:21]
	v_lshlrev_b32_e32 v11, 2, v77
	s_lshl_b64 s[2:3], s[2:3], 2
	s_delay_alu instid0(SALU_CYCLE_1)
	s_add_nc_u64 s[2:3], s[6:7], s[2:3]
	v_lshlrev_b32_e32 v34, 2, v34
	v_lshl_add_u64 v[0:1], v[14:15], 2, s[2:3]
	v_lshl_add_u64 v[2:3], v[16:17], 2, s[2:3]
	;; [unrolled: 1-line block ×4, first 2 shown]
	s_mul_u64 s[2:3], s[10:11], s[14:15]
	v_add_nc_u64_e32 v[78:79], v[0:1], v[18:19]
	v_add_nc_u64_e32 v[80:81], v[2:3], v[18:19]
	;; [unrolled: 1-line block ×4, first 2 shown]
	s_clause 0x1
	global_load_b128 v[0:3], v[78:79], off
	global_load_b128 v[4:7], v[80:81], off
	s_lshl_b64 s[2:3], s[2:3], 2
	s_delay_alu instid0(SALU_CYCLE_1)
	s_add_nc_u64 s[2:3], s[8:9], s[2:3]
	s_wait_loadcnt 0x1
	ds_store_b128 v48, v[0:3]
	s_clause 0x1
	global_load_b128 v[0:3], v[82:83], off
	global_load_b128 v[78:81], v[84:85], off
	s_wait_loadcnt 0x2
	ds_store_b128 v37, v[4:7]
	v_add_nc_u32_e32 v4, 0x2100, v48
	v_max_num_f32_e32 v37, v8, v8
	s_wait_loadcnt 0x1
	ds_store_b128 v4, v[0:3]
	v_add_nc_u32_e32 v0, 0x3180, v48
	s_wait_loadcnt 0x0
	ds_store_b128 v0, v[78:81]
	s_wait_dscnt 0x0
	s_barrier_signal -1
	s_barrier_wait -1
	ds_load_b128 v[0:3], v49
	ds_load_b128 v[4:7], v50
	ds_load_b128 v[78:81], v50 offset:512
	s_wait_dscnt 0x1
	;;#ASMSTART
	v_dot2_f32_f16 v75, v0, v4, v75
	;;#ASMEND
	;;#ASMSTART
	v_dot2_f32_f16 v75, v1, v5, v75
	;;#ASMEND
	;;#ASMSTART
	v_dot2_f32_f16 v75, v2, v6, v75
	;;#ASMEND
	;;#ASMSTART
	v_dot2_f32_f16 v75, v3, v7, v75
	;;#ASMEND
	s_wait_dscnt 0x0
	;;#ASMSTART
	v_dot2_f32_f16 v76, v0, v78, v76
	;;#ASMEND
	;;#ASMSTART
	v_dot2_f32_f16 v76, v1, v79, v76
	;;#ASMEND
	;;#ASMSTART
	v_dot2_f32_f16 v76, v2, v80, v76
	;;#ASMEND
	;;#ASMSTART
	v_dot2_f32_f16 v76, v3, v81, v76
	;;#ASMEND
	ds_load_b128 v[0:3], v49 offset:16
	ds_load_b128 v[4:7], v50 offset:16
	ds_load_b128 v[78:81], v50 offset:528
	s_wait_dscnt 0x1
	;;#ASMSTART
	v_dot2_f32_f16 v75, v0, v4, v75
	;;#ASMEND
	;;#ASMSTART
	v_dot2_f32_f16 v75, v1, v5, v75
	;;#ASMEND
	;;#ASMSTART
	v_dot2_f32_f16 v75, v2, v6, v75
	;;#ASMEND
	;;#ASMSTART
	v_dot2_f32_f16 v75, v3, v7, v75
	;;#ASMEND
	s_wait_dscnt 0x0
	;;#ASMSTART
	v_dot2_f32_f16 v76, v0, v78, v76
	;;#ASMEND
	;;#ASMSTART
	v_dot2_f32_f16 v76, v1, v79, v76
	;;#ASMEND
	;;#ASMSTART
	v_dot2_f32_f16 v76, v2, v80, v76
	;;#ASMEND
	;;#ASMSTART
	v_dot2_f32_f16 v76, v3, v81, v76
	;;#ASMEND
	ds_load_b128 v[0:3], v49 offset:32
	ds_load_b128 v[4:7], v50 offset:32
	;; [unrolled: 29-line block ×31, first 2 shown]
	ds_load_b128 v[4:7], v50 offset:1008
	s_wait_dscnt 0x1
	;;#ASMSTART
	v_dot2_f32_f16 v75, v0, v78, v75
	;;#ASMEND
	;;#ASMSTART
	v_dot2_f32_f16 v75, v1, v79, v75
	;;#ASMEND
	;; [unrolled: 3-line block ×4, first 2 shown]
	s_wait_dscnt 0x0
	;;#ASMSTART
	v_dot2_f32_f16 v76, v0, v4, v76
	;;#ASMEND
	;;#ASMSTART
	v_dot2_f32_f16 v76, v1, v5, v76
	;;#ASMEND
	;; [unrolled: 3-line block ×4, first 2 shown]
	global_load_u16 v6, v10, s[34:35] scale_offset
	v_lshl_add_u64 v[4:5], v[30:31], 2, s[2:3]
	v_lshl_add_u64 v[2:3], v[28:29], 2, s[2:3]
	;; [unrolled: 1-line block ×3, first 2 shown]
	s_wait_loadcnt 0x0
	s_barrier_signal -1
	s_barrier_wait -1
	s_delay_alu instid0(VALU_DEP_1) | instskip(SKIP_1) | instid1(VALU_DEP_1)
	v_add_nc_u64_e32 v[0:1], v[0:1], v[18:19]
	v_cvt_f32_f16_e32 v6, v6
	v_dual_add_f32 v7, v76, v6 :: v_dual_add_f32 v6, v75, v6
	s_wait_xcnt 0x0
	s_delay_alu instid0(VALU_DEP_1) | instskip(NEXT) | instid1(VALU_DEP_1)
	v_dual_add_f32 v10, 0x40051340, v7 :: v_dual_add_f32 v75, 0x40051340, v6
	v_dual_max_num_f32 v37, v37, v75 :: v_dual_max_num_f32 v10, v74, v10
	ds_bpermute_b32 v74, v73, v10
	ds_bpermute_b32 v73, v73, v37
	s_wait_dscnt 0x0
	v_dual_max_num_f32 v74, v74, v74 :: v_dual_max_num_f32 v73, v73, v73
	s_delay_alu instid0(VALU_DEP_1) | instskip(SKIP_4) | instid1(VALU_DEP_1)
	v_dual_max_num_f32 v37, v37, v73 :: v_dual_max_num_f32 v10, v10, v74
	ds_bpermute_b32 v73, v35, v10
	ds_bpermute_b32 v35, v35, v37
	s_wait_dscnt 0x0
	v_dual_max_num_f32 v73, v73, v73 :: v_dual_max_num_f32 v35, v35, v35
	v_dual_max_num_f32 v10, v10, v73 :: v_dual_max_num_f32 v35, v37, v35
	ds_bpermute_b32 v37, v36, v10
	ds_bpermute_b32 v36, v36, v35
	s_wait_dscnt 0x0
	v_dual_max_num_f32 v37, v37, v37 :: v_dual_max_num_f32 v36, v36, v36
	s_delay_alu instid0(VALU_DEP_1) | instskip(SKIP_4) | instid1(VALU_DEP_1)
	v_dual_max_num_f32 v10, v10, v37 :: v_dual_max_num_f32 v35, v35, v36
	ds_bpermute_b32 v36, v34, v10
	ds_bpermute_b32 v34, v34, v35
	s_wait_dscnt 0x0
	v_dual_max_num_f32 v36, v36, v36 :: v_dual_max_num_f32 v34, v34, v34
	v_dual_max_num_f32 v10, v10, v36 :: v_dual_max_num_f32 v34, v35, v34
	ds_bpermute_b32 v35, v11, v10
	ds_bpermute_b32 v11, v11, v34
	s_wait_dscnt 0x0
	v_max_num_f32_e32 v11, v11, v11
	s_delay_alu instid0(VALU_DEP_1) | instskip(NEXT) | instid1(VALU_DEP_1)
	v_max_num_f32_e32 v34, v34, v11
	v_dual_max_num_f32 v35, v35, v35 :: v_dual_sub_f32 v74, v6, v34
	s_delay_alu instid0(VALU_DEP_1) | instskip(NEXT) | instid1(VALU_DEP_2)
	v_max_num_f32_e32 v35, v10, v35
	v_cmp_ngt_f32_e64 s4, 0xc2ce8ed0, v74
	s_delay_alu instid0(VALU_DEP_2) | instskip(SKIP_2) | instid1(VALU_DEP_3)
	v_sub_f32_e32 v73, v7, v35
	v_mul_f32_e32 v7, 0x3fb8aa3b, v74
	v_sub_f32_e32 v76, v8, v34
	v_dual_mul_f32 v6, 0x3fb8aa3b, v73 :: v_dual_sub_f32 v75, v9, v35
	s_delay_alu instid0(VALU_DEP_2) | instskip(NEXT) | instid1(VALU_DEP_4)
	v_mul_f32_e32 v9, 0x3fb8aa3b, v76
	v_fma_f32 v11, 0x3fb8aa3b, v74, -v7
	v_rndne_f32_e32 v36, v7
	s_delay_alu instid0(VALU_DEP_4)
	v_fma_f32 v10, 0x3fb8aa3b, v73, -v6
	v_mul_f32_e32 v8, 0x3fb8aa3b, v75
	v_rndne_f32_e32 v77, v6
	v_fma_f32 v37, 0x3fb8aa3b, v76, -v9
	v_rndne_f32_e32 v79, v9
	v_dual_fmac_f32 v10, 0x32a5705f, v73 :: v_dual_fmac_f32 v11, 0x32a5705f, v74
	s_delay_alu instid0(VALU_DEP_3) | instskip(SKIP_1) | instid1(VALU_DEP_4)
	v_dual_sub_f32 v6, v6, v77 :: v_dual_fmac_f32 v37, 0x32a5705f, v76
	v_rndne_f32_e32 v81, v8
	v_sub_f32_e32 v9, v9, v79
	v_cmp_ngt_f32_e32 vcc_lo, 0xc2ce8ed0, v73
	s_delay_alu instid0(VALU_DEP_4)
	v_dual_add_f32 v78, v6, v10 :: v_dual_sub_f32 v6, v7, v36
	v_fma_f32 v7, 0x3fb8aa3b, v75, -v8
	v_sub_f32_e32 v8, v8, v81
	v_add_f32_e32 v80, v9, v37
	v_cvt_i32_f32_e32 v9, v36
	v_add_f32_e32 v6, v6, v11
	v_fmac_f32_e32 v7, 0x32a5705f, v75
	v_add_nc_u64_e32 v[10:11], v[4:5], v[18:19]
	v_exp_f32_e32 v4, v78
	v_exp_f32_e32 v5, v80
	;; [unrolled: 1-line block ×3, first 2 shown]
	v_add_f32_e32 v82, v8, v7
	s_delay_alu instid0(TRANS32_DEP_1)
	v_ldexp_f32 v83, v6, v9
	v_add_nc_u64_e32 v[8:9], v[2:3], v[18:19]
	v_cvt_i32_f32_e32 v2, v77
	v_lshl_add_u64 v[6:7], v[32:33], 2, s[2:3]
	v_cvt_i32_f32_e32 v3, v79
	v_cmp_ngt_f32_e64 s2, 0xc2ce8ed0, v76
	v_cmp_ngt_f32_e64 s3, 0xc2ce8ed0, v75
	v_ldexp_f32 v4, v4, v2
	v_add_nc_u64_e32 v[36:37], v[6:7], v[18:19]
	v_ldexp_f32 v77, v5, v3
	v_cvt_i32_f32_e32 v5, v81
	global_load_b128 v[0:3], v[0:1], off
	v_cndmask_b32_e32 v79, 0, v4, vcc_lo
	v_exp_f32_e32 v6, v82
	v_cmp_nlt_f32_e32 vcc_lo, 0x42b17218, v73
	s_delay_alu instid0(TRANS32_DEP_1)
	v_ldexp_f32 v78, v6, v5
	s_clause 0x1
	global_load_b128 v[4:7], v[8:9], off
	global_load_b128 v[8:11], v[10:11], off
	v_cndmask_b32_e64 v73, 0, v78, s3
	v_cmp_nlt_f32_e64 s3, 0x42b17218, v75
	v_cndmask_b32_e64 v75, 0, v77, s2
	v_cmp_nlt_f32_e64 s2, 0x42b17218, v76
	;; [unrolled: 2-line block ×3, first 2 shown]
	v_cndmask_b32_e32 v77, 0x7f800000, v79, vcc_lo
	v_cndmask_b32_e64 v79, 0x7f800000, v73, s3
	v_cndmask_b32_e64 v78, 0x7f800000, v75, s2
	s_delay_alu instid0(VALU_DEP_4) | instskip(NEXT) | instid1(VALU_DEP_3)
	v_cndmask_b32_e64 v76, 0x7f800000, v76, s4
	v_cvt_f16_f32_e32 v74, v79
	s_delay_alu instid0(VALU_DEP_3) | instskip(NEXT) | instid1(VALU_DEP_3)
	v_cvt_f16_f32_e32 v73, v78
	v_cvt_pk_f16_f32 v75, v76, v77
	v_pk_fma_f32 v[20:21], v[20:21], v[78:79], v[76:77]
	global_load_b128 v[76:79], v[36:37], off
	s_wait_xcnt 0x0
	v_and_b32_e32 v36, 0xffff, v73
	v_and_b32_e32 v37, 0xffff, v74
	ds_store_b32 v57, v75
	s_wait_loadcnt 0x3
	ds_store_b128 v51, v[0:3]
	s_wait_loadcnt 0x2
	ds_store_b128 v54, v[4:7]
	;; [unrolled: 2-line block ×4, first 2 shown]
	s_wait_dscnt 0x0
	s_barrier_signal -1
	s_barrier_wait -1
	ds_load_b128 v[4:7], v53
	ds_load_2addr_b64 v[8:11], v40 offset1:32
	ds_load_b128 v[0:3], v53 offset:16
	v_mul_u32_u24_e32 v36, 0x10001, v36
	v_mul_u32_u24_e32 v37, 0x10001, v37
	s_delay_alu instid0(VALU_DEP_2) | instskip(SKIP_2) | instid1(VALU_DEP_4)
	v_pk_mul_f16 v72, v72, v36
	v_pk_mul_f16 v71, v71, v36
	;; [unrolled: 1-line block ×6, first 2 shown]
	s_wait_dscnt 0x2
	v_and_b32_e32 v73, 0xffff, v4
	v_dual_lshrrev_b32 v4, 16, v4 :: v_dual_lshrrev_b32 v77, 16, v7
	s_wait_dscnt 0x0
	v_and_b32_e32 v78, 0xffff, v3
	s_delay_alu instid0(VALU_DEP_3) | instskip(NEXT) | instid1(VALU_DEP_3)
	v_mul_u32_u24_e32 v73, 0x10001, v73
	v_mul_u32_u24_e32 v4, 0x10001, v4
	s_delay_alu instid0(VALU_DEP_2)
	v_pk_fma_f16 v72, v9, v73, v72
	v_pk_fma_f16 v71, v10, v73, v71
	;; [unrolled: 1-line block ×3, first 2 shown]
	v_pk_mul_f16 v73, v8, v73
	v_pk_fma_f16 v74, v9, v4, v68
	v_pk_fma_f16 v75, v10, v4, v67
	;; [unrolled: 1-line block ×3, first 2 shown]
	v_pk_mul_f16 v4, v8, v4
	ds_load_2addr_b64 v[8:11], v40 offset0:64 offset1:96
	v_pk_fma_f16 v36, v69, v36, v73
	ds_load_2addr_b64 v[66:69], v40 offset0:128 offset1:160
	v_and_b32_e32 v73, 0xffff, v5
	v_lshrrev_b32_e32 v5, 16, v5
	v_pk_fma_f16 v4, v65, v37, v4
	s_delay_alu instid0(VALU_DEP_3) | instskip(NEXT) | instid1(VALU_DEP_3)
	v_mul_u32_u24_e32 v37, 0x10001, v73
	v_mul_u32_u24_e32 v5, 0x10001, v5
	s_wait_dscnt 0x1
	s_delay_alu instid0(VALU_DEP_2)
	v_pk_fma_f16 v65, v9, v37, v72
	v_pk_fma_f16 v71, v10, v37, v71
	;; [unrolled: 1-line block ×8, first 2 shown]
	ds_load_2addr_b64 v[8:11], v40 offset0:192 offset1:224
	v_and_b32_e32 v4, 0xffff, v6
	v_lshrrev_b32_e32 v75, 16, v6
	v_and_b32_e32 v76, 0xffff, v7
	s_delay_alu instid0(VALU_DEP_3) | instskip(NEXT) | instid1(VALU_DEP_3)
	v_mul_u32_u24_e32 v4, 0x10001, v4
	v_mul_u32_u24_e32 v75, 0x10001, v75
	s_wait_dscnt 0x1
	s_delay_alu instid0(VALU_DEP_2)
	v_pk_fma_f16 v65, v67, v4, v65
	v_pk_fma_f16 v71, v68, v4, v71
	;; [unrolled: 1-line block ×4, first 2 shown]
	ds_load_2addr_b64 v[4:7], v58 offset1:32
	v_pk_fma_f16 v72, v67, v75, v72
	v_pk_fma_f16 v73, v68, v75, v73
	;; [unrolled: 1-line block ×4, first 2 shown]
	v_mul_u32_u24_e32 v75, 0x10001, v76
	ds_load_2addr_b64 v[66:69], v58 offset0:64 offset1:96
	v_mul_u32_u24_e32 v76, 0x10001, v77
	s_wait_dscnt 0x2
	v_pk_fma_f16 v65, v9, v75, v65
	v_pk_fma_f16 v71, v10, v75, v71
	;; [unrolled: 1-line block ×4, first 2 shown]
	v_and_b32_e32 v75, 0xffff, v0
	v_lshrrev_b32_e32 v0, 16, v0
	v_pk_fma_f16 v72, v9, v76, v72
	v_pk_fma_f16 v73, v10, v76, v73
	;; [unrolled: 1-line block ×4, first 2 shown]
	v_mul_u32_u24_e32 v75, 0x10001, v75
	v_mul_u32_u24_e32 v0, 0x10001, v0
	ds_load_2addr_b64 v[8:11], v58 offset0:128 offset1:160
	s_wait_dscnt 0x2
	v_pk_fma_f16 v65, v5, v75, v65
	v_pk_fma_f16 v76, v6, v75, v71
	;; [unrolled: 1-line block ×8, first 2 shown]
	v_and_b32_e32 v4, 0xffff, v1
	v_lshrrev_b32_e32 v1, 16, v1
	ds_load_2addr_b64 v[70:73], v58 offset0:192 offset1:224
	v_mul_u32_u24_e32 v4, 0x10001, v4
	v_mul_u32_u24_e32 v1, 0x10001, v1
	s_wait_dscnt 0x2
	s_delay_alu instid0(VALU_DEP_2)
	v_pk_fma_f16 v37, v67, v4, v65
	v_pk_fma_f16 v65, v68, v4, v76
	;; [unrolled: 1-line block ×7, first 2 shown]
	ds_load_b128 v[4:7], v53 offset:32
	v_pk_fma_f16 v0, v66, v1, v0
	v_and_b32_e32 v1, 0xffff, v2
	v_dual_lshrrev_b32 v2, 16, v2 :: v_dual_lshrrev_b32 v3, 16, v3
	ds_load_2addr_b64 v[66:69], v59 offset1:32
	v_mul_u32_u24_e32 v1, 0x10001, v1
	v_mul_u32_u24_e32 v2, 0x10001, v2
	;; [unrolled: 1-line block ×3, first 2 shown]
	s_wait_dscnt 0x3
	s_delay_alu instid0(VALU_DEP_3)
	v_pk_fma_f16 v37, v9, v1, v37
	v_pk_fma_f16 v65, v10, v1, v65
	;; [unrolled: 1-line block ×8, first 2 shown]
	v_mul_u32_u24_e32 v2, 0x10001, v78
	ds_load_2addr_b64 v[8:11], v59 offset0:64 offset1:96
	s_wait_dscnt 0x3
	v_pk_fma_f16 v36, v71, v3, v36
	v_pk_fma_f16 v37, v71, v2, v37
	v_pk_fma_f16 v65, v72, v2, v65
	v_pk_fma_f16 v74, v73, v2, v74
	v_pk_fma_f16 v71, v72, v3, v75
	v_pk_fma_f16 v72, v73, v3, v76
	v_pk_fma_f16 v73, v70, v2, v1
	v_pk_fma_f16 v70, v70, v3, v0
	ds_load_b128 v[0:3], v53 offset:48
	s_wait_dscnt 0x3
	v_and_b32_e32 v75, 0xffff, v4
	v_lshrrev_b32_e32 v4, 16, v4
	v_and_b32_e32 v76, 0xffff, v7
	v_lshrrev_b32_e32 v77, 16, v7
	s_delay_alu instid0(VALU_DEP_4) | instskip(NEXT) | instid1(VALU_DEP_4)
	v_mul_u32_u24_e32 v75, 0x10001, v75
	v_mul_u32_u24_e32 v4, 0x10001, v4
	s_wait_dscnt 0x2
	s_delay_alu instid0(VALU_DEP_2)
	v_pk_fma_f16 v37, v67, v75, v37
	v_pk_fma_f16 v65, v68, v75, v65
	;; [unrolled: 1-line block ×8, first 2 shown]
	ds_load_2addr_b64 v[66:69], v59 offset0:128 offset1:160
	v_and_b32_e32 v70, 0xffff, v5
	v_dual_lshrrev_b32 v5, 16, v5 :: v_dual_lshrrev_b32 v75, 16, v6
	s_wait_dscnt 0x1
	v_and_b32_e32 v78, 0xffff, v3
	s_delay_alu instid0(VALU_DEP_3) | instskip(NEXT) | instid1(VALU_DEP_3)
	v_mul_u32_u24_e32 v70, 0x10001, v70
	v_mul_u32_u24_e32 v5, 0x10001, v5
	;; [unrolled: 1-line block ×3, first 2 shown]
	s_delay_alu instid0(VALU_DEP_3)
	v_pk_fma_f16 v37, v9, v70, v37
	v_pk_fma_f16 v65, v10, v70, v65
	v_pk_fma_f16 v74, v11, v70, v74
	v_pk_fma_f16 v36, v9, v5, v36
	v_pk_fma_f16 v71, v10, v5, v71
	v_pk_fma_f16 v72, v11, v5, v72
	v_pk_fma_f16 v70, v8, v70, v73
	v_pk_fma_f16 v73, v8, v5, v4
	ds_load_2addr_b64 v[8:11], v59 offset0:192 offset1:224
	v_and_b32_e32 v4, 0xffff, v6
	s_wait_dscnt 0x1
	v_pk_fma_f16 v36, v67, v75, v36
	v_pk_fma_f16 v71, v68, v75, v71
	;; [unrolled: 1-line block ×4, first 2 shown]
	v_mul_u32_u24_e32 v4, 0x10001, v4
	v_mul_u32_u24_e32 v75, 0x10001, v76
	s_delay_alu instid0(VALU_DEP_2)
	v_pk_fma_f16 v37, v67, v4, v37
	v_pk_fma_f16 v65, v68, v4, v65
	;; [unrolled: 1-line block ×4, first 2 shown]
	ds_load_2addr_b64 v[4:7], v60 offset1:32
	ds_load_2addr_b64 v[66:69], v60 offset0:64 offset1:96
	s_wait_dscnt 0x2
	v_pk_fma_f16 v37, v9, v75, v37
	v_pk_fma_f16 v65, v10, v75, v65
	;; [unrolled: 1-line block ×4, first 2 shown]
	v_and_b32_e32 v75, 0xffff, v0
	v_lshrrev_b32_e32 v0, 16, v0
	v_mul_u32_u24_e32 v76, 0x10001, v77
	s_delay_alu instid0(VALU_DEP_3) | instskip(NEXT) | instid1(VALU_DEP_3)
	v_mul_u32_u24_e32 v75, 0x10001, v75
	v_mul_u32_u24_e32 v0, 0x10001, v0
	s_delay_alu instid0(VALU_DEP_3)
	v_pk_fma_f16 v36, v9, v76, v36
	v_pk_fma_f16 v71, v10, v76, v71
	;; [unrolled: 1-line block ×4, first 2 shown]
	s_wait_dscnt 0x1
	v_pk_fma_f16 v37, v5, v75, v37
	v_pk_fma_f16 v65, v6, v75, v65
	;; [unrolled: 1-line block ×8, first 2 shown]
	v_and_b32_e32 v4, 0xffff, v1
	v_lshrrev_b32_e32 v1, 16, v1
	ds_load_2addr_b64 v[8:11], v60 offset0:128 offset1:160
	ds_load_2addr_b64 v[70:73], v60 offset0:192 offset1:224
	v_mul_u32_u24_e32 v4, 0x10001, v4
	v_mul_u32_u24_e32 v1, 0x10001, v1
	s_wait_dscnt 0x2
	s_delay_alu instid0(VALU_DEP_2)
	v_pk_fma_f16 v37, v67, v4, v37
	v_pk_fma_f16 v65, v68, v4, v65
	;; [unrolled: 1-line block ×7, first 2 shown]
	ds_load_b128 v[4:7], v53 offset:64
	v_pk_fma_f16 v0, v66, v1, v0
	v_and_b32_e32 v1, 0xffff, v2
	v_dual_lshrrev_b32 v2, 16, v2 :: v_dual_lshrrev_b32 v3, 16, v3
	ds_load_2addr_b64 v[66:69], v61 offset1:32
	v_mul_u32_u24_e32 v1, 0x10001, v1
	v_mul_u32_u24_e32 v2, 0x10001, v2
	;; [unrolled: 1-line block ×3, first 2 shown]
	s_wait_dscnt 0x3
	s_delay_alu instid0(VALU_DEP_3)
	v_pk_fma_f16 v37, v9, v1, v37
	v_pk_fma_f16 v65, v10, v1, v65
	;; [unrolled: 1-line block ×8, first 2 shown]
	v_mul_u32_u24_e32 v2, 0x10001, v78
	ds_load_2addr_b64 v[8:11], v61 offset0:64 offset1:96
	s_wait_dscnt 0x3
	v_pk_fma_f16 v36, v71, v3, v36
	v_pk_fma_f16 v37, v71, v2, v37
	v_pk_fma_f16 v65, v72, v2, v65
	v_pk_fma_f16 v74, v73, v2, v74
	v_pk_fma_f16 v71, v72, v3, v75
	v_pk_fma_f16 v72, v73, v3, v76
	v_pk_fma_f16 v73, v70, v2, v1
	v_pk_fma_f16 v70, v70, v3, v0
	ds_load_b128 v[0:3], v53 offset:80
	s_wait_dscnt 0x3
	v_and_b32_e32 v75, 0xffff, v4
	v_lshrrev_b32_e32 v4, 16, v4
	v_and_b32_e32 v76, 0xffff, v7
	v_lshrrev_b32_e32 v77, 16, v7
	s_delay_alu instid0(VALU_DEP_4) | instskip(NEXT) | instid1(VALU_DEP_4)
	v_mul_u32_u24_e32 v75, 0x10001, v75
	v_mul_u32_u24_e32 v4, 0x10001, v4
	s_wait_dscnt 0x2
	s_delay_alu instid0(VALU_DEP_2)
	v_pk_fma_f16 v37, v67, v75, v37
	v_pk_fma_f16 v65, v68, v75, v65
	;; [unrolled: 1-line block ×8, first 2 shown]
	ds_load_2addr_b64 v[66:69], v61 offset0:128 offset1:160
	v_and_b32_e32 v70, 0xffff, v5
	v_dual_lshrrev_b32 v5, 16, v5 :: v_dual_lshrrev_b32 v75, 16, v6
	s_delay_alu instid0(VALU_DEP_2) | instskip(NEXT) | instid1(VALU_DEP_2)
	v_mul_u32_u24_e32 v70, 0x10001, v70
	v_mul_u32_u24_e32 v5, 0x10001, v5
	s_delay_alu instid0(VALU_DEP_3) | instskip(SKIP_1) | instid1(VALU_DEP_3)
	v_mul_u32_u24_e32 v75, 0x10001, v75
	s_wait_dscnt 0x2
	v_pk_fma_f16 v37, v9, v70, v37
	v_pk_fma_f16 v65, v10, v70, v65
	;; [unrolled: 1-line block ×8, first 2 shown]
	ds_load_2addr_b64 v[8:11], v61 offset0:192 offset1:224
	v_and_b32_e32 v4, 0xffff, v6
	s_wait_dscnt 0x1
	v_pk_fma_f16 v36, v67, v75, v36
	v_pk_fma_f16 v71, v68, v75, v71
	v_pk_fma_f16 v72, v69, v75, v72
	v_pk_fma_f16 v73, v66, v75, v73
	v_mul_u32_u24_e32 v4, 0x10001, v4
	v_mul_u32_u24_e32 v75, 0x10001, v76
	s_delay_alu instid0(VALU_DEP_2)
	v_pk_fma_f16 v37, v67, v4, v37
	v_pk_fma_f16 v65, v68, v4, v65
	;; [unrolled: 1-line block ×4, first 2 shown]
	ds_load_2addr_b64 v[4:7], v62 offset1:32
	ds_load_2addr_b64 v[66:69], v62 offset0:64 offset1:96
	s_wait_dscnt 0x2
	v_pk_fma_f16 v37, v9, v75, v37
	v_pk_fma_f16 v65, v10, v75, v65
	;; [unrolled: 1-line block ×4, first 2 shown]
	v_and_b32_e32 v75, 0xffff, v0
	v_lshrrev_b32_e32 v0, 16, v0
	v_mul_u32_u24_e32 v76, 0x10001, v77
	s_delay_alu instid0(VALU_DEP_3) | instskip(NEXT) | instid1(VALU_DEP_3)
	v_mul_u32_u24_e32 v75, 0x10001, v75
	v_mul_u32_u24_e32 v0, 0x10001, v0
	s_delay_alu instid0(VALU_DEP_3)
	v_pk_fma_f16 v36, v9, v76, v36
	v_pk_fma_f16 v71, v10, v76, v71
	;; [unrolled: 1-line block ×4, first 2 shown]
	ds_load_2addr_b64 v[8:11], v62 offset0:128 offset1:160
	s_wait_dscnt 0x2
	v_pk_fma_f16 v37, v5, v75, v37
	v_pk_fma_f16 v65, v6, v75, v65
	;; [unrolled: 1-line block ×8, first 2 shown]
	v_and_b32_e32 v4, 0xffff, v1
	v_dual_lshrrev_b32 v1, 16, v1 :: v_dual_lshrrev_b32 v75, 16, v2
	ds_load_2addr_b64 v[70:73], v62 offset0:192 offset1:224
	v_and_b32_e32 v76, 0xffff, v3
	v_mul_u32_u24_e32 v4, 0x10001, v4
	v_mul_u32_u24_e32 v1, 0x10001, v1
	;; [unrolled: 1-line block ×3, first 2 shown]
	s_wait_dscnt 0x2
	s_delay_alu instid0(VALU_DEP_3)
	v_pk_fma_f16 v37, v67, v4, v37
	v_pk_fma_f16 v65, v68, v4, v65
	;; [unrolled: 1-line block ×8, first 2 shown]
	ds_load_b128 v[4:7], v53 offset:96
	v_and_b32_e32 v0, 0xffff, v2
	v_lshrrev_b32_e32 v77, 16, v3
	s_wait_dscnt 0x2
	v_pk_fma_f16 v67, v9, v75, v67
	v_pk_fma_f16 v68, v10, v75, v68
	;; [unrolled: 1-line block ×3, first 2 shown]
	v_mul_u32_u24_e32 v0, 0x10001, v0
	v_pk_fma_f16 v66, v8, v75, v66
	v_mul_u32_u24_e32 v75, 0x10001, v76
	v_mul_u32_u24_e32 v76, 0x10001, v77
	s_delay_alu instid0(VALU_DEP_4)
	v_pk_fma_f16 v37, v9, v0, v37
	v_pk_fma_f16 v65, v10, v0, v65
	;; [unrolled: 1-line block ×4, first 2 shown]
	ds_load_2addr_b64 v[0:3], v63 offset1:32
	ds_load_2addr_b64 v[8:11], v63 offset0:64 offset1:96
	s_wait_dscnt 0x3
	v_pk_fma_f16 v37, v71, v75, v37
	v_pk_fma_f16 v65, v72, v75, v65
	v_pk_fma_f16 v74, v73, v75, v74
	v_pk_fma_f16 v71, v71, v76, v67
	v_pk_fma_f16 v72, v72, v76, v68
	v_pk_fma_f16 v73, v73, v76, v69
	v_pk_fma_f16 v36, v70, v75, v36
	v_pk_fma_f16 v70, v70, v76, v66
	ds_load_b128 v[66:69], v53 offset:112
	s_wait_dscnt 0x3
	v_and_b32_e32 v75, 0xffff, v4
	v_lshrrev_b32_e32 v4, 16, v4
	v_and_b32_e32 v76, 0xffff, v7
	v_lshrrev_b32_e32 v77, 16, v7
	s_delay_alu instid0(VALU_DEP_4) | instskip(NEXT) | instid1(VALU_DEP_4)
	v_mul_u32_u24_e32 v75, 0x10001, v75
	v_mul_u32_u24_e32 v4, 0x10001, v4
	s_delay_alu instid0(VALU_DEP_4) | instskip(SKIP_1) | instid1(VALU_DEP_3)
	v_mul_u32_u24_e32 v76, 0x10001, v76
	s_wait_dscnt 0x2
	v_pk_fma_f16 v37, v1, v75, v37
	v_pk_fma_f16 v65, v2, v75, v65
	;; [unrolled: 1-line block ×8, first 2 shown]
	ds_load_2addr_b64 v[0:3], v63 offset0:128 offset1:160
	v_and_b32_e32 v70, 0xffff, v5
	v_dual_lshrrev_b32 v5, 16, v5 :: v_dual_lshrrev_b32 v75, 16, v6
	s_wait_dscnt 0x1
	v_and_b32_e32 v78, 0xffff, v69
	v_lshrrev_b32_e32 v69, 16, v69
	v_mul_u32_u24_e32 v70, 0x10001, v70
	v_mul_u32_u24_e32 v5, 0x10001, v5
	;; [unrolled: 1-line block ×3, first 2 shown]
	s_delay_alu instid0(VALU_DEP_3)
	v_pk_fma_f16 v37, v9, v70, v37
	v_pk_fma_f16 v65, v10, v70, v65
	;; [unrolled: 1-line block ×8, first 2 shown]
	ds_load_2addr_b64 v[8:11], v63 offset0:192 offset1:224
	v_and_b32_e32 v4, 0xffff, v6
	s_wait_dscnt 0x1
	v_pk_fma_f16 v71, v1, v75, v71
	v_pk_fma_f16 v72, v2, v75, v72
	;; [unrolled: 1-line block ×4, first 2 shown]
	v_mul_u32_u24_e32 v4, 0x10001, v4
	v_and_b32_e32 v75, 0xffff, v66
	v_lshrrev_b32_e32 v66, 16, v66
	s_delay_alu instid0(VALU_DEP_3)
	v_pk_fma_f16 v37, v1, v4, v37
	v_pk_fma_f16 v65, v2, v4, v65
	;; [unrolled: 1-line block ×4, first 2 shown]
	ds_load_2addr_b64 v[4:7], v64 offset1:32
	ds_load_2addr_b64 v[0:3], v64 offset0:64 offset1:96
	v_mul_u32_u24_e32 v66, 0x10001, v66
	s_wait_dscnt 0x2
	v_pk_fma_f16 v37, v9, v76, v37
	v_pk_fma_f16 v65, v10, v76, v65
	;; [unrolled: 1-line block ×4, first 2 shown]
	v_mul_u32_u24_e32 v76, 0x10001, v77
	v_and_b32_e32 v77, 0xffff, v68
	v_lshrrev_b32_e32 v68, 16, v68
	s_delay_alu instid0(VALU_DEP_3)
	v_pk_fma_f16 v70, v8, v76, v70
	v_mul_u32_u24_e32 v8, 0x10001, v75
	v_pk_fma_f16 v71, v9, v76, v71
	v_pk_fma_f16 v72, v10, v76, v72
	;; [unrolled: 1-line block ×3, first 2 shown]
	v_and_b32_e32 v76, 0xffff, v67
	s_wait_dscnt 0x1
	v_pk_fma_f16 v37, v5, v8, v37
	v_pk_fma_f16 v65, v6, v8, v65
	;; [unrolled: 1-line block ×4, first 2 shown]
	ds_load_2addr_b64 v[8:11], v64 offset0:128 offset1:160
	v_pk_fma_f16 v71, v5, v66, v71
	v_pk_fma_f16 v72, v6, v66, v72
	;; [unrolled: 1-line block ×4, first 2 shown]
	ds_load_2addr_b64 v[4:7], v64 offset0:192 offset1:224
	s_wait_dscnt 0x0
	s_barrier_signal -1
	s_barrier_wait -1
	s_load_b32 s2, s[24:25], 0x4
	v_lshrrev_b32_e32 v67, 16, v67
	v_mul_u32_u24_e32 v70, 0x10001, v76
	v_mul_u32_u24_e32 v75, 0x10001, v77
	;; [unrolled: 1-line block ×5, first 2 shown]
	v_pk_fma_f16 v37, v1, v70, v37
	v_pk_fma_f16 v65, v2, v70, v65
	;; [unrolled: 1-line block ×8, first 2 shown]
	v_mul_u32_u24_e32 v76, 0x10001, v78
	v_pk_fma_f16 v37, v9, v75, v37
	v_pk_fma_f16 v65, v10, v75, v65
	;; [unrolled: 1-line block ×8, first 2 shown]
	s_wait_kmcnt 0x0
	s_lshl_b32 s2, s2, 5
	v_pk_fma_f16 v72, v5, v76, v37
	v_pk_fma_f16 v71, v6, v76, v65
	;; [unrolled: 1-line block ×8, first 2 shown]
	s_add_co_i32 s10, s2, s10
	s_delay_alu instid0(SALU_CYCLE_1)
	s_cmp_ge_i32 s10, s30
	s_cbranch_scc0 .LBB17_9
; %bb.10:
	v_mov_b32_e32 v3, v41
.LBB17_11:
	v_cmp_lt_i32_e32 vcc_lo, v47, v42
	s_cmp_lg_u64 s[12:13], 0
	s_cselect_b32 s2, -1, 0
	s_cmp_eq_u32 s5, 0
	v_cndmask_b32_e32 v0, v3, v47, vcc_lo
	v_cmp_lt_i32_e32 vcc_lo, v46, v42
	s_cselect_b32 s3, -1, 0
	s_delay_alu instid0(SALU_CYCLE_1) | instskip(NEXT) | instid1(VALU_DEP_2)
	s_and_b32 s2, s3, s2
	v_dual_cndmask_b32 v2, v3, v46 :: v_dual_lshlrev_b32 v1, 2, v0
	v_cmp_lt_i32_e32 vcc_lo, v45, v42
	s_delay_alu instid0(VALU_DEP_2)
	v_lshlrev_b32_e32 v2, 2, v2
	ds_bpermute_b32 v0, v1, v20
	ds_bpermute_b32 v1, v1, v21
	s_wait_dscnt 0x0
	v_pk_add_f32 v[0:1], v[20:21], v[0:1]
	ds_bpermute_b32 v4, v2, v0
	ds_bpermute_b32 v5, v2, v1
	v_cndmask_b32_e32 v2, v3, v45, vcc_lo
	v_cmp_lt_i32_e32 vcc_lo, v44, v42
	s_delay_alu instid0(VALU_DEP_2)
	v_lshlrev_b32_e32 v2, 2, v2
	s_wait_dscnt 0x0
	v_pk_add_f32 v[0:1], v[0:1], v[4:5]
	ds_bpermute_b32 v4, v2, v0
	ds_bpermute_b32 v5, v2, v1
	v_cndmask_b32_e32 v2, v3, v44, vcc_lo
	v_cmp_lt_i32_e32 vcc_lo, v43, v42
	s_delay_alu instid0(VALU_DEP_2)
	v_lshlrev_b32_e32 v2, 2, v2
	s_wait_dscnt 0x0
	v_pk_add_f32 v[0:1], v[0:1], v[4:5]
	ds_bpermute_b32 v4, v2, v0
	ds_bpermute_b32 v5, v2, v1
	v_cndmask_b32_e32 v2, v3, v43, vcc_lo
	s_and_b32 vcc_lo, exec_lo, s2
	s_delay_alu instid0(VALU_DEP_1)
	v_lshlrev_b32_e32 v3, 2, v2
	s_wait_dscnt 0x0
	v_pk_add_f32 v[0:1], v[0:1], v[4:5]
	ds_bpermute_b32 v2, v3, v0
	ds_bpermute_b32 v3, v3, v1
	s_wait_dscnt 0x0
	v_pk_add_f32 v[0:1], v[0:1], v[2:3]
	v_add_nc_u32_e32 v2, s33, v12
	s_cbranch_vccz .LBB17_13
; %bb.12:
	s_delay_alu instid0(VALU_DEP_1) | instskip(NEXT) | instid1(VALU_DEP_1)
	v_dual_ashrrev_i32 v3, 31, v2 :: v_dual_max_num_f32 v7, v35, v35
	v_lshl_add_u64 v[4:5], v[2:3], 2, s[12:13]
	v_max_num_f32_e32 v3, v34, v34
	global_load_b64 v[4:5], v[4:5], off
	s_wait_loadcnt 0x0
	v_dual_max_num_f32 v6, v4, v4 :: v_dual_max_num_f32 v8, v5, v5
	s_delay_alu instid0(VALU_DEP_1) | instskip(NEXT) | instid1(VALU_DEP_1)
	v_max_num_f32_e32 v6, v3, v6
	v_dual_max_num_f32 v7, v7, v8 :: v_dual_sub_f32 v3, v34, v6
	s_delay_alu instid0(VALU_DEP_1) | instskip(SKIP_2) | instid1(VALU_DEP_3)
	v_dual_sub_f32 v8, v4, v6 :: v_dual_sub_f32 v9, v35, v7
	v_sub_f32_e32 v10, v5, v7
	v_mov_b64_e32 v[34:35], v[6:7]
	v_dual_mul_f32 v4, 0x3fb8aa3b, v3 :: v_dual_mul_f32 v5, 0x3fb8aa3b, v8
	s_delay_alu instid0(VALU_DEP_4) | instskip(SKIP_1) | instid1(VALU_DEP_3)
	v_mul_f32_e32 v11, 0x3fb8aa3b, v9
	v_cmp_ngt_f32_e32 vcc_lo, 0xc2ce8ed0, v3
	v_fma_f32 v14, 0x3fb8aa3b, v3, -v4
	s_delay_alu instid0(VALU_DEP_4) | instskip(SKIP_4) | instid1(VALU_DEP_4)
	v_fma_f32 v16, 0x3fb8aa3b, v8, -v5
	v_rndne_f32_e32 v17, v5
	v_rndne_f32_e32 v15, v4
	v_fma_f32 v18, 0x3fb8aa3b, v9, -v11
	v_rndne_f32_e32 v19, v11
	v_dual_fmac_f32 v14, 0x32a5705f, v3 :: v_dual_sub_f32 v5, v5, v17
	v_fmac_f32_e32 v16, 0x32a5705f, v8
	s_delay_alu instid0(VALU_DEP_3) | instskip(NEXT) | instid1(VALU_DEP_2)
	v_dual_mul_f32 v12, 0x3fb8aa3b, v10 :: v_dual_sub_f32 v11, v11, v19
	v_dual_fmac_f32 v18, 0x32a5705f, v9 :: v_dual_add_f32 v5, v5, v16
	v_sub_f32_e32 v4, v4, v15
	s_delay_alu instid0(VALU_DEP_3) | instskip(NEXT) | instid1(VALU_DEP_3)
	v_rndne_f32_e32 v21, v12
	v_add_f32_e32 v11, v11, v18
	v_fma_f32 v20, 0x3fb8aa3b, v10, -v12
	v_exp_f32_e32 v5, v5
	v_add_f32_e32 v4, v4, v14
	v_cvt_i32_f32_e32 v14, v15
	v_exp_f32_e32 v11, v11
	v_cvt_i32_f32_e32 v15, v19
	v_cvt_i32_f32_e32 v16, v17
	v_exp_f32_e32 v4, v4
	s_delay_alu instid0(TRANS32_DEP_2) | instid1(VALU_DEP_2)
	v_ldexp_f32 v11, v11, v15
	s_delay_alu instid0(TRANS32_DEP_1) | instskip(SKIP_2) | instid1(VALU_DEP_3)
	v_ldexp_f32 v4, v4, v14
	v_sub_f32_e32 v12, v12, v21
	v_cvt_i32_f32_e32 v14, v21
	v_cndmask_b32_e32 v4, 0, v4, vcc_lo
	v_cmp_ngt_f32_e32 vcc_lo, 0xc2ce8ed0, v9
	v_cndmask_b32_e32 v11, 0, v11, vcc_lo
	v_cmp_nlt_f32_e32 vcc_lo, 0x42b17218, v3
	v_ldexp_f32 v3, v5, v16
	v_cndmask_b32_e32 v4, 0x7f800000, v4, vcc_lo
	v_cmp_nlt_f32_e32 vcc_lo, 0x42b17218, v9
	s_delay_alu instid0(VALU_DEP_2) | instskip(SKIP_3) | instid1(VALU_DEP_1)
	v_cvt_f16_f32_e32 v9, v4
	v_cndmask_b32_e32 v5, 0x7f800000, v11, vcc_lo
	v_cmp_ngt_f32_e32 vcc_lo, 0xc2ce8ed0, v8
	v_dual_fmac_f32 v20, 0x32a5705f, v10 :: v_dual_cndmask_b32 v3, 0, v3
	v_add_f32_e32 v12, v12, v20
	v_cmp_ngt_f32_e32 vcc_lo, 0xc2ce8ed0, v10
	s_delay_alu instid0(VALU_DEP_2) | instskip(SKIP_1) | instid1(TRANS32_DEP_1)
	v_exp_f32_e32 v12, v12
	v_nop
	v_ldexp_f32 v12, v12, v14
	v_and_b32_e32 v14, 0xffff, v9
	s_delay_alu instid0(VALU_DEP_2) | instskip(SKIP_4) | instid1(VALU_DEP_4)
	v_cndmask_b32_e32 v11, 0, v12, vcc_lo
	v_cvt_f16_f32_e32 v12, v5
	v_cmp_nlt_f32_e32 vcc_lo, 0x42b17218, v8
	v_cndmask_b32_e32 v8, 0x7f800000, v3, vcc_lo
	v_cmp_nlt_f32_e32 vcc_lo, 0x42b17218, v10
	v_and_b32_e32 v3, 0xffff, v12
	v_mul_u32_u24_e32 v10, 0x10001, v14
	v_cndmask_b32_e32 v9, 0x7f800000, v11, vcc_lo
	s_delay_alu instid0(VALU_DEP_3) | instskip(NEXT) | instid1(VALU_DEP_3)
	v_mul_u32_u24_e32 v3, 0x10001, v3
	v_pk_mul_f16 v69, v69, v10
	v_pk_mul_f16 v72, v72, v10
	;; [unrolled: 1-line block ×3, first 2 shown]
	v_pk_fma_f32 v[0:1], v[0:1], v[4:5], v[8:9]
	v_pk_mul_f16 v70, v70, v10
	v_pk_mul_f16 v65, v65, v3
	;; [unrolled: 1-line block ×5, first 2 shown]
.LBB17_13:
	s_mov_b32 s2, exec_lo
	v_cmpx_gt_i32_e64 s22, v38
	s_cbranch_execz .LBB17_22
; %bb.14:
	s_load_b32 s0, s[0:1], 0xd4
	v_mov_b32_e32 v4, 1.0
	s_wait_kmcnt 0x0
	s_cmp_lg_u32 s0, 1
	s_cselect_b32 s2, -1, 0
	s_cmp_eq_u32 s0, 1
	s_cselect_b32 s1, -1, 0
	s_and_b32 vcc_lo, exec_lo, s2
	s_cbranch_vccnz .LBB17_16
; %bb.15:
	v_div_scale_f32 v3, null, v0, v0, 1.0
	s_delay_alu instid0(VALU_DEP_1) | instskip(SKIP_1) | instid1(TRANS32_DEP_1)
	v_rcp_f32_e32 v4, v3
	v_nop
	v_fma_f32 v5, -v3, v4, 1.0
	s_delay_alu instid0(VALU_DEP_1) | instskip(SKIP_1) | instid1(VALU_DEP_1)
	v_fmac_f32_e32 v4, v5, v4
	v_div_scale_f32 v5, vcc_lo, 1.0, v0, 1.0
	v_mul_f32_e32 v6, v5, v4
	s_delay_alu instid0(VALU_DEP_1) | instskip(NEXT) | instid1(VALU_DEP_1)
	v_fma_f32 v7, -v3, v6, v5
	v_fmac_f32_e32 v6, v7, v4
	s_delay_alu instid0(VALU_DEP_1) | instskip(NEXT) | instid1(VALU_DEP_1)
	v_fma_f32 v3, -v3, v6, v5
	v_div_fmas_f32 v3, v3, v4, v6
	s_delay_alu instid0(VALU_DEP_1)
	v_div_fixup_f32 v4, v3, v0, 1.0
.LBB17_16:
	v_mad_u32 v3, s28, s22, v38
	v_cmp_eq_u32_e32 vcc_lo, 0, v13
	v_dual_mov_b32 v13, 0 :: v_dual_lshrrev_b32 v5, 16, v72
	v_dual_lshrrev_b32 v11, 16, v71 :: v_dual_lshrrev_b32 v15, 16, v70
	v_cvt_f32_f16_e32 v6, v69
	v_cvt_f32_f16_e32 v8, v72
	s_delay_alu instid0(VALU_DEP_4)
	v_cvt_f32_f16_e32 v9, v5
	v_cvt_f32_f16_e32 v10, v71
	;; [unrolled: 1-line block ×3, first 2 shown]
	v_mad_u32 v2, v3, s23, v2
	v_lshrrev_b32_e32 v3, 16, v69
	v_cvt_f32_f16_e32 v11, v11
	v_cvt_f32_f16_e32 v15, v15
	v_pk_mul_f32 v[8:9], v[4:5], v[8:9] op_sel_hi:[0,1]
	s_and_b32 s2, vcc_lo, s2
	v_cvt_f32_f16_e32 v7, v3
	v_pk_mul_f32 v[10:11], v[4:5], v[10:11] op_sel_hi:[0,1]
	s_delay_alu instid0(VALU_DEP_2) | instskip(SKIP_1) | instid1(VALU_DEP_1)
	v_pk_mul_f32 v[6:7], v[4:5], v[6:7] op_sel_hi:[0,1]
	v_mad_u32 v2, s0, v2, s5
	v_lshl_add_u32 v12, v2, 8, v39
	s_delay_alu instid0(VALU_DEP_1) | instskip(SKIP_1) | instid1(VALU_DEP_1)
	v_lshl_add_u64 v[16:17], v[12:13], 2, s[16:17]
	v_add_nc_u32_e32 v12, 0x80, v12
	v_lshl_add_u64 v[18:19], v[12:13], 2, s[16:17]
	v_pk_mul_f32 v[12:13], v[4:5], v[14:15] op_sel_hi:[0,1]
	s_clause 0x1
	global_store_b128 v[16:17], v[6:9], off
	global_store_b128 v[18:19], v[10:13], off
	s_wait_xcnt 0x0
	s_and_saveexec_b32 s3, s2
	s_cbranch_execz .LBB17_18
; %bb.17:
	v_dual_mov_b32 v4, v34 :: v_dual_mov_b32 v5, v0
	global_store_b64 v2, v[4:5], s[18:19] scale_offset
.LBB17_18:
	s_wait_xcnt 0x0
	s_or_b32 exec_lo, exec_lo, s3
	v_mov_b32_e32 v0, 1.0
	s_and_not1_b32 vcc_lo, exec_lo, s1
	s_cbranch_vccnz .LBB17_20
; %bb.19:
	v_div_scale_f32 v0, null, v1, v1, 1.0
	s_delay_alu instid0(VALU_DEP_1) | instskip(SKIP_1) | instid1(TRANS32_DEP_1)
	v_rcp_f32_e32 v3, v0
	v_nop
	v_fma_f32 v4, -v0, v3, 1.0
	s_delay_alu instid0(VALU_DEP_1) | instskip(SKIP_1) | instid1(VALU_DEP_1)
	v_fmac_f32_e32 v3, v4, v3
	v_div_scale_f32 v4, vcc_lo, 1.0, v1, 1.0
	v_mul_f32_e32 v5, v4, v3
	s_delay_alu instid0(VALU_DEP_1) | instskip(NEXT) | instid1(VALU_DEP_1)
	v_fma_f32 v6, -v0, v5, v4
	v_fmac_f32_e32 v5, v6, v3
	s_delay_alu instid0(VALU_DEP_1) | instskip(NEXT) | instid1(VALU_DEP_1)
	v_fma_f32 v0, -v0, v5, v4
	v_div_fmas_f32 v0, v0, v3, v5
	s_delay_alu instid0(VALU_DEP_1)
	v_div_fixup_f32 v0, v0, v1, 1.0
.LBB17_20:
	v_dual_mov_b32 v9, 0 :: v_dual_add_nc_u32 v2, s0, v2
	v_dual_lshrrev_b32 v3, 16, v65 :: v_dual_lshrrev_b32 v6, 16, v68
	v_dual_lshrrev_b32 v10, 16, v67 :: v_dual_lshrrev_b32 v14, 16, v66
	s_delay_alu instid0(VALU_DEP_3) | instskip(SKIP_1) | instid1(VALU_DEP_4)
	v_lshl_add_u32 v8, v2, 8, v39
	v_cvt_f32_f16_e32 v4, v65
	v_cvt_f32_f16_e32 v5, v3
	;; [unrolled: 1-line block ×4, first 2 shown]
	v_lshl_add_u64 v[12:13], v[8:9], 2, s[16:17]
	v_add_nc_u32_e32 v8, 0x80, v8
	v_cvt_f32_f16_e32 v11, v10
	v_cvt_f32_f16_e32 v10, v67
	;; [unrolled: 1-line block ×4, first 2 shown]
	v_pk_mul_f32 v[4:5], v[0:1], v[4:5] op_sel_hi:[0,1]
	v_pk_mul_f32 v[6:7], v[0:1], v[6:7] op_sel_hi:[0,1]
	v_lshl_add_u64 v[16:17], v[8:9], 2, s[16:17]
	v_pk_mul_f32 v[8:9], v[0:1], v[10:11] op_sel_hi:[0,1]
	v_pk_mul_f32 v[10:11], v[0:1], v[14:15] op_sel_hi:[0,1]
	s_clause 0x1
	global_store_b128 v[12:13], v[4:7], off
	global_store_b128 v[16:17], v[8:11], off
	s_wait_xcnt 0x0
	s_and_b32 exec_lo, exec_lo, s2
	s_cbranch_execz .LBB17_22
; %bb.21:
	v_mov_b32_e32 v0, v35
	global_store_b64 v2, v[0:1], s[18:19] scale_offset
.LBB17_22:
	s_sendmsg sendmsg(MSG_DEALLOC_VGPRS)
	s_endpgm
	.section	.rodata,"a",@progbits
	.p2align	6, 0x0
	.amdhsa_kernel _ZL15flash_attn_tileILi256ELi256ELi4ELi4ELb0EEvPKcS1_S1_S1_S1_PKiPfP15HIP_vector_typeIfLj2EEffffjfiS5_IjLj3EEiiiiiiiiiiiliiliiiiil
		.amdhsa_group_segment_fixed_size 26112
		.amdhsa_private_segment_fixed_size 0
		.amdhsa_kernarg_size 464
		.amdhsa_user_sgpr_count 2
		.amdhsa_user_sgpr_dispatch_ptr 0
		.amdhsa_user_sgpr_queue_ptr 0
		.amdhsa_user_sgpr_kernarg_segment_ptr 1
		.amdhsa_user_sgpr_dispatch_id 0
		.amdhsa_user_sgpr_kernarg_preload_length 0
		.amdhsa_user_sgpr_kernarg_preload_offset 0
		.amdhsa_user_sgpr_private_segment_size 0
		.amdhsa_wavefront_size32 1
		.amdhsa_uses_dynamic_stack 0
		.amdhsa_enable_private_segment 0
		.amdhsa_system_sgpr_workgroup_id_x 1
		.amdhsa_system_sgpr_workgroup_id_y 1
		.amdhsa_system_sgpr_workgroup_id_z 1
		.amdhsa_system_sgpr_workgroup_info 0
		.amdhsa_system_vgpr_workitem_id 1
		.amdhsa_next_free_vgpr 86
		.amdhsa_next_free_sgpr 41
		.amdhsa_named_barrier_count 0
		.amdhsa_reserve_vcc 1
		.amdhsa_float_round_mode_32 0
		.amdhsa_float_round_mode_16_64 0
		.amdhsa_float_denorm_mode_32 3
		.amdhsa_float_denorm_mode_16_64 3
		.amdhsa_fp16_overflow 0
		.amdhsa_memory_ordered 1
		.amdhsa_forward_progress 1
		.amdhsa_inst_pref_size 75
		.amdhsa_round_robin_scheduling 0
		.amdhsa_exception_fp_ieee_invalid_op 0
		.amdhsa_exception_fp_denorm_src 0
		.amdhsa_exception_fp_ieee_div_zero 0
		.amdhsa_exception_fp_ieee_overflow 0
		.amdhsa_exception_fp_ieee_underflow 0
		.amdhsa_exception_fp_ieee_inexact 0
		.amdhsa_exception_int_div_zero 0
	.end_amdhsa_kernel
	.section	.text._ZL15flash_attn_tileILi256ELi256ELi4ELi4ELb0EEvPKcS1_S1_S1_S1_PKiPfP15HIP_vector_typeIfLj2EEffffjfiS5_IjLj3EEiiiiiiiiiiiliiliiiiil,"axG",@progbits,_ZL15flash_attn_tileILi256ELi256ELi4ELi4ELb0EEvPKcS1_S1_S1_S1_PKiPfP15HIP_vector_typeIfLj2EEffffjfiS5_IjLj3EEiiiiiiiiiiiliiliiiiil,comdat
.Lfunc_end17:
	.size	_ZL15flash_attn_tileILi256ELi256ELi4ELi4ELb0EEvPKcS1_S1_S1_S1_PKiPfP15HIP_vector_typeIfLj2EEffffjfiS5_IjLj3EEiiiiiiiiiiiliiliiiiil, .Lfunc_end17-_ZL15flash_attn_tileILi256ELi256ELi4ELi4ELb0EEvPKcS1_S1_S1_S1_PKiPfP15HIP_vector_typeIfLj2EEffffjfiS5_IjLj3EEiiiiiiiiiiiliiliiiiil
                                        ; -- End function
	.set _ZL15flash_attn_tileILi256ELi256ELi4ELi4ELb0EEvPKcS1_S1_S1_S1_PKiPfP15HIP_vector_typeIfLj2EEffffjfiS5_IjLj3EEiiiiiiiiiiiliiliiiiil.num_vgpr, 86
	.set _ZL15flash_attn_tileILi256ELi256ELi4ELi4ELb0EEvPKcS1_S1_S1_S1_PKiPfP15HIP_vector_typeIfLj2EEffffjfiS5_IjLj3EEiiiiiiiiiiiliiliiiiil.num_agpr, 0
	.set _ZL15flash_attn_tileILi256ELi256ELi4ELi4ELb0EEvPKcS1_S1_S1_S1_PKiPfP15HIP_vector_typeIfLj2EEffffjfiS5_IjLj3EEiiiiiiiiiiiliiliiiiil.numbered_sgpr, 41
	.set _ZL15flash_attn_tileILi256ELi256ELi4ELi4ELb0EEvPKcS1_S1_S1_S1_PKiPfP15HIP_vector_typeIfLj2EEffffjfiS5_IjLj3EEiiiiiiiiiiiliiliiiiil.num_named_barrier, 0
	.set _ZL15flash_attn_tileILi256ELi256ELi4ELi4ELb0EEvPKcS1_S1_S1_S1_PKiPfP15HIP_vector_typeIfLj2EEffffjfiS5_IjLj3EEiiiiiiiiiiiliiliiiiil.private_seg_size, 0
	.set _ZL15flash_attn_tileILi256ELi256ELi4ELi4ELb0EEvPKcS1_S1_S1_S1_PKiPfP15HIP_vector_typeIfLj2EEffffjfiS5_IjLj3EEiiiiiiiiiiiliiliiiiil.uses_vcc, 1
	.set _ZL15flash_attn_tileILi256ELi256ELi4ELi4ELb0EEvPKcS1_S1_S1_S1_PKiPfP15HIP_vector_typeIfLj2EEffffjfiS5_IjLj3EEiiiiiiiiiiiliiliiiiil.uses_flat_scratch, 0
	.set _ZL15flash_attn_tileILi256ELi256ELi4ELi4ELb0EEvPKcS1_S1_S1_S1_PKiPfP15HIP_vector_typeIfLj2EEffffjfiS5_IjLj3EEiiiiiiiiiiiliiliiiiil.has_dyn_sized_stack, 0
	.set _ZL15flash_attn_tileILi256ELi256ELi4ELi4ELb0EEvPKcS1_S1_S1_S1_PKiPfP15HIP_vector_typeIfLj2EEffffjfiS5_IjLj3EEiiiiiiiiiiiliiliiiiil.has_recursion, 0
	.set _ZL15flash_attn_tileILi256ELi256ELi4ELi4ELb0EEvPKcS1_S1_S1_S1_PKiPfP15HIP_vector_typeIfLj2EEffffjfiS5_IjLj3EEiiiiiiiiiiiliiliiiiil.has_indirect_call, 0
	.section	.AMDGPU.csdata,"",@progbits
; Kernel info:
; codeLenInByte = 9600
; TotalNumSgprs: 43
; NumVgprs: 86
; ScratchSize: 0
; MemoryBound: 0
; FloatMode: 240
; IeeeMode: 1
; LDSByteSize: 26112 bytes/workgroup (compile time only)
; SGPRBlocks: 0
; VGPRBlocks: 5
; NumSGPRsForWavesPerEU: 43
; NumVGPRsForWavesPerEU: 86
; NamedBarCnt: 0
; Occupancy: 10
; WaveLimiterHint : 1
; COMPUTE_PGM_RSRC2:SCRATCH_EN: 0
; COMPUTE_PGM_RSRC2:USER_SGPR: 2
; COMPUTE_PGM_RSRC2:TRAP_HANDLER: 0
; COMPUTE_PGM_RSRC2:TGID_X_EN: 1
; COMPUTE_PGM_RSRC2:TGID_Y_EN: 1
; COMPUTE_PGM_RSRC2:TGID_Z_EN: 1
; COMPUTE_PGM_RSRC2:TIDIG_COMP_CNT: 1
	.section	.text._ZL33flash_attn_stream_k_fixup_uniformILi256ELi4ELi4EEvPfPK15HIP_vector_typeIfLj2EEiiiiiiS1_IjLj3EES5_S5_,"axG",@progbits,_ZL33flash_attn_stream_k_fixup_uniformILi256ELi4ELi4EEvPfPK15HIP_vector_typeIfLj2EEiiiiiiS1_IjLj3EES5_S5_,comdat
	.globl	_ZL33flash_attn_stream_k_fixup_uniformILi256ELi4ELi4EEvPfPK15HIP_vector_typeIfLj2EEiiiiiiS1_IjLj3EES5_S5_ ; -- Begin function _ZL33flash_attn_stream_k_fixup_uniformILi256ELi4ELi4EEvPfPK15HIP_vector_typeIfLj2EEiiiiiiS1_IjLj3EES5_S5_
	.p2align	8
	.type	_ZL33flash_attn_stream_k_fixup_uniformILi256ELi4ELi4EEvPfPK15HIP_vector_typeIfLj2EEiiiiiiS1_IjLj3EES5_S5_,@function
_ZL33flash_attn_stream_k_fixup_uniformILi256ELi4ELi4EEvPfPK15HIP_vector_typeIfLj2EEiiiiiiS1_IjLj3EES5_S5_: ; @_ZL33flash_attn_stream_k_fixup_uniformILi256ELi4ELi4EEvPfPK15HIP_vector_typeIfLj2EEiiiiiiS1_IjLj3EES5_S5_
; %bb.0:
	s_load_b256 s[4:11], s[0:1], 0x1c
	s_bfe_u32 s2, ttmp6, 0x40014
	s_lshr_b32 s3, ttmp7, 16
	s_add_co_i32 s2, s2, 1
	s_bfe_u32 s13, ttmp6, 0x40010
	s_mul_i32 s2, s3, s2
	s_bfe_u32 s12, ttmp6, 0x40008
	s_and_b32 s15, ttmp7, 0xffff
	s_add_co_i32 s13, s13, 1
	s_bfe_u32 s14, ttmp6, 0x4000c
	s_add_co_i32 s12, s12, s2
	s_mul_i32 s2, s15, s13
	s_bfe_u32 s13, ttmp6, 0x40004
	s_add_co_i32 s14, s14, 1
	s_add_co_i32 s13, s13, s2
	s_and_b32 s2, ttmp6, 15
	s_mul_i32 s14, ttmp9, s14
	s_getreg_b32 s20, hwreg(HW_REG_IB_STS2, 6, 4)
	s_add_co_i32 s2, s2, s14
	s_load_b128 s[16:19], s[0:1], 0x3c
	s_cmp_eq_u32 s20, 0
	s_cselect_b32 s14, ttmp9, s2
	s_cselect_b32 s13, s15, s13
	s_wait_kmcnt 0x0
	s_mul_hi_u32 s2, s7, s14
	s_cselect_b32 s12, s3, s12
	s_add_co_i32 s2, s14, s2
	s_delay_alu instid0(SALU_CYCLE_1) | instskip(NEXT) | instid1(SALU_CYCLE_1)
	s_lshr_b32 s7, s2, s8
	s_mul_i32 s2, s7, s9
	s_delay_alu instid0(SALU_CYCLE_1) | instskip(NEXT) | instid1(SALU_CYCLE_1)
	s_sub_co_i32 s8, s14, s2
	s_mul_hi_u32 s2, s8, s10
	s_delay_alu instid0(SALU_CYCLE_1) | instskip(SKIP_2) | instid1(SALU_CYCLE_1)
	s_add_co_i32 s9, s8, s2
	s_load_b64 s[2:3], s[0:1], 0x10
	s_lshr_b32 s15, s9, s11
	s_mul_i32 s9, s15, s16
	s_delay_alu instid0(SALU_CYCLE_1) | instskip(NEXT) | instid1(SALU_CYCLE_1)
	s_sub_co_i32 s8, s8, s9
	s_mul_hi_u32 s9, s8, s17
	s_delay_alu instid0(SALU_CYCLE_1) | instskip(NEXT) | instid1(SALU_CYCLE_1)
	s_add_co_i32 s9, s8, s9
	s_lshr_b32 s9, s9, s18
	s_delay_alu instid0(SALU_CYCLE_1) | instskip(SKIP_2) | instid1(SALU_CYCLE_1)
	s_mul_i32 s10, s9, s19
	s_lshl_b32 s17, s9, 2
	s_sub_co_i32 s16, s8, s10
	s_lshl_b32 s8, s16, 2
	s_delay_alu instid0(SALU_CYCLE_1) | instskip(SKIP_4) | instid1(SALU_CYCLE_1)
	s_add_co_i32 s8, s8, s13
	s_wait_kmcnt 0x0
	s_cmp_lt_i32 s8, s2
	s_cselect_b32 s8, -1, 0
	s_add_co_i32 s9, s17, s12
	s_cmp_lt_i32 s9, s5
	s_cselect_b32 s9, -1, 0
	s_delay_alu instid0(SALU_CYCLE_1) | instskip(NEXT) | instid1(SALU_CYCLE_1)
	s_and_b32 s8, s8, s9
	s_and_not1_b32 vcc_lo, exec_lo, s8
	s_cbranch_vccnz .LBB18_6
; %bb.1:
	s_mul_i32 s2, s7, s2
	s_load_b128 s[8:11], s[0:1], 0x0
	s_wait_xcnt 0x0
	s_add_co_i32 s0, s2, s13
	s_mul_i32 s15, s15, s5
	s_mul_i32 s0, s0, s3
	;; [unrolled: 1-line block ×3, first 2 shown]
	s_add_co_i32 s0, s0, s12
	s_lshl_b32 s1, s1, 10
	s_add_co_i32 s0, s0, s15
	s_mul_i32 s7, s6, s14
	s_add_co_i32 s0, s0, s17
	s_lshl_b32 s5, s13, 2
	s_lshl_b32 s0, s0, 8
	s_add_co_i32 s15, s7, s6
	s_add_co_i32 s1, s1, s0
	;; [unrolled: 1-line block ×3, first 2 shown]
	v_or_b32_e32 v4, s1, v0
	s_lshl_b32 s1, s15, 4
	s_add_co_i32 s2, s15, -2
	s_add_co_i32 s0, s0, s1
	s_delay_alu instid0(SALU_CYCLE_1)
	s_add_co_i32 s0, s0, -16
	s_wait_kmcnt 0x0
	global_load_b32 v3, v4, s[8:9] scale_offset
	s_ashr_i32 s1, s0, 31
	v_ashrrev_i32_e32 v5, 31, v4
	s_lshl_b64 s[0:1], s[0:1], 3
	s_cmp_lt_i32 s2, s7
	s_add_nc_u64 s[0:1], s[10:11], s[0:1]
	s_load_b32 s16, s[0:1], 0x4
	s_cbranch_scc1 .LBB18_4
; %bb.2:
	s_wait_xcnt 0x0
	s_load_b32 s0, s[0:1], 0x0
	s_add_co_i32 s14, s14, 1
	s_lshl_b32 s3, s13, 10
	s_wait_xcnt 0x0
	s_mul_i32 s1, s6, s14
	s_lshl_b32 s6, s12, 8
	s_lshl_b32 s13, s1, 12
	s_add_co_i32 s6, s6, s3
	s_lshl_b32 s1, s1, 4
	s_add_co_i32 s6, s6, s13
	s_lshl_b32 s2, s4, 6
	s_wait_kmcnt 0x0
	v_dual_mov_b32 v2, s16 :: v_dual_bitop2_b32 v0, s6, v0 bitop3:0x54
	s_add_co_i32 s1, s12, s1
	s_lshl_b32 s4, s4, 4
	s_ashr_i32 s3, s2, 31
	s_add_co_i32 s1, s1, s4
	v_add_nc_u32_e32 v0, 0xffffe000, v0
	s_lshl_b64 s[2:3], s[2:3], 2
	s_add_co_i32 s4, s1, s5
	s_add_nc_u64 s[2:3], s[10:11], s[2:3]
	s_add_co_i32 s1, s15, -1
	s_sub_co_i32 s4, s4, 32
.LBB18_3:                               ; =>This Inner Loop Header: Depth=1
	global_load_b32 v7, v0, s[2:3] scale_offset
	s_ashr_i32 s5, s4, 31
	v_max_num_f32_e64 v1, s0, s0
	s_lshl_b64 s[12:13], s[4:5], 3
	s_delay_alu instid0(SALU_CYCLE_1) | instskip(SKIP_1) | instid1(VALU_DEP_1)
	s_add_nc_u64 s[12:13], s[10:11], s[12:13]
	s_load_b64 s[12:13], s[12:13], 0x0
	v_readfirstlane_b32 s5, v1
	v_add_nc_u32_e32 v0, 0xfffff000, v0
	s_wait_kmcnt 0x0
	v_max_num_f32_e64 v1, s12, s12
	s_delay_alu instid0(VALU_DEP_1) | instskip(SKIP_1) | instid1(SALU_CYCLE_3)
	v_readfirstlane_b32 s6, v1
	s_max_num_f32 s5, s5, s6
	s_sub_f32 s0, s0, s5
	s_sub_f32 s6, s12, s5
	s_delay_alu instid0(SALU_CYCLE_2) | instskip(NEXT) | instid1(SALU_CYCLE_2)
	s_mul_f32 s12, s0, 0x3fb8aa3b
	s_mul_f32 s14, s6, 0x3fb8aa3b
	s_delay_alu instid0(SALU_CYCLE_2)
	s_xor_b32 s15, s12, 0x80000000
	s_rndne_f32 s16, s12
	s_fmamk_f32 s15, s0, 0x3fb8aa3b, s15
	s_cmp_nlt_f32 s0, 0xc2ce8ed0
	s_rndne_f32 s17, s14
	s_sub_f32 s12, s12, s16
	s_fmamk_f32 s15, s0, 0x32a5705f, s15
	s_cselect_b32 vcc_lo, -1, 0
	s_cmp_ngt_f32 s0, 0x42b17218
	s_delay_alu instid0(SALU_CYCLE_1) | instskip(SKIP_2) | instid1(SALU_CYCLE_1)
	s_add_f32 s12, s12, s15
	s_cvt_i32_f32 s15, s16
	s_sub_f32 s16, s14, s17
	v_s_exp_f32 s12, s12
	v_nop
	s_delay_alu instid0(TRANS32_DEP_1) | instskip(SKIP_1) | instid1(VALU_DEP_1)
	v_ldexp_f32 v1, s12, s15
	s_cvt_i32_f32 s12, s17
	v_cndmask_b32_e32 v1, 0, v1, vcc_lo
	s_cselect_b32 vcc_lo, -1, 0
	s_cmp_ge_f32 s0, 0xc1a00000
	s_delay_alu instid0(VALU_DEP_1)
	v_cndmask_b32_e32 v1, 0x7f800000, v1, vcc_lo
	s_cselect_b32 vcc_lo, -1, 0
	s_xor_b32 s0, s14, 0x80000000
	s_cmp_nlt_f32 s6, 0xc2ce8ed0
	s_fmamk_f32 s0, s6, 0x3fb8aa3b, s0
	v_cndmask_b32_e32 v10, 0, v1, vcc_lo
	s_delay_alu instid0(SALU_CYCLE_2) | instskip(NEXT) | instid1(SALU_CYCLE_3)
	s_fmamk_f32 s0, s6, 0x32a5705f, s0
	s_add_f32 s0, s16, s0
	s_delay_alu instid0(SALU_CYCLE_3) | instskip(SKIP_1) | instid1(TRANS32_DEP_1)
	v_s_exp_f32 s0, s0
	v_nop
	v_ldexp_f32 v6, s0, s12
	s_cselect_b32 s0, -1, 0
	s_cmp_ngt_f32 s6, 0x42b17218
	s_delay_alu instid0(VALU_DEP_1) | instskip(SKIP_2) | instid1(VALU_DEP_1)
	v_cndmask_b32_e64 v6, 0, v6, s0
	s_cselect_b32 s0, -1, 0
	s_cmp_ge_f32 s6, 0xc1a00000
	v_cndmask_b32_e64 v8, 0x7f800000, v6, s0
	s_cselect_b32 s0, -1, 0
	v_mov_b32_e32 v6, s13
	s_add_co_i32 s1, s1, -1
	s_add_co_i32 s4, s4, -16
	v_cndmask_b32_e64 v8, 0, v8, s0
	s_cmp_le_i32 s1, s7
	s_mov_b32 s0, s5
	s_wait_loadcnt 0x0
	s_delay_alu instid0(VALU_DEP_1) | instskip(NEXT) | instid1(VALU_DEP_1)
	v_pk_mul_f32 v[6:7], v[6:7], v[8:9] op_sel_hi:[1,0]
	v_pk_fma_f32 v[2:3], v[2:3], v[10:11], v[6:7] op_sel_hi:[1,0,1]
	s_cbranch_scc0 .LBB18_3
	s_branch .LBB18_5
.LBB18_4:
	s_wait_kmcnt 0x0
	v_mov_b32_e32 v2, s16
.LBB18_5:
	v_lshl_add_u64 v[0:1], v[4:5], 2, s[8:9]
	s_wait_loadcnt 0x0
	s_delay_alu instid0(VALU_DEP_2) | instskip(NEXT) | instid1(VALU_DEP_1)
	v_div_scale_f32 v4, null, v2, v2, v3
	v_rcp_f32_e32 v5, v4
	v_nop
	s_delay_alu instid0(TRANS32_DEP_1) | instskip(NEXT) | instid1(VALU_DEP_1)
	v_fma_f32 v6, -v4, v5, 1.0
	v_fmac_f32_e32 v5, v6, v5
	v_div_scale_f32 v6, vcc_lo, v3, v2, v3
	s_delay_alu instid0(VALU_DEP_1) | instskip(NEXT) | instid1(VALU_DEP_1)
	v_mul_f32_e32 v7, v6, v5
	v_fma_f32 v8, -v4, v7, v6
	s_delay_alu instid0(VALU_DEP_1) | instskip(NEXT) | instid1(VALU_DEP_1)
	v_fmac_f32_e32 v7, v8, v5
	v_fma_f32 v4, -v4, v7, v6
	s_delay_alu instid0(VALU_DEP_1) | instskip(NEXT) | instid1(VALU_DEP_1)
	v_div_fmas_f32 v4, v4, v5, v7
	v_div_fixup_f32 v2, v4, v2, v3
	global_store_b32 v[0:1], v2, off
.LBB18_6:
	s_endpgm
	.section	.rodata,"a",@progbits
	.p2align	6, 0x0
	.amdhsa_kernel _ZL33flash_attn_stream_k_fixup_uniformILi256ELi4ELi4EEvPfPK15HIP_vector_typeIfLj2EEiiiiiiS1_IjLj3EES5_S5_
		.amdhsa_group_segment_fixed_size 0
		.amdhsa_private_segment_fixed_size 0
		.amdhsa_kernarg_size 76
		.amdhsa_user_sgpr_count 2
		.amdhsa_user_sgpr_dispatch_ptr 0
		.amdhsa_user_sgpr_queue_ptr 0
		.amdhsa_user_sgpr_kernarg_segment_ptr 1
		.amdhsa_user_sgpr_dispatch_id 0
		.amdhsa_user_sgpr_kernarg_preload_length 0
		.amdhsa_user_sgpr_kernarg_preload_offset 0
		.amdhsa_user_sgpr_private_segment_size 0
		.amdhsa_wavefront_size32 1
		.amdhsa_uses_dynamic_stack 0
		.amdhsa_enable_private_segment 0
		.amdhsa_system_sgpr_workgroup_id_x 1
		.amdhsa_system_sgpr_workgroup_id_y 1
		.amdhsa_system_sgpr_workgroup_id_z 1
		.amdhsa_system_sgpr_workgroup_info 0
		.amdhsa_system_vgpr_workitem_id 0
		.amdhsa_next_free_vgpr 12
		.amdhsa_next_free_sgpr 21
		.amdhsa_named_barrier_count 0
		.amdhsa_reserve_vcc 1
		.amdhsa_float_round_mode_32 0
		.amdhsa_float_round_mode_16_64 0
		.amdhsa_float_denorm_mode_32 3
		.amdhsa_float_denorm_mode_16_64 3
		.amdhsa_fp16_overflow 0
		.amdhsa_memory_ordered 1
		.amdhsa_forward_progress 1
		.amdhsa_inst_pref_size 9
		.amdhsa_round_robin_scheduling 0
		.amdhsa_exception_fp_ieee_invalid_op 0
		.amdhsa_exception_fp_denorm_src 0
		.amdhsa_exception_fp_ieee_div_zero 0
		.amdhsa_exception_fp_ieee_overflow 0
		.amdhsa_exception_fp_ieee_underflow 0
		.amdhsa_exception_fp_ieee_inexact 0
		.amdhsa_exception_int_div_zero 0
	.end_amdhsa_kernel
	.section	.text._ZL33flash_attn_stream_k_fixup_uniformILi256ELi4ELi4EEvPfPK15HIP_vector_typeIfLj2EEiiiiiiS1_IjLj3EES5_S5_,"axG",@progbits,_ZL33flash_attn_stream_k_fixup_uniformILi256ELi4ELi4EEvPfPK15HIP_vector_typeIfLj2EEiiiiiiS1_IjLj3EES5_S5_,comdat
.Lfunc_end18:
	.size	_ZL33flash_attn_stream_k_fixup_uniformILi256ELi4ELi4EEvPfPK15HIP_vector_typeIfLj2EEiiiiiiS1_IjLj3EES5_S5_, .Lfunc_end18-_ZL33flash_attn_stream_k_fixup_uniformILi256ELi4ELi4EEvPfPK15HIP_vector_typeIfLj2EEiiiiiiS1_IjLj3EES5_S5_
                                        ; -- End function
	.set _ZL33flash_attn_stream_k_fixup_uniformILi256ELi4ELi4EEvPfPK15HIP_vector_typeIfLj2EEiiiiiiS1_IjLj3EES5_S5_.num_vgpr, 12
	.set _ZL33flash_attn_stream_k_fixup_uniformILi256ELi4ELi4EEvPfPK15HIP_vector_typeIfLj2EEiiiiiiS1_IjLj3EES5_S5_.num_agpr, 0
	.set _ZL33flash_attn_stream_k_fixup_uniformILi256ELi4ELi4EEvPfPK15HIP_vector_typeIfLj2EEiiiiiiS1_IjLj3EES5_S5_.numbered_sgpr, 21
	.set _ZL33flash_attn_stream_k_fixup_uniformILi256ELi4ELi4EEvPfPK15HIP_vector_typeIfLj2EEiiiiiiS1_IjLj3EES5_S5_.num_named_barrier, 0
	.set _ZL33flash_attn_stream_k_fixup_uniformILi256ELi4ELi4EEvPfPK15HIP_vector_typeIfLj2EEiiiiiiS1_IjLj3EES5_S5_.private_seg_size, 0
	.set _ZL33flash_attn_stream_k_fixup_uniformILi256ELi4ELi4EEvPfPK15HIP_vector_typeIfLj2EEiiiiiiS1_IjLj3EES5_S5_.uses_vcc, 1
	.set _ZL33flash_attn_stream_k_fixup_uniformILi256ELi4ELi4EEvPfPK15HIP_vector_typeIfLj2EEiiiiiiS1_IjLj3EES5_S5_.uses_flat_scratch, 0
	.set _ZL33flash_attn_stream_k_fixup_uniformILi256ELi4ELi4EEvPfPK15HIP_vector_typeIfLj2EEiiiiiiS1_IjLj3EES5_S5_.has_dyn_sized_stack, 0
	.set _ZL33flash_attn_stream_k_fixup_uniformILi256ELi4ELi4EEvPfPK15HIP_vector_typeIfLj2EEiiiiiiS1_IjLj3EES5_S5_.has_recursion, 0
	.set _ZL33flash_attn_stream_k_fixup_uniformILi256ELi4ELi4EEvPfPK15HIP_vector_typeIfLj2EEiiiiiiS1_IjLj3EES5_S5_.has_indirect_call, 0
	.section	.AMDGPU.csdata,"",@progbits
; Kernel info:
; codeLenInByte = 1092
; TotalNumSgprs: 23
; NumVgprs: 12
; ScratchSize: 0
; MemoryBound: 0
; FloatMode: 240
; IeeeMode: 1
; LDSByteSize: 0 bytes/workgroup (compile time only)
; SGPRBlocks: 0
; VGPRBlocks: 0
; NumSGPRsForWavesPerEU: 23
; NumVGPRsForWavesPerEU: 12
; NamedBarCnt: 0
; Occupancy: 16
; WaveLimiterHint : 0
; COMPUTE_PGM_RSRC2:SCRATCH_EN: 0
; COMPUTE_PGM_RSRC2:USER_SGPR: 2
; COMPUTE_PGM_RSRC2:TRAP_HANDLER: 0
; COMPUTE_PGM_RSRC2:TGID_X_EN: 1
; COMPUTE_PGM_RSRC2:TGID_Y_EN: 1
; COMPUTE_PGM_RSRC2:TGID_Z_EN: 1
; COMPUTE_PGM_RSRC2:TIDIG_COMP_CNT: 0
	.section	.text._ZL33flash_attn_stream_k_fixup_generalILi256ELi4ELi4EEvPfPK15HIP_vector_typeIfLj2EEiiiiS1_IjLj3EES5_S5_S5_,"axG",@progbits,_ZL33flash_attn_stream_k_fixup_generalILi256ELi4ELi4EEvPfPK15HIP_vector_typeIfLj2EEiiiiS1_IjLj3EES5_S5_S5_,comdat
	.globl	_ZL33flash_attn_stream_k_fixup_generalILi256ELi4ELi4EEvPfPK15HIP_vector_typeIfLj2EEiiiiS1_IjLj3EES5_S5_S5_ ; -- Begin function _ZL33flash_attn_stream_k_fixup_generalILi256ELi4ELi4EEvPfPK15HIP_vector_typeIfLj2EEiiiiS1_IjLj3EES5_S5_S5_
	.p2align	8
	.type	_ZL33flash_attn_stream_k_fixup_generalILi256ELi4ELi4EEvPfPK15HIP_vector_typeIfLj2EEiiiiS1_IjLj3EES5_S5_S5_,@function
_ZL33flash_attn_stream_k_fixup_generalILi256ELi4ELi4EEvPfPK15HIP_vector_typeIfLj2EEiiiiS1_IjLj3EES5_S5_S5_: ; @_ZL33flash_attn_stream_k_fixup_generalILi256ELi4ELi4EEvPfPK15HIP_vector_typeIfLj2EEiiiiS1_IjLj3EES5_S5_S5_
; %bb.0:
	s_clause 0x1
	s_load_b128 s[4:7], s[0:1], 0x10
	s_load_b32 s16, s[0:1], 0x50
	s_bfe_u32 s2, ttmp6, 0x4000c
	s_and_b32 s3, ttmp6, 15
	s_add_co_i32 s2, s2, 1
	s_getreg_b32 s15, hwreg(HW_REG_IB_STS2, 6, 4)
	s_mul_i32 s2, ttmp9, s2
	s_mov_b32 s17, 0
	s_add_co_i32 s3, s3, s2
	s_cmp_eq_u32 s15, 0
	s_cselect_b32 s2, ttmp9, s3
	s_delay_alu instid0(SALU_CYCLE_1) | instskip(SKIP_3) | instid1(SALU_CYCLE_1)
	s_ashr_i32 s3, s2, 31
	s_wait_kmcnt 0x0
	s_ashr_i32 s19, s7, 31
	s_mov_b32 s18, s7
	s_mul_u64 s[8:9], s[18:19], s[2:3]
	s_delay_alu instid0(SALU_CYCLE_1) | instskip(NEXT) | instid1(SALU_CYCLE_1)
	s_and_b64 s[10:11], s[8:9], 0xffffffff00000000
	s_cmp_lg_u64 s[10:11], 0
	s_cbranch_scc0 .LBB19_21
; %bb.1:
	s_add_nc_u64 s[10:11], s[16:17], 0
	s_mov_b32 s23, s17
	s_xor_b64 s[10:11], s[10:11], 0
	s_mov_b32 s27, s17
	s_cvt_f32_u32 s3, s10
	s_cvt_f32_u32 s7, s11
	s_sub_nc_u64 s[20:21], 0, s[10:11]
	s_delay_alu instid0(SALU_CYCLE_2) | instskip(NEXT) | instid1(SALU_CYCLE_3)
	s_fmamk_f32 s3, s7, 0x4f800000, s3
	v_s_rcp_f32 s3, s3
	s_delay_alu instid0(TRANS32_DEP_1) | instskip(NEXT) | instid1(SALU_CYCLE_3)
	s_mul_f32 s3, s3, 0x5f7ffffc
	s_mul_f32 s7, s3, 0x2f800000
	s_delay_alu instid0(SALU_CYCLE_3) | instskip(NEXT) | instid1(SALU_CYCLE_3)
	s_trunc_f32 s7, s7
	s_fmamk_f32 s3, s7, 0xcf800000, s3
	s_cvt_u32_f32 s13, s7
	s_delay_alu instid0(SALU_CYCLE_2) | instskip(NEXT) | instid1(SALU_CYCLE_3)
	s_cvt_u32_f32 s12, s3
	s_mul_u64 s[24:25], s[20:21], s[12:13]
	s_delay_alu instid0(SALU_CYCLE_1)
	s_mul_hi_u32 s29, s12, s25
	s_mul_i32 s28, s12, s25
	s_mul_hi_u32 s22, s12, s24
	s_mul_i32 s7, s13, s24
	s_add_nc_u64 s[22:23], s[22:23], s[28:29]
	s_mul_hi_u32 s3, s13, s24
	s_mul_hi_u32 s14, s13, s25
	s_add_co_u32 s7, s22, s7
	s_add_co_ci_u32 s26, s23, s3
	s_mul_i32 s24, s13, s25
	s_add_co_ci_u32 s25, s14, 0
	s_delay_alu instid0(SALU_CYCLE_1) | instskip(SKIP_3) | instid1(SALU_CYCLE_1)
	s_add_nc_u64 s[22:23], s[26:27], s[24:25]
	s_mov_b32 s25, s17
	s_add_co_u32 s12, s12, s22
	s_cselect_b32 s3, -1, 0
	s_cmp_lg_u32 s3, 0
	s_add_co_ci_u32 s13, s13, s23
	s_mov_b32 s23, s17
	s_mul_u64 s[20:21], s[20:21], s[12:13]
	s_delay_alu instid0(SALU_CYCLE_1)
	s_mul_hi_u32 s27, s12, s21
	s_mul_i32 s26, s12, s21
	s_mul_hi_u32 s22, s12, s20
	s_mul_i32 s7, s13, s20
	s_add_nc_u64 s[22:23], s[22:23], s[26:27]
	s_mul_hi_u32 s3, s13, s20
	s_mul_hi_u32 s14, s13, s21
	s_add_co_u32 s7, s22, s7
	s_add_co_ci_u32 s24, s23, s3
	s_mul_i32 s20, s13, s21
	s_add_co_ci_u32 s21, s14, 0
	s_mov_b32 s23, s17
	s_add_nc_u64 s[20:21], s[24:25], s[20:21]
	s_delay_alu instid0(SALU_CYCLE_1) | instskip(SKIP_1) | instid1(SALU_CYCLE_1)
	s_add_co_u32 s3, s12, s20
	s_cselect_b32 s7, -1, 0
	s_cmp_lg_u32 s7, 0
	s_add_co_ci_u32 s7, s13, s21
	s_ashr_i32 s12, s9, 31
	s_delay_alu instid0(SALU_CYCLE_1) | instskip(NEXT) | instid1(SALU_CYCLE_1)
	s_mov_b32 s13, s12
	s_add_nc_u64 s[20:21], s[8:9], s[12:13]
	s_delay_alu instid0(SALU_CYCLE_1) | instskip(NEXT) | instid1(SALU_CYCLE_1)
	s_xor_b64 s[20:21], s[20:21], s[12:13]
	s_mul_hi_u32 s27, s20, s7
	s_mul_i32 s26, s20, s7
	s_mul_hi_u32 s22, s20, s3
	s_mul_hi_u32 s14, s21, s3
	s_mul_i32 s3, s21, s3
	s_add_nc_u64 s[22:23], s[22:23], s[26:27]
	s_mul_hi_u32 s9, s21, s7
	s_add_co_u32 s3, s22, s3
	s_add_co_ci_u32 s24, s23, s14
	s_mul_i32 s26, s21, s7
	s_add_co_ci_u32 s27, s9, 0
	s_delay_alu instid0(SALU_CYCLE_1) | instskip(NEXT) | instid1(SALU_CYCLE_1)
	s_add_nc_u64 s[22:23], s[24:25], s[26:27]
	s_and_b64 s[24:25], s[22:23], 0xffffffff00000000
	s_delay_alu instid0(SALU_CYCLE_1) | instskip(NEXT) | instid1(SALU_CYCLE_1)
	s_or_b32 s24, s24, s22
	s_mul_u64 s[22:23], s[10:11], s[24:25]
	s_add_nc_u64 s[26:27], s[24:25], 1
	s_sub_co_u32 s3, s20, s22
	s_cselect_b32 s7, -1, 0
	s_sub_co_i32 s9, s21, s23
	s_cmp_lg_u32 s7, 0
	s_add_nc_u64 s[28:29], s[24:25], 2
	s_sub_co_ci_u32 s9, s9, s11
	s_sub_co_u32 s14, s3, s10
	s_cselect_b32 s20, -1, 0
	s_delay_alu instid0(SALU_CYCLE_1) | instskip(SKIP_1) | instid1(SALU_CYCLE_1)
	s_cmp_lg_u32 s20, 0
	s_sub_co_ci_u32 s9, s9, 0
	s_cmp_ge_u32 s9, s11
	s_cselect_b32 s20, -1, 0
	s_cmp_ge_u32 s14, s10
	s_cselect_b32 s14, -1, 0
	s_cmp_eq_u32 s9, s11
	s_cselect_b32 s9, s14, s20
	s_delay_alu instid0(SALU_CYCLE_1) | instskip(SKIP_4) | instid1(SALU_CYCLE_1)
	s_cmp_lg_u32 s9, 0
	s_cselect_b32 s9, s28, s26
	s_cselect_b32 s14, s29, s27
	s_cmp_lg_u32 s7, 0
	s_sub_co_ci_u32 s7, s21, s23
	s_cmp_ge_u32 s7, s11
	s_cselect_b32 s20, -1, 0
	s_cmp_ge_u32 s3, s10
	s_cselect_b32 s3, -1, 0
	s_cmp_eq_u32 s7, s11
	s_cselect_b32 s3, s3, s20
	s_delay_alu instid0(SALU_CYCLE_1) | instskip(SKIP_4) | instid1(SALU_CYCLE_1)
	s_cmp_lg_u32 s3, 0
	s_mov_b32 s3, s17
	s_cselect_b32 s11, s14, s25
	s_cselect_b32 s10, s9, s24
	s_xor_b64 s[12:13], s[12:13], 0
	s_xor_b64 s[10:11], s[10:11], s[12:13]
	s_delay_alu instid0(SALU_CYCLE_1)
	s_sub_nc_u64 s[20:21], s[10:11], s[12:13]
	s_and_not1_b32 vcc_lo, exec_lo, s3
	s_cbranch_vccnz .LBB19_3
.LBB19_2:
	v_cvt_f32_u32_e32 v1, s16
	s_sub_co_i32 s7, 0, s16
	s_mov_b32 s21, 0
	s_delay_alu instid0(VALU_DEP_1) | instskip(SKIP_1) | instid1(TRANS32_DEP_1)
	v_rcp_iflag_f32_e32 v1, v1
	v_nop
	v_mul_f32_e32 v1, 0x4f7ffffe, v1
	s_delay_alu instid0(VALU_DEP_1) | instskip(NEXT) | instid1(VALU_DEP_1)
	v_cvt_u32_f32_e32 v1, v1
	v_readfirstlane_b32 s3, v1
	s_mul_i32 s7, s7, s3
	s_delay_alu instid0(SALU_CYCLE_1) | instskip(NEXT) | instid1(SALU_CYCLE_1)
	s_mul_hi_u32 s7, s3, s7
	s_add_co_i32 s3, s3, s7
	s_delay_alu instid0(SALU_CYCLE_1) | instskip(NEXT) | instid1(SALU_CYCLE_1)
	s_mul_hi_u32 s3, s8, s3
	s_mul_i32 s7, s3, s16
	s_delay_alu instid0(SALU_CYCLE_1)
	s_sub_co_i32 s7, s8, s7
	s_add_co_i32 s8, s3, 1
	s_sub_co_i32 s9, s7, s16
	s_cmp_ge_u32 s7, s16
	s_cselect_b32 s3, s8, s3
	s_cselect_b32 s7, s9, s7
	s_add_co_i32 s8, s3, 1
	s_cmp_ge_u32 s7, s16
	s_cselect_b32 s20, s8, s3
.LBB19_3:
	s_add_co_i32 s8, s2, 1
	s_delay_alu instid0(SALU_CYCLE_1) | instskip(NEXT) | instid1(SALU_CYCLE_1)
	s_ashr_i32 s9, s8, 31
	s_mul_u64 s[8:9], s[18:19], s[8:9]
	s_delay_alu instid0(SALU_CYCLE_1) | instskip(NEXT) | instid1(SALU_CYCLE_1)
	s_and_b64 s[10:11], s[8:9], 0xffffffff00000000
	s_cmp_lg_u64 s[10:11], 0
	s_cbranch_scc0 .LBB19_22
; %bb.4:
	s_add_nc_u64 s[10:11], s[16:17], 0
	s_delay_alu instid0(SALU_CYCLE_1) | instskip(SKIP_4) | instid1(SALU_CYCLE_2)
	s_xor_b64 s[12:13], s[10:11], 0
	s_mov_b32 s11, 0
	s_cvt_f32_u32 s3, s12
	s_cvt_f32_u32 s7, s13
	s_sub_nc_u64 s[24:25], 0, s[12:13]
	s_fmamk_f32 s3, s7, 0x4f800000, s3
	s_delay_alu instid0(SALU_CYCLE_3) | instskip(NEXT) | instid1(TRANS32_DEP_1)
	v_s_rcp_f32 s3, s3
	s_mul_f32 s3, s3, 0x5f7ffffc
	s_delay_alu instid0(SALU_CYCLE_3) | instskip(NEXT) | instid1(SALU_CYCLE_3)
	s_mul_f32 s7, s3, 0x2f800000
	s_trunc_f32 s7, s7
	s_delay_alu instid0(SALU_CYCLE_3) | instskip(SKIP_1) | instid1(SALU_CYCLE_2)
	s_fmamk_f32 s3, s7, 0xcf800000, s3
	s_cvt_u32_f32 s23, s7
	s_cvt_u32_f32 s22, s3
	s_delay_alu instid0(SALU_CYCLE_3) | instskip(NEXT) | instid1(SALU_CYCLE_1)
	s_mul_u64 s[26:27], s[24:25], s[22:23]
	s_mul_hi_u32 s29, s22, s27
	s_mul_i32 s28, s22, s27
	s_mul_hi_u32 s10, s22, s26
	s_mul_i32 s7, s23, s26
	s_add_nc_u64 s[28:29], s[10:11], s[28:29]
	s_mul_hi_u32 s3, s23, s26
	s_mul_hi_u32 s14, s23, s27
	s_add_co_u32 s7, s28, s7
	s_add_co_ci_u32 s10, s29, s3
	s_mul_i32 s26, s23, s27
	s_add_co_ci_u32 s27, s14, 0
	s_delay_alu instid0(SALU_CYCLE_1) | instskip(NEXT) | instid1(SALU_CYCLE_1)
	s_add_nc_u64 s[26:27], s[10:11], s[26:27]
	s_add_co_u32 s22, s22, s26
	s_cselect_b32 s3, -1, 0
	s_delay_alu instid0(SALU_CYCLE_1) | instskip(SKIP_1) | instid1(SALU_CYCLE_1)
	s_cmp_lg_u32 s3, 0
	s_add_co_ci_u32 s23, s23, s27
	s_mul_u64 s[24:25], s[24:25], s[22:23]
	s_delay_alu instid0(SALU_CYCLE_1)
	s_mul_hi_u32 s27, s22, s25
	s_mul_i32 s26, s22, s25
	s_mul_hi_u32 s10, s22, s24
	s_mul_i32 s7, s23, s24
	s_add_nc_u64 s[26:27], s[10:11], s[26:27]
	s_mul_hi_u32 s3, s23, s24
	s_mul_hi_u32 s14, s23, s25
	s_add_co_u32 s7, s26, s7
	s_add_co_ci_u32 s10, s27, s3
	s_mul_i32 s24, s23, s25
	s_add_co_ci_u32 s25, s14, 0
	s_delay_alu instid0(SALU_CYCLE_1) | instskip(NEXT) | instid1(SALU_CYCLE_1)
	s_add_nc_u64 s[24:25], s[10:11], s[24:25]
	s_add_co_u32 s3, s22, s24
	s_cselect_b32 s7, -1, 0
	s_delay_alu instid0(SALU_CYCLE_1) | instskip(SKIP_2) | instid1(SALU_CYCLE_1)
	s_cmp_lg_u32 s7, 0
	s_add_co_ci_u32 s7, s23, s25
	s_ashr_i32 s22, s9, 31
	s_mov_b32 s23, s22
	s_delay_alu instid0(SALU_CYCLE_1) | instskip(NEXT) | instid1(SALU_CYCLE_1)
	s_add_nc_u64 s[24:25], s[8:9], s[22:23]
	s_xor_b64 s[24:25], s[24:25], s[22:23]
	s_delay_alu instid0(SALU_CYCLE_1)
	s_mul_hi_u32 s27, s24, s7
	s_mul_i32 s26, s24, s7
	s_mul_hi_u32 s10, s24, s3
	s_mul_hi_u32 s14, s25, s3
	s_mul_i32 s3, s25, s3
	s_add_nc_u64 s[26:27], s[10:11], s[26:27]
	s_mul_hi_u32 s9, s25, s7
	s_add_co_u32 s3, s26, s3
	s_add_co_ci_u32 s10, s27, s14
	s_mul_i32 s28, s25, s7
	s_add_co_ci_u32 s29, s9, 0
	s_delay_alu instid0(SALU_CYCLE_1) | instskip(NEXT) | instid1(SALU_CYCLE_1)
	s_add_nc_u64 s[26:27], s[10:11], s[28:29]
	s_and_b64 s[28:29], s[26:27], 0xffffffff00000000
	s_delay_alu instid0(SALU_CYCLE_1) | instskip(NEXT) | instid1(SALU_CYCLE_1)
	s_or_b32 s28, s28, s26
	s_mul_u64 s[26:27], s[12:13], s[28:29]
	s_add_nc_u64 s[30:31], s[28:29], 1
	s_sub_co_u32 s3, s24, s26
	s_cselect_b32 s7, -1, 0
	s_sub_co_i32 s9, s25, s27
	s_cmp_lg_u32 s7, 0
	s_add_nc_u64 s[34:35], s[28:29], 2
	s_sub_co_ci_u32 s9, s9, s13
	s_sub_co_u32 s10, s3, s12
	s_cselect_b32 s14, -1, 0
	s_delay_alu instid0(SALU_CYCLE_1) | instskip(SKIP_1) | instid1(SALU_CYCLE_1)
	s_cmp_lg_u32 s14, 0
	s_sub_co_ci_u32 s9, s9, 0
	s_cmp_ge_u32 s9, s13
	s_cselect_b32 s14, -1, 0
	s_cmp_ge_u32 s10, s12
	s_cselect_b32 s10, -1, 0
	s_cmp_eq_u32 s9, s13
	s_cselect_b32 s9, s10, s14
	s_delay_alu instid0(SALU_CYCLE_1) | instskip(SKIP_4) | instid1(SALU_CYCLE_1)
	s_cmp_lg_u32 s9, 0
	s_cselect_b32 s9, s34, s30
	s_cselect_b32 s10, s35, s31
	s_cmp_lg_u32 s7, 0
	s_sub_co_ci_u32 s7, s25, s27
	s_cmp_ge_u32 s7, s13
	s_cselect_b32 s14, -1, 0
	s_cmp_ge_u32 s3, s12
	s_cselect_b32 s3, -1, 0
	s_cmp_eq_u32 s7, s13
	s_cselect_b32 s3, s3, s14
	s_delay_alu instid0(SALU_CYCLE_1) | instskip(SKIP_3) | instid1(SALU_CYCLE_1)
	s_cmp_lg_u32 s3, 0
	s_cselect_b32 s13, s10, s29
	s_cselect_b32 s12, s9, s28
	s_xor_b64 s[22:23], s[22:23], 0
	s_xor_b64 s[12:13], s[12:13], s[22:23]
	s_delay_alu instid0(SALU_CYCLE_1)
	s_sub_nc_u64 s[24:25], s[12:13], s[22:23]
	s_load_b96 s[12:14], s[0:1], 0x44
	s_cbranch_execnz .LBB19_6
.LBB19_5:
	v_cvt_f32_u32_e32 v1, s16
	s_sub_co_i32 s7, 0, s16
	s_delay_alu instid0(VALU_DEP_1) | instskip(SKIP_1) | instid1(TRANS32_DEP_1)
	v_rcp_iflag_f32_e32 v1, v1
	v_nop
	v_mul_f32_e32 v1, 0x4f7ffffe, v1
	s_delay_alu instid0(VALU_DEP_1) | instskip(NEXT) | instid1(VALU_DEP_1)
	v_cvt_u32_f32_e32 v1, v1
	v_readfirstlane_b32 s3, v1
	s_mul_i32 s7, s7, s3
	s_delay_alu instid0(SALU_CYCLE_1) | instskip(NEXT) | instid1(SALU_CYCLE_1)
	s_mul_hi_u32 s7, s3, s7
	s_add_co_i32 s3, s3, s7
	s_delay_alu instid0(SALU_CYCLE_1) | instskip(NEXT) | instid1(SALU_CYCLE_1)
	s_mul_hi_u32 s3, s8, s3
	s_mul_i32 s7, s3, s16
	s_delay_alu instid0(SALU_CYCLE_1)
	s_sub_co_i32 s7, s8, s7
	s_add_co_i32 s8, s3, 1
	s_sub_co_i32 s9, s7, s16
	s_cmp_ge_u32 s7, s16
	s_cselect_b32 s3, s8, s3
	s_cselect_b32 s7, s9, s7
	s_add_co_i32 s8, s3, 1
	s_cmp_ge_u32 s7, s16
	s_cselect_b32 s24, s8, s3
.LBB19_6:
	s_delay_alu instid0(SALU_CYCLE_1)
	s_cmp_eq_u32 s20, s24
	s_mov_b64 s[8:9], 0xffffffff
	s_cselect_b32 s3, -1, 0
	s_and_b64 s[8:9], s[20:21], s[8:9]
	s_mov_b32 s23, 0
	s_wait_kmcnt 0x0
	s_mov_b32 s22, s12
	s_mov_b32 s25, s23
	s_mul_u64 s[10:11], s[8:9], s[22:23]
	s_delay_alu instid0(SALU_CYCLE_1) | instskip(SKIP_2) | instid1(SALU_CYCLE_1)
	s_add_co_i32 s7, s11, s20
	s_mul_u64 s[10:11], s[24:25], s[22:23]
	s_lshr_b32 s12, s7, s13
	s_mul_i32 s7, s12, s14
	s_delay_alu instid0(SALU_CYCLE_1) | instskip(SKIP_2) | instid1(SALU_CYCLE_1)
	s_cmp_eq_u32 s7, s20
	s_cselect_b32 s7, -1, 0
	s_add_co_i32 s10, s11, s24
	s_lshr_b32 s10, s10, s13
	s_delay_alu instid0(SALU_CYCLE_1)
	s_cmp_eq_u32 s12, s10
	s_mul_i32 s10, s10, s14
	s_cselect_b32 s11, -1, 0
	s_cmp_lg_u32 s10, s24
	s_cselect_b32 s10, -1, 0
	s_or_b32 s3, s3, s7
	s_and_b32 s10, s11, s10
	s_delay_alu instid0(SALU_CYCLE_1) | instskip(NEXT) | instid1(SALU_CYCLE_1)
	s_or_b32 s3, s3, s10
	s_and_b32 vcc_lo, exec_lo, s3
	s_cbranch_vccnz .LBB19_24
; %bb.7:
	s_load_b256 s[24:31], s[0:1], 0x20
	s_bfe_u32 s7, ttmp6, 0x40014
	s_bfe_u32 s33, ttmp6, 0x40010
	s_lshr_b32 s3, ttmp7, 16
	s_add_co_i32 s7, s7, 1
	s_and_b32 s21, ttmp7, 0xffff
	s_add_co_i32 s33, s33, 1
	s_bfe_u32 s10, ttmp6, 0x40008
	s_mul_i32 s7, s3, s7
	s_bfe_u32 s34, ttmp6, 0x40004
	s_mul_i32 s33, s21, s33
	s_mov_b32 s11, s23
	s_add_co_i32 s35, s10, s7
	s_add_co_i32 s34, s34, s33
	s_cmp_eq_u32 s15, 0
	s_cselect_b32 s7, s21, s34
	s_cselect_b32 s3, s3, s35
	s_wait_kmcnt 0x0
	s_mov_b32 s10, s24
	s_delay_alu instid0(SALU_CYCLE_1) | instskip(NEXT) | instid1(SALU_CYCLE_1)
	s_mul_u64 s[8:9], s[8:9], s[10:11]
	s_add_co_i32 s8, s9, s20
	s_load_b32 s9, s[0:1], 0x40
	s_lshr_b32 s8, s8, s25
	s_delay_alu instid0(SALU_CYCLE_1) | instskip(NEXT) | instid1(SALU_CYCLE_1)
	s_mul_i32 s10, s8, s26
	s_sub_co_i32 s10, s20, s10
	s_delay_alu instid0(SALU_CYCLE_1) | instskip(NEXT) | instid1(SALU_CYCLE_1)
	s_mul_hi_u32 s11, s10, s27
	s_add_co_i32 s11, s10, s11
	s_delay_alu instid0(SALU_CYCLE_1) | instskip(NEXT) | instid1(SALU_CYCLE_1)
	s_lshr_b32 s15, s11, s28
	s_mul_i32 s11, s15, s29
	s_delay_alu instid0(SALU_CYCLE_1) | instskip(NEXT) | instid1(SALU_CYCLE_1)
	s_sub_co_i32 s10, s10, s11
	s_mul_hi_u32 s11, s10, s30
	s_delay_alu instid0(SALU_CYCLE_1) | instskip(NEXT) | instid1(SALU_CYCLE_1)
	s_add_co_i32 s11, s10, s11
	s_lshr_b32 s26, s11, s31
	s_mov_b32 s11, s23
	s_wait_kmcnt 0x0
	s_mul_i32 s9, s26, s9
	s_delay_alu instid0(SALU_CYCLE_1) | instskip(NEXT) | instid1(SALU_CYCLE_1)
	s_sub_co_i32 s10, s10, s9
	s_mul_u64 s[24:25], s[10:11], s[22:23]
	s_lshl_b32 s24, s26, 2
	s_add_co_i32 s9, s10, s25
	s_delay_alu instid0(SALU_CYCLE_1) | instskip(NEXT) | instid1(SALU_CYCLE_1)
	s_lshr_b32 s21, s9, s13
	s_lshl_b32 s9, s21, 2
	s_delay_alu instid0(SALU_CYCLE_1) | instskip(NEXT) | instid1(SALU_CYCLE_1)
	s_add_co_i32 s9, s9, s7
	s_cmp_lt_i32 s9, s4
	s_cselect_b32 s9, -1, 0
	s_add_co_i32 s10, s24, s3
	s_delay_alu instid0(SALU_CYCLE_1) | instskip(SKIP_1) | instid1(SALU_CYCLE_1)
	s_cmp_lt_i32 s10, s6
	s_cselect_b32 s10, -1, 0
	s_and_b32 s9, s9, s10
	s_delay_alu instid0(SALU_CYCLE_1)
	s_and_not1_b32 vcc_lo, exec_lo, s9
	s_cbranch_vccnz .LBB19_24
; %bb.8:
	s_mul_i32 s4, s8, s4
	s_load_b128 s[8:11], s[0:1], 0x0
	s_wait_xcnt 0x0
	s_add_co_i32 s0, s4, s7
	s_mul_i32 s15, s15, s6
	s_mul_i32 s0, s0, s5
	s_mul_i32 s1, s5, s21
	s_add_co_i32 s0, s0, s3
	s_lshl_b32 s1, s1, 10
	s_add_co_i32 s0, s0, s15
	s_lshl_b32 s15, s7, 2
	s_add_co_i32 s0, s0, s24
	s_add_co_i32 s15, s15, s3
	s_lshl_b32 s0, s0, 8
	v_lshl_or_b32 v6, s15, 8, v0
	s_add_co_i32 s1, s1, s0
	v_cvt_f32_u32_e32 v4, s16
	v_or_b32_e32 v2, s1, v0
	s_add_nc_u64 s[0:1], s[16:17], 0
	s_lshl_b32 s24, s16, 6
	s_xor_b64 s[6:7], s[0:1], 0
	s_lshl_b32 s0, s2, 4
	s_cvt_f32_u32 s3, s6
	s_add_co_i32 s0, s15, s0
	s_cvt_f32_u32 s4, s7
	s_ashr_i32 s1, s0, 31
	v_rcp_iflag_f32_e32 v4, v4
	s_lshl_b64 s[0:1], s[0:1], 3
	s_fmamk_f32 s3, s4, 0x4f800000, s3
	s_wait_kmcnt 0x0
	s_add_nc_u64 s[0:1], s[10:11], s[0:1]
	s_mov_b32 s25, 0
	s_load_b64 s[28:29], s[0:1], 0x0
	v_s_rcp_f32 s3, s3
	s_wait_xcnt 0x0
	s_lshl_b64 s[0:1], s[24:25], 2
	s_add_co_i32 s36, s2, -1
	s_add_nc_u64 s[26:27], s[10:11], s[0:1]
	s_sub_nc_u64 s[34:35], 0, s[6:7]
	v_mul_f32_e32 v4, 0x4f7ffffe, v4
	s_delay_alu instid0(TRANS32_DEP_1) | instskip(NEXT) | instid1(VALU_DEP_1)
	s_mul_f32 s3, s3, 0x5f7ffffc
	v_cvt_u32_f32_e32 v7, v4
	s_delay_alu instid0(SALU_CYCLE_2) | instskip(NEXT) | instid1(SALU_CYCLE_3)
	s_mul_f32 s4, s3, 0x2f800000
	s_trunc_f32 s4, s4
	s_wait_kmcnt 0x0
	v_mov_b32_e32 v0, s29
	global_load_b32 v1, v2, s[8:9] scale_offset
	v_ashrrev_i32_e32 v3, 31, v2
	s_fmamk_f32 s0, s4, 0xcf800000, s3
	s_cvt_u32_f32 s31, s4
	s_wait_xcnt 0x0
	s_delay_alu instid0(VALU_DEP_1)
	v_lshl_add_u64 v[2:3], v[2:3], 2, s[8:9]
	s_cvt_u32_f32 s30, s0
	s_mov_b64 s[8:9], 0xffffffff
.LBB19_9:                               ; =>This Inner Loop Header: Depth=1
	s_ashr_i32 s37, s36, 31
                                        ; implicit-def: $sgpr40_sgpr41
	s_delay_alu instid0(SALU_CYCLE_1) | instskip(NEXT) | instid1(SALU_CYCLE_1)
	s_mul_u64 s[0:1], s[36:37], s[18:19]
	s_and_b64 s[2:3], s[0:1], 0xffffffff00000000
	s_delay_alu instid0(SALU_CYCLE_1)
	s_cmp_lg_u64 s[2:3], 0
	s_mov_b32 s2, -1
	s_cbranch_scc0 .LBB19_11
; %bb.10:                               ;   in Loop: Header=BB19_9 Depth=1
	s_mul_u64 s[2:3], s[34:35], s[30:31]
	s_delay_alu instid0(SALU_CYCLE_1)
	s_mul_hi_u32 s5, s30, s3
	s_mul_i32 s4, s30, s3
	s_mul_hi_u32 s24, s30, s2
	s_mul_hi_u32 s17, s31, s2
	s_add_nc_u64 s[4:5], s[24:25], s[4:5]
	s_mul_i32 s2, s31, s2
	s_mul_hi_u32 s21, s31, s3
	s_add_co_u32 s2, s4, s2
	s_add_co_ci_u32 s24, s5, s17
	s_add_co_ci_u32 s5, s21, 0
	s_mul_i32 s4, s31, s3
	s_delay_alu instid0(SALU_CYCLE_1) | instskip(NEXT) | instid1(SALU_CYCLE_1)
	s_add_nc_u64 s[2:3], s[24:25], s[4:5]
	s_add_co_u32 s2, s30, s2
	s_cselect_b32 s4, -1, 0
	s_delay_alu instid0(SALU_CYCLE_1) | instskip(SKIP_1) | instid1(SALU_CYCLE_1)
	s_cmp_lg_u32 s4, 0
	s_add_co_ci_u32 s3, s31, s3
	s_mul_u64 s[4:5], s[34:35], s[2:3]
	s_delay_alu instid0(SALU_CYCLE_1)
	s_mul_hi_u32 s39, s2, s5
	s_mul_i32 s38, s2, s5
	s_mul_hi_u32 s24, s2, s4
	s_mul_hi_u32 s17, s3, s4
	s_mul_i32 s4, s3, s4
	s_add_nc_u64 s[38:39], s[24:25], s[38:39]
	s_mul_hi_u32 s21, s3, s5
	s_add_co_u32 s4, s38, s4
	s_add_co_ci_u32 s24, s39, s17
	s_mul_i32 s4, s3, s5
	s_add_co_ci_u32 s5, s21, 0
	s_delay_alu instid0(SALU_CYCLE_1) | instskip(NEXT) | instid1(SALU_CYCLE_1)
	s_add_nc_u64 s[4:5], s[24:25], s[4:5]
	s_add_co_u32 s17, s2, s4
	s_cselect_b32 s2, -1, 0
	s_delay_alu instid0(SALU_CYCLE_1) | instskip(SKIP_2) | instid1(SALU_CYCLE_1)
	s_cmp_lg_u32 s2, 0
	s_add_co_ci_u32 s21, s3, s5
	s_ashr_i32 s2, s1, 31
	s_mov_b32 s3, s2
	s_delay_alu instid0(SALU_CYCLE_1) | instskip(NEXT) | instid1(SALU_CYCLE_1)
	s_add_nc_u64 s[4:5], s[0:1], s[2:3]
	s_xor_b64 s[4:5], s[4:5], s[2:3]
	s_delay_alu instid0(SALU_CYCLE_1)
	s_mul_hi_u32 s39, s4, s21
	s_mul_i32 s38, s4, s21
	s_mul_hi_u32 s24, s4, s17
	s_mul_hi_u32 s29, s5, s17
	s_mul_i32 s17, s5, s17
	s_add_nc_u64 s[38:39], s[24:25], s[38:39]
	s_mul_hi_u32 s1, s5, s21
	s_add_co_u32 s17, s38, s17
	s_add_co_ci_u32 s24, s39, s29
	s_mul_i32 s40, s5, s21
	s_add_co_ci_u32 s41, s1, 0
	s_delay_alu instid0(SALU_CYCLE_1) | instskip(NEXT) | instid1(SALU_CYCLE_1)
	s_add_nc_u64 s[38:39], s[24:25], s[40:41]
	s_and_b64 s[40:41], s[38:39], 0xffffffff00000000
	s_delay_alu instid0(SALU_CYCLE_1) | instskip(NEXT) | instid1(SALU_CYCLE_1)
	s_or_b32 s40, s40, s38
	s_mul_u64 s[38:39], s[6:7], s[40:41]
	s_add_nc_u64 s[42:43], s[40:41], 1
	s_sub_co_u32 s1, s4, s38
	s_cselect_b32 s4, -1, 0
	s_sub_co_i32 s17, s5, s39
	s_cmp_lg_u32 s4, 0
	s_add_nc_u64 s[44:45], s[40:41], 2
	s_sub_co_ci_u32 s17, s17, s7
	s_sub_co_u32 s21, s1, s6
	s_cselect_b32 s24, -1, 0
	s_delay_alu instid0(SALU_CYCLE_1) | instskip(SKIP_1) | instid1(SALU_CYCLE_1)
	s_cmp_lg_u32 s24, 0
	s_sub_co_ci_u32 s17, s17, 0
	s_cmp_ge_u32 s17, s7
	s_cselect_b32 s24, -1, 0
	s_cmp_ge_u32 s21, s6
	s_cselect_b32 s21, -1, 0
	s_cmp_eq_u32 s17, s7
	s_cselect_b32 s17, s21, s24
	s_delay_alu instid0(SALU_CYCLE_1) | instskip(SKIP_4) | instid1(SALU_CYCLE_1)
	s_cmp_lg_u32 s17, 0
	s_cselect_b32 s17, s44, s42
	s_cselect_b32 s21, s45, s43
	s_cmp_lg_u32 s4, 0
	s_sub_co_ci_u32 s4, s5, s39
	s_cmp_ge_u32 s4, s7
	s_cselect_b32 s5, -1, 0
	s_cmp_ge_u32 s1, s6
	s_cselect_b32 s1, -1, 0
	s_cmp_eq_u32 s4, s7
	s_cselect_b32 s1, s1, s5
	s_delay_alu instid0(SALU_CYCLE_1) | instskip(SKIP_3) | instid1(SALU_CYCLE_1)
	s_cmp_lg_u32 s1, 0
	s_cselect_b32 s5, s21, s41
	s_cselect_b32 s4, s17, s40
	s_xor_b64 s[2:3], s[2:3], 0
	s_xor_b64 s[4:5], s[4:5], s[2:3]
	s_delay_alu instid0(SALU_CYCLE_1)
	s_sub_nc_u64 s[40:41], s[4:5], s[2:3]
	s_mov_b32 s2, 0
.LBB19_11:                              ;   in Loop: Header=BB19_9 Depth=1
	s_delay_alu instid0(SALU_CYCLE_1)
	s_and_not1_b32 vcc_lo, exec_lo, s2
	s_cbranch_vccnz .LBB19_13
; %bb.12:                               ;   in Loop: Header=BB19_9 Depth=1
	v_readfirstlane_b32 s1, v7
	s_sub_co_i32 s2, 0, s16
	s_delay_alu instid0(SALU_CYCLE_1) | instskip(NEXT) | instid1(SALU_CYCLE_1)
	s_mul_i32 s2, s2, s1
	s_mul_hi_u32 s2, s1, s2
	s_delay_alu instid0(SALU_CYCLE_1) | instskip(NEXT) | instid1(SALU_CYCLE_1)
	s_add_co_i32 s1, s1, s2
	s_mul_hi_u32 s1, s0, s1
	s_delay_alu instid0(SALU_CYCLE_1) | instskip(NEXT) | instid1(SALU_CYCLE_1)
	s_mul_i32 s2, s1, s16
	s_sub_co_i32 s0, s0, s2
	s_add_co_i32 s2, s1, 1
	s_sub_co_i32 s3, s0, s16
	s_cmp_ge_u32 s0, s16
	s_cselect_b32 s1, s2, s1
	s_cselect_b32 s0, s3, s0
	s_add_co_i32 s2, s1, 1
	s_cmp_ge_u32 s0, s16
	s_cselect_b32 s24, s2, s1
	s_delay_alu instid0(SALU_CYCLE_1)
	s_mov_b64 s[40:41], s[24:25]
.LBB19_13:                              ;   in Loop: Header=BB19_9 Depth=1
	s_delay_alu instid0(SALU_CYCLE_1)
	s_cmp_lg_u32 s20, s40
	s_mov_b32 s0, -1
                                        ; implicit-def: $vgpr4_vgpr5
                                        ; implicit-def: $sgpr24
                                        ; implicit-def: $sgpr17
                                        ; implicit-def: $sgpr21
                                        ; implicit-def: $sgpr29
	s_cbranch_scc0 .LBB19_18
; %bb.14:                               ;   in Loop: Header=BB19_9 Depth=1
	s_add_co_i32 s0, s36, s16
	v_max_num_f32_e64 v4, s28, s28
	s_lshl_b32 s0, s0, 4
	s_mov_b32 s29, s20
	s_add_co_i32 s0, s0, s15
	s_load_b64 s[38:39], s[10:11], s0 offset:0x0 scale_offset
	s_wait_xcnt 0x0
	v_readfirstlane_b32 s0, v4
	s_wait_kmcnt 0x0
	v_max_num_f32_e64 v5, s38, s38
	s_delay_alu instid0(VALU_DEP_1) | instskip(SKIP_1) | instid1(SALU_CYCLE_3)
	v_readfirstlane_b32 s1, v5
	s_max_num_f32 s17, s0, s1
	s_sub_f32 s33, s28, s17
	s_sub_f32 s37, s38, s17
	s_delay_alu instid0(SALU_CYCLE_2)
	s_cmp_nlt_f32 s33, 0xc2ce8ed0
	s_cselect_b32 s1, -1, 0
	s_cmp_ngt_f32 s33, 0x42b17218
	s_cselect_b32 s2, -1, 0
	s_cmp_ge_f32 s33, 0xc1a00000
	s_cselect_b32 s0, -1, 0
	s_cmp_nlt_f32 s37, 0xc2ce8ed0
	s_cselect_b32 s3, -1, 0
	s_cmp_ngt_f32 s37, 0x42b17218
	s_cselect_b32 s4, -1, 0
	s_cmp_ge_f32 s37, 0xc1a00000
	s_cselect_b32 s5, -1, 0
	s_and_b64 s[42:43], s[40:41], s[8:9]
	s_delay_alu instid0(SALU_CYCLE_1) | instskip(NEXT) | instid1(SALU_CYCLE_1)
	s_mul_u64 s[42:43], s[42:43], s[22:23]
	s_add_co_i32 s21, s43, s40
	s_delay_alu instid0(SALU_CYCLE_1) | instskip(NEXT) | instid1(SALU_CYCLE_1)
	s_lshr_b32 s21, s21, s13
	s_mul_i32 s24, s21, s14
	s_delay_alu instid0(SALU_CYCLE_1) | instskip(SKIP_3) | instid1(SALU_CYCLE_1)
	s_cmp_eq_u32 s24, s40
	s_cselect_b32 s24, -1, 0
	s_cmp_lt_u32 s21, s12
	s_cselect_b32 s21, -1, 0
	s_or_b32 s21, s21, s24
	s_mov_b32 s24, -1
	s_and_b32 vcc_lo, exec_lo, s21
	s_mov_b32 s21, s36
	s_cbranch_vccnz .LBB19_16
; %bb.15:                               ;   in Loop: Header=BB19_9 Depth=1
	s_add_co_i32 s21, s36, -1
	s_mov_b32 s24, 0
	s_mov_b32 s29, s40
.LBB19_16:                              ;   in Loop: Header=BB19_9 Depth=1
	v_lshl_add_u32 v4, s36, 12, v6
	s_mul_f32 s40, s33, 0x3fb8aa3b
	s_mul_f32 s38, s37, 0x3fb8aa3b
	s_delay_alu instid0(SALU_CYCLE_2)
	s_xor_b32 s42, s40, 0x80000000
	global_load_b32 v5, v4, s[26:27] scale_offset
	s_fmamk_f32 s42, s33, 0x3fb8aa3b, s42
	s_rndne_f32 s44, s40
	s_xor_b32 s41, s38, 0x80000000
	s_rndne_f32 s43, s38
	s_fmamk_f32 s33, s33, 0x32a5705f, s42
	s_sub_f32 s40, s40, s44
	s_fmamk_f32 s41, s37, 0x3fb8aa3b, s41
	s_sub_f32 s38, s38, s43
	s_delay_alu instid0(SALU_CYCLE_1) | instskip(NEXT) | instid1(SALU_CYCLE_1)
	s_add_f32 s33, s40, s33
	s_fmamk_f32 s37, s37, 0x32a5705f, s41
	s_cvt_i32_f32 s40, s44
	s_delay_alu instid0(SALU_CYCLE_1) | instskip(NEXT) | instid1(SALU_CYCLE_1)
	v_s_exp_f32 s33, s33
	s_add_f32 s37, s38, s37
	s_cvt_i32_f32 s38, s43
	s_delay_alu instid0(SALU_CYCLE_2) | instskip(NEXT) | instid1(TRANS32_DEP_2)
	v_s_exp_f32 s37, s37
	v_ldexp_f32 v8, s33, s40
	s_wait_xcnt 0x0
	s_delay_alu instid0(TRANS32_DEP_1) | instskip(NEXT) | instid1(VALU_DEP_2)
	v_ldexp_f32 v4, s37, s38
	v_cndmask_b32_e64 v8, 0, v8, s1
	s_delay_alu instid0(VALU_DEP_1) | instskip(NEXT) | instid1(VALU_DEP_1)
	v_cndmask_b32_e64 v9, 0x7f800000, v8, s2
	v_dual_cndmask_b32 v4, 0, v4, s3 :: v_dual_cndmask_b32 v10, 0, v9, s0
	s_delay_alu instid0(VALU_DEP_1) | instskip(NEXT) | instid1(VALU_DEP_1)
	v_cndmask_b32_e64 v4, 0x7f800000, v4, s4
	v_dual_cndmask_b32 v8, 0, v4, s5 :: v_dual_mov_b32 v4, s39
	s_wait_loadcnt 0x0
	s_delay_alu instid0(VALU_DEP_1) | instskip(NEXT) | instid1(VALU_DEP_1)
	v_pk_mul_f32 v[4:5], v[4:5], v[8:9] op_sel_hi:[1,0]
	v_pk_fma_f32 v[4:5], v[0:1], v[10:11], v[4:5] op_sel_hi:[1,0,1]
	s_cbranch_execz .LBB19_19
.LBB19_17:                              ;   in Loop: Header=BB19_9 Depth=1
	s_and_not1_b32 vcc_lo, exec_lo, s24
	s_cbranch_vccnz .LBB19_20
	s_branch .LBB19_23
.LBB19_18:                              ;   in Loop: Header=BB19_9 Depth=1
	s_and_not1_b32 vcc_lo, exec_lo, s0
	s_cbranch_vccnz .LBB19_17
.LBB19_19:                              ;   in Loop: Header=BB19_9 Depth=1
	s_wait_loadcnt 0x0
	v_mov_b64_e32 v[4:5], v[0:1]
	s_add_co_i32 s21, s36, -1
	s_mov_b32 s29, s20
	s_mov_b32 s17, s28
	s_cbranch_execz .LBB19_23
.LBB19_20:                              ;   in Loop: Header=BB19_9 Depth=1
	s_wait_loadcnt 0x0
	s_delay_alu instid0(VALU_DEP_1)
	v_mov_b64_e32 v[0:1], v[4:5]
	s_mov_b32 s20, s29
	s_mov_b32 s36, s21
	;; [unrolled: 1-line block ×3, first 2 shown]
	s_branch .LBB19_9
.LBB19_21:
                                        ; implicit-def: $sgpr20_sgpr21
	s_branch .LBB19_2
.LBB19_22:
                                        ; implicit-def: $sgpr24_sgpr25
	s_load_b96 s[12:14], s[0:1], 0x44
	s_branch .LBB19_5
.LBB19_23:
	s_delay_alu instid0(VALU_DEP_1) | instskip(SKIP_1) | instid1(VALU_DEP_1)
	v_div_scale_f32 v0, null, v4, v4, v5
	s_wait_loadcnt 0x0
	v_rcp_f32_e32 v1, v0
	v_nop
	s_delay_alu instid0(TRANS32_DEP_1) | instskip(NEXT) | instid1(VALU_DEP_1)
	v_fma_f32 v6, -v0, v1, 1.0
	v_fmac_f32_e32 v1, v6, v1
	v_div_scale_f32 v6, vcc_lo, v5, v4, v5
	s_delay_alu instid0(VALU_DEP_1) | instskip(NEXT) | instid1(VALU_DEP_1)
	v_mul_f32_e32 v7, v6, v1
	v_fma_f32 v8, -v0, v7, v6
	s_delay_alu instid0(VALU_DEP_1) | instskip(NEXT) | instid1(VALU_DEP_1)
	v_fmac_f32_e32 v7, v8, v1
	v_fma_f32 v0, -v0, v7, v6
	s_delay_alu instid0(VALU_DEP_1) | instskip(NEXT) | instid1(VALU_DEP_1)
	v_div_fmas_f32 v0, v0, v1, v7
	v_div_fixup_f32 v0, v0, v4, v5
	global_store_b32 v[2:3], v0, off
.LBB19_24:
	s_endpgm
	.section	.rodata,"a",@progbits
	.p2align	6, 0x0
	.amdhsa_kernel _ZL33flash_attn_stream_k_fixup_generalILi256ELi4ELi4EEvPfPK15HIP_vector_typeIfLj2EEiiiiS1_IjLj3EES5_S5_S5_
		.amdhsa_group_segment_fixed_size 0
		.amdhsa_private_segment_fixed_size 0
		.amdhsa_kernarg_size 336
		.amdhsa_user_sgpr_count 2
		.amdhsa_user_sgpr_dispatch_ptr 0
		.amdhsa_user_sgpr_queue_ptr 0
		.amdhsa_user_sgpr_kernarg_segment_ptr 1
		.amdhsa_user_sgpr_dispatch_id 0
		.amdhsa_user_sgpr_kernarg_preload_length 0
		.amdhsa_user_sgpr_kernarg_preload_offset 0
		.amdhsa_user_sgpr_private_segment_size 0
		.amdhsa_wavefront_size32 1
		.amdhsa_uses_dynamic_stack 0
		.amdhsa_enable_private_segment 0
		.amdhsa_system_sgpr_workgroup_id_x 1
		.amdhsa_system_sgpr_workgroup_id_y 1
		.amdhsa_system_sgpr_workgroup_id_z 1
		.amdhsa_system_sgpr_workgroup_info 0
		.amdhsa_system_vgpr_workitem_id 0
		.amdhsa_next_free_vgpr 12
		.amdhsa_next_free_sgpr 46
		.amdhsa_named_barrier_count 0
		.amdhsa_reserve_vcc 1
		.amdhsa_float_round_mode_32 0
		.amdhsa_float_round_mode_16_64 0
		.amdhsa_float_denorm_mode_32 3
		.amdhsa_float_denorm_mode_16_64 3
		.amdhsa_fp16_overflow 0
		.amdhsa_memory_ordered 1
		.amdhsa_forward_progress 1
		.amdhsa_inst_pref_size 27
		.amdhsa_round_robin_scheduling 0
		.amdhsa_exception_fp_ieee_invalid_op 0
		.amdhsa_exception_fp_denorm_src 0
		.amdhsa_exception_fp_ieee_div_zero 0
		.amdhsa_exception_fp_ieee_overflow 0
		.amdhsa_exception_fp_ieee_underflow 0
		.amdhsa_exception_fp_ieee_inexact 0
		.amdhsa_exception_int_div_zero 0
	.end_amdhsa_kernel
	.section	.text._ZL33flash_attn_stream_k_fixup_generalILi256ELi4ELi4EEvPfPK15HIP_vector_typeIfLj2EEiiiiS1_IjLj3EES5_S5_S5_,"axG",@progbits,_ZL33flash_attn_stream_k_fixup_generalILi256ELi4ELi4EEvPfPK15HIP_vector_typeIfLj2EEiiiiS1_IjLj3EES5_S5_S5_,comdat
.Lfunc_end19:
	.size	_ZL33flash_attn_stream_k_fixup_generalILi256ELi4ELi4EEvPfPK15HIP_vector_typeIfLj2EEiiiiS1_IjLj3EES5_S5_S5_, .Lfunc_end19-_ZL33flash_attn_stream_k_fixup_generalILi256ELi4ELi4EEvPfPK15HIP_vector_typeIfLj2EEiiiiS1_IjLj3EES5_S5_S5_
                                        ; -- End function
	.set _ZL33flash_attn_stream_k_fixup_generalILi256ELi4ELi4EEvPfPK15HIP_vector_typeIfLj2EEiiiiS1_IjLj3EES5_S5_S5_.num_vgpr, 12
	.set _ZL33flash_attn_stream_k_fixup_generalILi256ELi4ELi4EEvPfPK15HIP_vector_typeIfLj2EEiiiiS1_IjLj3EES5_S5_S5_.num_agpr, 0
	.set _ZL33flash_attn_stream_k_fixup_generalILi256ELi4ELi4EEvPfPK15HIP_vector_typeIfLj2EEiiiiS1_IjLj3EES5_S5_S5_.numbered_sgpr, 46
	.set _ZL33flash_attn_stream_k_fixup_generalILi256ELi4ELi4EEvPfPK15HIP_vector_typeIfLj2EEiiiiS1_IjLj3EES5_S5_S5_.num_named_barrier, 0
	.set _ZL33flash_attn_stream_k_fixup_generalILi256ELi4ELi4EEvPfPK15HIP_vector_typeIfLj2EEiiiiS1_IjLj3EES5_S5_S5_.private_seg_size, 0
	.set _ZL33flash_attn_stream_k_fixup_generalILi256ELi4ELi4EEvPfPK15HIP_vector_typeIfLj2EEiiiiS1_IjLj3EES5_S5_S5_.uses_vcc, 1
	.set _ZL33flash_attn_stream_k_fixup_generalILi256ELi4ELi4EEvPfPK15HIP_vector_typeIfLj2EEiiiiS1_IjLj3EES5_S5_S5_.uses_flat_scratch, 0
	.set _ZL33flash_attn_stream_k_fixup_generalILi256ELi4ELi4EEvPfPK15HIP_vector_typeIfLj2EEiiiiS1_IjLj3EES5_S5_S5_.has_dyn_sized_stack, 0
	.set _ZL33flash_attn_stream_k_fixup_generalILi256ELi4ELi4EEvPfPK15HIP_vector_typeIfLj2EEiiiiS1_IjLj3EES5_S5_S5_.has_recursion, 0
	.set _ZL33flash_attn_stream_k_fixup_generalILi256ELi4ELi4EEvPfPK15HIP_vector_typeIfLj2EEiiiiS1_IjLj3EES5_S5_S5_.has_indirect_call, 0
	.section	.AMDGPU.csdata,"",@progbits
; Kernel info:
; codeLenInByte = 3360
; TotalNumSgprs: 48
; NumVgprs: 12
; ScratchSize: 0
; MemoryBound: 0
; FloatMode: 240
; IeeeMode: 1
; LDSByteSize: 0 bytes/workgroup (compile time only)
; SGPRBlocks: 0
; VGPRBlocks: 0
; NumSGPRsForWavesPerEU: 48
; NumVGPRsForWavesPerEU: 12
; NamedBarCnt: 0
; Occupancy: 16
; WaveLimiterHint : 0
; COMPUTE_PGM_RSRC2:SCRATCH_EN: 0
; COMPUTE_PGM_RSRC2:USER_SGPR: 2
; COMPUTE_PGM_RSRC2:TRAP_HANDLER: 0
; COMPUTE_PGM_RSRC2:TGID_X_EN: 1
; COMPUTE_PGM_RSRC2:TGID_Y_EN: 1
; COMPUTE_PGM_RSRC2:TGID_Z_EN: 1
; COMPUTE_PGM_RSRC2:TIDIG_COMP_CNT: 0
	.section	.text._ZL15flash_attn_tileILi256ELi256ELi2ELi4ELb0EEvPKcS1_S1_S1_S1_PKiPfP15HIP_vector_typeIfLj2EEffffjfiS5_IjLj3EEiiiiiiiiiiiliiliiiiil,"axG",@progbits,_ZL15flash_attn_tileILi256ELi256ELi2ELi4ELb0EEvPKcS1_S1_S1_S1_PKiPfP15HIP_vector_typeIfLj2EEffffjfiS5_IjLj3EEiiiiiiiiiiiliiliiiiil,comdat
	.globl	_ZL15flash_attn_tileILi256ELi256ELi2ELi4ELb0EEvPKcS1_S1_S1_S1_PKiPfP15HIP_vector_typeIfLj2EEffffjfiS5_IjLj3EEiiiiiiiiiiiliiliiiiil ; -- Begin function _ZL15flash_attn_tileILi256ELi256ELi2ELi4ELb0EEvPKcS1_S1_S1_S1_PKiPfP15HIP_vector_typeIfLj2EEffffjfiS5_IjLj3EEiiiiiiiiiiiliiliiiiil
	.p2align	8
	.type	_ZL15flash_attn_tileILi256ELi256ELi2ELi4ELb0EEvPKcS1_S1_S1_S1_PKiPfP15HIP_vector_typeIfLj2EEffffjfiS5_IjLj3EEiiiiiiiiiiiliiliiiiil,@function
_ZL15flash_attn_tileILi256ELi256ELi2ELi4ELb0EEvPKcS1_S1_S1_S1_PKiPfP15HIP_vector_typeIfLj2EEffffjfiS5_IjLj3EEiiiiiiiiiiiliiliiiiil: ; @_ZL15flash_attn_tileILi256ELi256ELi2ELi4ELb0EEvPKcS1_S1_S1_S1_PKiPfP15HIP_vector_typeIfLj2EEffffjfiS5_IjLj3EEiiiiiiiiiiiliiliiiiil
; %bb.0:
	s_clause 0x1
	s_load_b128 s[20:23], s[0:1], 0x5c
	s_load_b64 s[30:31], s[0:1], 0x80
	s_bfe_u32 s5, ttmp6, 0x40014
	s_lshr_b32 s4, ttmp7, 16
	s_add_co_i32 s5, s5, 1
	s_bfe_u32 s6, ttmp6, 0x40008
	s_mul_i32 s5, s4, s5
	s_getreg_b32 s27, hwreg(HW_REG_IB_STS2, 6, 4)
	s_add_co_i32 s6, s6, s5
	s_load_b64 s[36:37], s[0:1], 0xb8
	s_mov_b64 s[34:35], 0
	s_wait_kmcnt 0x0
	s_ashr_i32 s2, s23, 31
	s_delay_alu instid0(SALU_CYCLE_1) | instskip(NEXT) | instid1(SALU_CYCLE_1)
	s_lshr_b32 s2, s2, 30
	s_add_co_i32 s2, s23, s2
	s_delay_alu instid0(SALU_CYCLE_1) | instskip(NEXT) | instid1(SALU_CYCLE_1)
	s_ashr_i32 s2, s2, 2
	s_cvt_f32_u32 s3, s2
	s_sub_co_i32 s7, 0, s2
	s_delay_alu instid0(SALU_CYCLE_2) | instskip(SKIP_1) | instid1(TRANS32_DEP_1)
	v_rcp_iflag_f32_e32 v1, s3
	v_nop
	v_readfirstlane_b32 s3, v1
	s_mul_f32 s3, s3, 0x4f7ffffe
	s_delay_alu instid0(SALU_CYCLE_3) | instskip(NEXT) | instid1(SALU_CYCLE_3)
	s_cvt_u32_f32 s3, s3
	s_mul_i32 s7, s7, s3
	s_delay_alu instid0(SALU_CYCLE_1) | instskip(NEXT) | instid1(SALU_CYCLE_1)
	s_mul_hi_u32 s7, s3, s7
	s_add_co_i32 s3, s3, s7
	s_cmp_eq_u32 s27, 0
	s_cselect_b32 s4, s4, s6
	s_delay_alu instid0(SALU_CYCLE_1) | instskip(NEXT) | instid1(SALU_CYCLE_1)
	s_mul_hi_u32 s3, s4, s3
	s_mul_i32 s5, s3, s2
	s_add_co_i32 s6, s3, 1
	s_sub_co_i32 s5, s4, s5
	s_delay_alu instid0(SALU_CYCLE_1)
	s_sub_co_i32 s7, s5, s2
	s_cmp_ge_u32 s5, s2
	s_cselect_b32 s3, s6, s3
	s_cselect_b32 s5, s7, s5
	s_add_co_i32 s6, s3, 1
	s_cmp_ge_u32 s5, s2
	s_cselect_b32 s28, s6, s3
	s_abs_i32 s2, s31
	s_abs_i32 s7, s23
	s_cvt_f32_u32 s3, s2
	s_sub_co_i32 s5, 0, s2
	s_lshl_b32 s4, s4, 2
	s_mul_i32 s6, s28, s23
	v_rcp_iflag_f32_e32 v1, s3
	s_sub_co_i32 s33, s4, s6
	s_xor_b32 s4, s23, s31
	s_delay_alu instid0(SALU_CYCLE_1) | instskip(SKIP_1) | instid1(TRANS32_DEP_1)
	s_ashr_i32 s24, s4, 31
	v_nop
	v_readfirstlane_b32 s3, v1
	s_mul_f32 s3, s3, 0x4f7ffffe
	s_delay_alu instid0(SALU_CYCLE_3) | instskip(NEXT) | instid1(SALU_CYCLE_3)
	s_cvt_u32_f32 s3, s3
	s_mul_i32 s5, s5, s3
	s_delay_alu instid0(SALU_CYCLE_1) | instskip(NEXT) | instid1(SALU_CYCLE_1)
	s_mul_hi_u32 s5, s3, s5
	s_add_co_i32 s3, s3, s5
	s_delay_alu instid0(SALU_CYCLE_1) | instskip(NEXT) | instid1(SALU_CYCLE_1)
	s_mul_hi_u32 s3, s7, s3
	s_mul_i32 s5, s3, s2
	s_delay_alu instid0(SALU_CYCLE_1)
	s_sub_co_i32 s4, s7, s5
	s_add_co_i32 s5, s3, 1
	s_sub_co_i32 s6, s4, s2
	s_cmp_ge_u32 s4, s2
	s_cselect_b32 s3, s5, s3
	s_cselect_b32 s4, s6, s4
	s_add_co_i32 s5, s3, 1
	s_cmp_ge_u32 s4, s2
	s_cselect_b32 s2, s5, s3
	s_load_b512 s[4:19], s[0:1], 0x0
	s_xor_b32 s2, s2, s24
	s_mov_b32 s3, 0
	s_sub_co_i32 s29, s2, s24
	s_delay_alu instid0(SALU_CYCLE_1) | instskip(NEXT) | instid1(SALU_CYCLE_1)
	s_abs_i32 s40, s29
	s_cvt_f32_u32 s2, s40
	s_delay_alu instid0(SALU_CYCLE_3) | instskip(SKIP_1) | instid1(TRANS32_DEP_1)
	v_rcp_iflag_f32_e32 v1, s2
	v_nop
	v_readfirstlane_b32 s2, v1
	s_wait_kmcnt 0x0
	s_cmp_eq_u64 s[10:11], 0
	s_cbranch_scc1 .LBB20_2
; %bb.1:
	s_abs_i32 s26, s36
	s_abs_i32 s31, s28
	s_cvt_f32_u32 s24, s26
	s_sub_co_i32 s25, 0, s26
	s_delay_alu instid0(SALU_CYCLE_2) | instskip(SKIP_1) | instid1(TRANS32_DEP_1)
	v_rcp_iflag_f32_e32 v1, s24
	v_nop
	v_readfirstlane_b32 s24, v1
	s_mul_f32 s24, s24, 0x4f7ffffe
	s_delay_alu instid0(SALU_CYCLE_3) | instskip(NEXT) | instid1(SALU_CYCLE_3)
	s_cvt_u32_f32 s24, s24
	s_mul_i32 s25, s25, s24
	s_delay_alu instid0(SALU_CYCLE_1) | instskip(NEXT) | instid1(SALU_CYCLE_1)
	s_mul_hi_u32 s25, s24, s25
	s_add_co_i32 s24, s24, s25
	s_delay_alu instid0(SALU_CYCLE_1) | instskip(SKIP_2) | instid1(SALU_CYCLE_1)
	s_mul_hi_u32 s34, s31, s24
	s_load_b64 s[24:25], s[0:1], 0xc8
	s_mul_i32 s34, s34, s26
	s_sub_co_i32 s31, s31, s34
	s_ashr_i32 s34, s28, 31
	s_sub_co_i32 s35, s31, s26
	s_cmp_ge_u32 s31, s26
	s_cselect_b32 s31, s35, s31
	s_delay_alu instid0(SALU_CYCLE_1) | instskip(SKIP_2) | instid1(SALU_CYCLE_1)
	s_sub_co_i32 s35, s31, s26
	s_cmp_ge_u32 s31, s26
	s_cselect_b32 s26, s35, s31
	s_xor_b32 s26, s26, s34
	s_delay_alu instid0(SALU_CYCLE_1) | instskip(NEXT) | instid1(SALU_CYCLE_1)
	s_sub_co_i32 s34, s26, s34
	s_ashr_i32 s35, s34, 31
	s_wait_kmcnt 0x0
	s_mul_u64 s[24:25], s[24:25], s[34:35]
	s_delay_alu instid0(SALU_CYCLE_1)
	s_add_nc_u64 s[34:35], s[10:11], s[24:25]
.LBB20_2:
	s_bfe_u32 s10, ttmp6, 0x4000c
	v_dual_lshrrev_b32 v1, 10, v0 :: v_dual_mov_b32 v3, 0
	s_add_co_i32 s10, s10, 1
	s_and_b32 s11, ttmp6, 15
	s_mul_i32 s10, ttmp9, s10
	s_delay_alu instid0(VALU_DEP_1)
	v_bfe_u32 v1, v1, 1, 9
	s_add_co_i32 s11, s11, s10
	s_cmp_eq_u32 s27, 0
	s_load_b96 s[24:26], s[0:1], 0x70
	s_cselect_b32 s10, ttmp9, s11
	v_mov_b32_e32 v21, v3
	v_lshl_add_u32 v66, s10, 1, v1
	s_delay_alu instid0(VALU_DEP_1) | instskip(NEXT) | instid1(VALU_DEP_1)
	v_mul_hi_u32 v1, s20, v66
	v_add_nc_u32_e32 v1, v66, v1
	s_wait_kmcnt 0x0
	s_mul_i32 s20, s33, s25
	s_ashr_i32 s39, s25, 31
	s_mov_b32 s38, s25
	s_ashr_i32 s25, s24, 31
	v_lshrrev_b32_e32 v1, s21, v1
	s_lshr_b64 s[24:25], s[24:25], 2
	s_ashr_i32 s21, s20, 31
	s_delay_alu instid0(VALU_DEP_1) | instskip(NEXT) | instid1(VALU_DEP_1)
	v_mul_lo_u32 v1, v1, s22
	v_sub_nc_u32_e32 v2, v66, v1
	v_bfe_u32 v1, v0, 10, 10
	s_delay_alu instid0(VALU_DEP_1) | instskip(NEXT) | instid1(VALU_DEP_3)
	v_lshlrev_b32_e32 v26, 1, v1
	v_mul_u64_e32 v[4:5], s[24:25], v[2:3]
	s_lshr_b64 s[24:25], s[38:39], 2
	s_delay_alu instid0(VALU_DEP_2) | instskip(SKIP_1) | instid1(VALU_DEP_2)
	v_and_b32_e32 v20, 2, v26
	v_bitop3_b32 v8, v26, 3, 1 bitop3:0xc8
	v_mul_u64_e32 v[6:7], s[24:25], v[20:21]
	v_and_b32_e32 v21, 0x3ff, v0
	v_dual_mov_b32 v9, v3 :: v_dual_mov_b32 v11, v3
	v_lshlrev_b32_e32 v0, 10, v1
	s_delay_alu instid0(VALU_DEP_3) | instskip(NEXT) | instid1(VALU_DEP_3)
	v_lshlrev_b32_e32 v10, 4, v21
	v_mul_u64_e32 v[8:9], s[24:25], v[8:9]
	s_mul_i32 s24, s28, s26
	v_lshlrev_b32_e32 v68, 3, v21
	s_ashr_i32 s25, s24, 31
	s_cmp_eq_u64 s[14:15], 0
	s_add_nc_u64 s[4:5], s[4:5], s[24:25]
	s_delay_alu instid0(SALU_CYCLE_1) | instskip(SKIP_3) | instid1(VALU_DEP_1)
	s_add_nc_u64 s[4:5], s[4:5], s[20:21]
	v_add_nc_u32_e32 v3, 0x4200, v68
	v_lshl_add_u64 v[4:5], v[4:5], 2, s[4:5]
	s_load_b32 s4, s[0:1], 0x40
	v_add_nc_u64_e32 v[10:11], v[4:5], v[10:11]
	s_delay_alu instid0(VALU_DEP_1)
	v_lshl_add_u64 v[22:23], v[6:7], 2, v[10:11]
	v_lshl_add_u64 v[24:25], v[8:9], 2, v[10:11]
	s_clause 0x3
	global_load_b128 v[4:7], v[22:23], off
	global_load_b128 v[8:11], v[22:23], off offset:512
	global_load_b128 v[12:15], v[24:25], off
	global_load_b128 v[16:19], v[24:25], off offset:512
	s_wait_xcnt 0x2
	v_or_b32_e32 v22, 1, v26
	s_wait_loadcnt 0x3
	s_wait_kmcnt 0x0
	v_fma_mixlo_f16 v4, s4, v4, 0
	v_fma_mixlo_f16 v5, s4, v5, 0
	v_fma_mixlo_f16 v6, s4, v6, 0
	v_fma_mixlo_f16 v7, s4, v7, 0
	s_wait_loadcnt 0x2
	v_fma_mixlo_f16 v8, s4, v8, 0
	v_fma_mixlo_f16 v9, s4, v9, 0
	;; [unrolled: 1-line block ×4, first 2 shown]
	s_wait_loadcnt 0x1
	v_fma_mixlo_f16 v12, s4, v12, 0
	v_fma_mixlo_f16 v13, s4, v13, 0
	;; [unrolled: 1-line block ×3, first 2 shown]
	s_wait_loadcnt 0x0
	v_fma_mixlo_f16 v16, s4, v16, 0
	v_fma_mixlo_f16 v17, s4, v17, 0
	v_dual_add_nc_u32 v23, v3, v0 :: v_dual_lshlrev_b32 v5, 16, v5
	v_fma_mixlo_f16 v19, s4, v19, 0
	v_and_b32_e32 v4, 0xffff, v4
	v_dual_lshlrev_b32 v7, 16, v7 :: v_dual_lshlrev_b32 v9, 16, v9
	v_and_b32_e32 v6, 0xffff, v6
	v_and_b32_e32 v8, 0xffff, v8
	v_fma_mixlo_f16 v14, s4, v14, 0
	v_fma_mixlo_f16 v18, s4, v18, 0
	v_dual_lshlrev_b32 v11, 16, v11 :: v_dual_lshlrev_b32 v13, 16, v13
	v_and_b32_e32 v10, 0xffff, v10
	v_and_b32_e32 v12, 0xffff, v12
	v_dual_lshlrev_b32 v15, 16, v15 :: v_dual_lshlrev_b32 v17, 16, v17
	v_and_b32_e32 v16, 0xffff, v16
	v_dual_lshlrev_b32 v19, 16, v19 :: v_dual_bitop2_b32 v4, v5, v4 bitop3:0x54
	v_or3_b32 v5, v7, v6, 0
	v_or_b32_e32 v6, v9, v8
	v_and_b32_e32 v14, 0xffff, v14
	v_and_b32_e32 v18, 0xffff, v18
	v_or3_b32 v7, v11, v10, 0
	v_or_b32_e32 v8, v13, v12
	v_or_b32_e32 v10, v17, v16
	v_or3_b32 v4, 0, 0, v4
	v_or3_b32 v6, 0, 0, v6
	v_lshl_add_u32 v3, v22, 9, v3
	v_or3_b32 v9, v15, v14, 0
	v_or3_b32 v11, v19, v18, 0
	;; [unrolled: 1-line block ×4, first 2 shown]
	ds_store_2addr_b64 v23, v[4:5], v[6:7] offset1:32
	ds_store_2addr_b64 v3, v[8:9], v[10:11] offset1:32
	s_wait_dscnt 0x0
	s_barrier_signal -1
	s_barrier_wait -1
	s_cbranch_scc1 .LBB20_4
; %bb.3:
	s_load_b32 s4, s[0:1], 0xd0
	s_wait_kmcnt 0x0
	s_mul_i32 s4, s4, s28
	s_delay_alu instid0(SALU_CYCLE_1)
	s_add_co_i32 s4, s4, s10
	s_load_b32 s30, s[14:15], s4 offset:0x0 scale_offset
.LBB20_4:
	s_wait_xcnt 0x0
	s_bfe_u32 s4, ttmp6, 0x40010
	s_and_b32 s5, ttmp7, 0xffff
	s_add_co_i32 s4, s4, 1
	s_bfe_u32 s10, ttmp6, 0x40004
	s_mul_i32 s4, s5, s4
	v_lshlrev_b32_e32 v67, 2, v21
	s_add_co_i32 s10, s10, s4
	s_cmp_eq_u32 s27, 0
	v_mbcnt_lo_u32_b32 v69, -1, 0
	s_cselect_b32 s31, s5, s10
	s_mov_b32 s5, 0
	s_lshl_b32 s4, s31, 5
	s_wait_kmcnt 0x0
	s_cmp_lt_i32 s4, s30
	s_cbranch_scc1 .LBB20_7
; %bb.5:
	v_mbcnt_lo_u32_b32 v3, -1, 0
	s_delay_alu instid0(VALU_DEP_1)
	v_dual_mov_b32 v71, 32 :: v_dual_bitop2_b32 v80, 16, v3 bitop3:0x14
	v_xor_b32_e32 v77, 8, v3
	v_xor_b32_e32 v75, 4, v3
	;; [unrolled: 1-line block ×4, first 2 shown]
	s_and_not1_b32 vcc_lo, exec_lo, s5
	s_cbranch_vccz .LBB20_8
; %bb.6:
	v_dual_mov_b32 v59, 0xfeffffff :: v_dual_mov_b32 v108, 0
	v_dual_mov_b32 v41, 0 :: v_dual_mov_b32 v105, 0
	;; [unrolled: 1-line block ×3, first 2 shown]
	s_delay_alu instid0(VALU_DEP_2)
	v_dual_mov_b32 v58, v59 :: v_dual_mov_b32 v40, v41
	v_dual_mov_b32 v101, 0 :: v_dual_mov_b32 v104, 0
	;; [unrolled: 1-line block ×3, first 2 shown]
	s_branch .LBB20_11
.LBB20_7:
                                        ; implicit-def: $vgpr3
                                        ; implicit-def: $vgpr71
                                        ; implicit-def: $vgpr80
                                        ; implicit-def: $vgpr77
                                        ; implicit-def: $vgpr75
                                        ; implicit-def: $vgpr73
                                        ; implicit-def: $vgpr72
.LBB20_8:
	s_clause 0x1
	s_load_b64 s[20:21], s[0:1], 0x8c
	s_load_b128 s[24:27], s[0:1], 0x98
	s_mul_f32 s2, s2, 0x4f7ffffe
	s_sub_co_i32 s5, 0, s40
	s_mov_b32 s11, s3
	s_ashr_i32 s14, s33, 31
	s_cvt_u32_f32 s10, s2
	s_abs_i32 s2, s33
	s_ashr_i32 s15, s29, 31
	s_ashr_i32 s29, s28, 31
	s_mul_i32 s5, s5, s10
	s_xor_b32 s15, s14, s15
	s_mul_hi_u32 s5, s10, s5
	s_load_b64 s[38:39], s[0:1], 0xa8
	s_add_co_i32 s10, s10, s5
	s_ashr_i32 s5, s37, 1
	s_mul_u64 s[10:11], s[2:3], s[10:11]
	v_mad_u32 v84, v2, s5, v21
	s_mul_i32 s3, s11, s40
	v_lshl_add_u32 v85, v1, 7, 0x5200
	s_wait_kmcnt 0x0
	s_ashr_i32 s14, s20, 2
	s_sub_co_i32 s2, s2, s3
	v_mul_lo_u32 v22, s14, v1
	s_ashr_i32 s10, s26, 2
	s_add_co_i32 s3, s11, 1
	s_sub_co_i32 s36, s2, s40
	s_cmp_ge_u32 s2, s40
	v_mul_lo_u32 v30, s10, v1
	s_cselect_b32 s3, s3, s11
	s_cselect_b32 s2, s36, s2
	s_add_co_i32 s11, s3, 1
	s_cmp_ge_u32 s2, s40
	v_mul_u32_u24_e32 v81, 0x210, v21
	s_cselect_b32 s11, s11, s3
	s_and_b32 s36, s20, -4
	s_delay_alu instid0(SALU_CYCLE_1) | instskip(SKIP_1) | instid1(VALU_DEP_3)
	v_dual_lshlrev_b32 v24, 2, v67 :: v_dual_add_nc_u32 v26, s36, v22
	s_mul_u64 s[2:3], s[24:25], s[28:29]
	v_dual_mov_b32 v58, 0xfeffffff :: v_dual_ashrrev_i32 v31, 31, v30
	s_add_nc_u64 s[2:3], s[6:7], s[2:3]
	s_delay_alu instid0(VALU_DEP_2)
	v_add_nc_u32_e32 v28, s36, v26
	s_xor_b32 s6, s11, s15
	s_and_b32 s11, s26, -4
	v_ashrrev_i32_e32 v23, 31, v22
	v_mad_u32_u24 v70, 0x210, v1, v24
	v_add_nc_u32_e32 v32, s36, v28
	v_lshl_add_u32 v83, v1, 9, v24
	v_mov_b32_e32 v25, 0
	s_sub_co_i32 s7, s6, s15
	v_add_nc_u32_e32 v74, 0x2100, v70
	v_dual_add_nc_u32 v34, s36, v32 :: v_dual_add_nc_u32 v36, s11, v30
	v_ashrrev_i32_e32 v29, 31, v28
	s_mul_u64 s[24:25], s[38:39], s[28:29]
	s_mul_i32 s6, s7, s21
	s_delay_alu instid0(VALU_DEP_2) | instskip(SKIP_3) | instid1(VALU_DEP_3)
	v_dual_add_nc_u32 v38, s36, v34 :: v_dual_add_nc_u32 v42, s11, v36
	v_ashrrev_i32_e32 v33, 31, v32
	s_mul_i32 s20, s7, s27
	v_dual_mov_b32 v59, v58 :: v_dual_add_nc_u32 v76, 0x2940, v70
	v_add_nc_u32_e32 v44, s36, v38
	v_add_nc_u32_e32 v46, s11, v42
	v_ashrrev_i32_e32 v27, 31, v26
	v_dual_mov_b32 v41, v25 :: v_dual_add_nc_u32 v78, 0x3180, v70
	s_delay_alu instid0(VALU_DEP_3) | instskip(SKIP_3) | instid1(VALU_DEP_4)
	v_dual_ashrrev_i32 v45, 31, v44 :: v_dual_add_nc_u32 v50, s11, v46
	v_add_nc_u32_e32 v48, s36, v44
	v_dual_mov_b32 v40, v25 :: v_dual_add_nc_u32 v79, 0x39c0, v70
	v_ashrrev_i32_e32 v35, 31, v34
	v_add_nc_u32_e32 v52, s11, v50
	v_dual_ashrrev_i32 v39, 31, v38 :: v_dual_ashrrev_i32 v37, 31, v36
	v_ashrrev_i32_e32 v49, 31, v48
	v_dual_mov_b32 v71, 32 :: v_dual_add_nc_u32 v82, 0x4200, v0
	s_delay_alu instid0(VALU_DEP_4) | instskip(SKIP_2) | instid1(VALU_DEP_3)
	v_add_nc_u32_e32 v54, s11, v52
	v_dual_mov_b32 v103, v25 :: v_dual_add_nc_u32 v86, 0x800, v83
	v_dual_mov_b32 v102, v25 :: v_dual_add_nc_u32 v87, 0x1000, v83
	v_dual_add_nc_u32 v56, s11, v54 :: v_dual_ashrrev_i32 v55, 31, v54
	v_dual_mov_b32 v101, v25 :: v_dual_add_nc_u32 v88, 0x1800, v83
	s_delay_alu instid0(VALU_DEP_2)
	v_dual_ashrrev_i32 v47, 31, v46 :: v_dual_ashrrev_i32 v57, 31, v56
	v_dual_mov_b32 v104, v25 :: v_dual_add_nc_u32 v89, 0x2000, v83
	v_ashrrev_i32_e32 v51, 31, v50
	v_dual_ashrrev_i32 v43, 31, v42 :: v_dual_ashrrev_i32 v53, 31, v52
	v_dual_mov_b32 v107, v25 :: v_dual_add_nc_u32 v90, 0x2800, v83
	v_dual_mov_b32 v106, v25 :: v_dual_add_nc_u32 v91, 0x3000, v83
	v_dual_mov_b32 v105, v25 :: v_dual_add_nc_u32 v92, 0x3800, v83
	v_dual_add_nc_u32 v93, v85, v67 :: v_dual_bitop2_b32 v80, 16, v69 bitop3:0x14
	v_dual_mov_b32 v108, v25 :: v_dual_bitop2_b32 v77, 8, v69 bitop3:0x14
	v_xor_b32_e32 v75, 4, v69
	v_xor_b32_e32 v73, 2, v69
	;; [unrolled: 1-line block ×3, first 2 shown]
	v_add_nc_u32_e32 v94, 0x800, v68
	v_add_nc_u32_e32 v95, 0x1000, v68
	;; [unrolled: 1-line block ×7, first 2 shown]
	s_add_nc_u64 s[8:9], s[8:9], s[24:25]
	s_ashr_i32 s7, s6, 31
	s_ashr_i32 s21, s20, 31
	s_add_nc_u64 s[6:7], s[2:3], s[6:7]
	s_add_nc_u64 s[8:9], s[8:9], s[20:21]
	s_ashr_i32 s15, s14, 31
	s_ashr_i32 s11, s10, 31
	s_add_nc_u64 s[20:21], s[0:1], 0xd0
.LBB20_9:                               ; =>This Inner Loop Header: Depth=1
	v_cmp_gt_i32_e32 vcc_lo, 32, v80
	v_mov_b32_e32 v19, v58
	s_ashr_i32 s5, s4, 31
	v_dual_mov_b32 v111, 0 :: v_dual_mov_b32 v112, 0
	v_cndmask_b32_e32 v0, v69, v80, vcc_lo
	v_cmp_gt_i32_e32 vcc_lo, 32, v77
	s_mul_u64 s[2:3], s[4:5], s[14:15]
	s_mul_u64 s[24:25], s[4:5], s[10:11]
	s_lshl_b64 s[2:3], s[2:3], 2
	s_lshl_b64 s[24:25], s[24:25], 2
	v_cndmask_b32_e32 v1, v69, v77, vcc_lo
	v_cmp_gt_i32_e32 vcc_lo, 32, v75
	s_add_nc_u64 s[26:27], s[6:7], s[2:3]
	s_add_nc_u64 s[2:3], s[8:9], s[24:25]
	v_lshl_add_u64 v[8:9], v[28:29], 2, s[26:27]
	v_lshl_add_u64 v[10:11], v[32:33], 2, s[26:27]
	v_cndmask_b32_e32 v2, v69, v75, vcc_lo
	v_cmp_gt_i32_e32 vcc_lo, 32, v73
	v_dual_lshlrev_b32 v65, 2, v0 :: v_dual_lshlrev_b32 v64, 2, v1
	v_lshl_add_u64 v[0:1], v[22:23], 2, s[26:27]
	v_lshl_add_u64 v[12:13], v[34:35], 2, s[26:27]
	v_cndmask_b32_e32 v3, v69, v73, vcc_lo
	v_cmp_gt_i32_e32 vcc_lo, 32, v72
	v_lshl_add_u64 v[14:15], v[38:39], 2, s[26:27]
	v_add_nc_u64_e32 v[0:1], v[0:1], v[24:25]
	v_lshl_add_u64 v[16:17], v[44:45], 2, s[26:27]
	v_lshl_add_u64 v[60:61], v[48:49], 2, s[26:27]
	v_dual_cndmask_b32 v4, v69, v72 :: v_dual_lshlrev_b32 v63, 2, v2
	v_lshlrev_b32_e32 v62, 2, v3
	v_lshl_add_u64 v[2:3], v[26:27], 2, s[26:27]
	v_dual_mov_b32 v18, v59 :: v_dual_add_nc_u32 v59, s4, v84
	s_delay_alu instid0(VALU_DEP_4) | instskip(NEXT) | instid1(VALU_DEP_3)
	v_dual_max_num_f32 v109, v19, v19 :: v_dual_lshlrev_b32 v58, 2, v4
	v_add_nc_u64_e32 v[4:5], v[2:3], v[24:25]
	s_clause 0x1
	global_load_b128 v[0:3], v[0:1], off
	global_load_b128 v[4:7], v[4:5], off
	v_max_num_f32_e32 v110, v18, v18
	s_wait_loadcnt 0x1
	ds_store_b128 v70, v[0:3]
	v_add_nc_u64_e32 v[0:1], v[8:9], v[24:25]
	v_add_nc_u64_e32 v[8:9], v[10:11], v[24:25]
	v_add_nc_u32_e32 v2, 0x840, v70
	v_lshl_add_u64 v[10:11], v[36:37], 2, s[2:3]
	s_wait_loadcnt 0x0
	ds_store_b128 v2, v[4:7]
	s_clause 0x1
	global_load_b128 v[0:3], v[0:1], off
	global_load_b128 v[4:7], v[8:9], off
	s_wait_xcnt 0x0
	v_add_nc_u32_e32 v8, 0x1080, v70
	v_add_nc_u64_e32 v[116:117], v[10:11], v[24:25]
	s_wait_loadcnt 0x1
	ds_store_b128 v8, v[0:3]
	v_add_nc_u64_e32 v[0:1], v[12:13], v[24:25]
	v_add_nc_u64_e32 v[12:13], v[14:15], v[24:25]
	v_add_nc_u32_e32 v2, 0x18c0, v70
	v_add_nc_u64_e32 v[14:15], v[16:17], v[24:25]
	v_add_nc_u64_e32 v[16:17], v[60:61], v[24:25]
	v_lshl_add_u64 v[8:9], v[30:31], 2, s[2:3]
	v_lshl_add_u64 v[60:61], v[56:57], 2, s[2:3]
	s_wait_loadcnt 0x0
	ds_store_b128 v2, v[4:7]
	s_clause 0x1
	global_load_b128 v[0:3], v[0:1], off
	global_load_b128 v[4:7], v[12:13], off
	v_add_nc_u64_e32 v[114:115], v[8:9], v[24:25]
	v_add_nc_u64_e32 v[60:61], v[60:61], v[24:25]
	s_wait_loadcnt 0x1
	ds_store_b128 v74, v[0:3]
	s_clause 0x1
	global_load_b128 v[0:3], v[14:15], off
	global_load_b128 v[12:15], v[16:17], off
	s_wait_loadcnt 0x2
	ds_store_b128 v76, v[4:7]
	s_wait_loadcnt 0x1
	ds_store_b128 v78, v[0:3]
	;; [unrolled: 2-line block ×3, first 2 shown]
	s_wait_dscnt 0x0
	s_barrier_signal -1
	s_barrier_wait -1
	ds_load_b128 v[0:3], v81
	ds_load_b128 v[4:7], v82
	ds_load_b128 v[12:15], v82 offset:512
	s_wait_dscnt 0x1
	;;#ASMSTART
	v_dot2_f32_f16 v111, v0, v4, v111
	;;#ASMEND
	;;#ASMSTART
	v_dot2_f32_f16 v111, v1, v5, v111
	;;#ASMEND
	;;#ASMSTART
	v_dot2_f32_f16 v111, v2, v6, v111
	;;#ASMEND
	;;#ASMSTART
	v_dot2_f32_f16 v111, v3, v7, v111
	;;#ASMEND
	s_wait_dscnt 0x0
	;;#ASMSTART
	v_dot2_f32_f16 v112, v0, v12, v112
	;;#ASMEND
	;;#ASMSTART
	v_dot2_f32_f16 v112, v1, v13, v112
	;;#ASMEND
	;;#ASMSTART
	v_dot2_f32_f16 v112, v2, v14, v112
	;;#ASMEND
	;;#ASMSTART
	v_dot2_f32_f16 v112, v3, v15, v112
	;;#ASMEND
	ds_load_b128 v[0:3], v81 offset:16
	ds_load_b128 v[4:7], v82 offset:16
	ds_load_b128 v[12:15], v82 offset:528
	s_wait_dscnt 0x1
	;;#ASMSTART
	v_dot2_f32_f16 v111, v0, v4, v111
	;;#ASMEND
	;;#ASMSTART
	v_dot2_f32_f16 v111, v1, v5, v111
	;;#ASMEND
	;;#ASMSTART
	v_dot2_f32_f16 v111, v2, v6, v111
	;;#ASMEND
	;;#ASMSTART
	v_dot2_f32_f16 v111, v3, v7, v111
	;;#ASMEND
	s_wait_dscnt 0x0
	;;#ASMSTART
	v_dot2_f32_f16 v112, v0, v12, v112
	;;#ASMEND
	;;#ASMSTART
	v_dot2_f32_f16 v112, v1, v13, v112
	;;#ASMEND
	;;#ASMSTART
	v_dot2_f32_f16 v112, v2, v14, v112
	;;#ASMEND
	;;#ASMSTART
	v_dot2_f32_f16 v112, v3, v15, v112
	;;#ASMEND
	ds_load_b128 v[0:3], v81 offset:32
	ds_load_b128 v[4:7], v82 offset:32
	;; [unrolled: 29-line block ×31, first 2 shown]
	ds_load_b128 v[4:7], v82 offset:1008
	s_wait_dscnt 0x1
	;;#ASMSTART
	v_dot2_f32_f16 v111, v0, v12, v111
	;;#ASMEND
	;;#ASMSTART
	v_dot2_f32_f16 v111, v1, v13, v111
	;;#ASMEND
	;; [unrolled: 3-line block ×4, first 2 shown]
	s_wait_dscnt 0x0
	;;#ASMSTART
	v_dot2_f32_f16 v112, v0, v4, v112
	;;#ASMEND
	;;#ASMSTART
	v_dot2_f32_f16 v112, v1, v5, v112
	;;#ASMEND
	;; [unrolled: 3-line block ×4, first 2 shown]
	v_lshl_add_u64 v[2:3], v[50:51], 2, s[2:3]
	v_lshl_add_u64 v[12:13], v[42:43], 2, s[2:3]
	;; [unrolled: 1-line block ×5, first 2 shown]
	v_add_nc_u64_e32 v[10:11], v[2:3], v[24:25]
	global_load_u16 v2, v59, s[34:35] scale_offset
	v_add_nc_u64_e32 v[0:1], v[12:13], v[24:25]
	v_add_nc_u64_e32 v[12:13], v[4:5], v[24:25]
	;; [unrolled: 1-line block ×4, first 2 shown]
	s_wait_loadcnt 0x0
	s_barrier_signal -1
	s_barrier_wait -1
	v_cvt_f32_f16_e32 v2, v2
	s_delay_alu instid0(VALU_DEP_1) | instskip(NEXT) | instid1(VALU_DEP_1)
	v_add_f32_e32 v3, v112, v2
	v_add_f32_e32 v4, 0x40051340, v3
	s_delay_alu instid0(VALU_DEP_1) | instskip(NEXT) | instid1(VALU_DEP_1)
	v_dual_add_f32 v2, v111, v2 :: v_dual_max_num_f32 v4, v110, v4
	v_add_f32_e32 v5, 0x40051340, v2
	global_load_b128 v[110:113], v[116:117], off
	v_max_num_f32_e32 v14, v109, v5
	ds_bpermute_b32 v5, v65, v4
	s_wait_xcnt 0x1
	ds_bpermute_b32 v59, v65, v14
	s_wait_dscnt 0x0
	v_dual_max_num_f32 v5, v5, v5 :: v_dual_max_num_f32 v59, v59, v59
	s_delay_alu instid0(VALU_DEP_1)
	v_max_num_f32_e32 v15, v4, v5
	global_load_b128 v[4:7], v[114:115], off
	v_max_num_f32_e32 v14, v14, v59
	ds_bpermute_b32 v59, v64, v15
	ds_bpermute_b32 v64, v64, v14
	s_wait_dscnt 0x0
	v_dual_max_num_f32 v59, v59, v59 :: v_dual_max_num_f32 v64, v64, v64
	s_delay_alu instid0(VALU_DEP_1)
	v_dual_max_num_f32 v15, v15, v59 :: v_dual_max_num_f32 v14, v14, v64
	ds_bpermute_b32 v59, v63, v15
	ds_bpermute_b32 v63, v63, v14
	s_wait_dscnt 0x1
	v_max_num_f32_e32 v59, v59, v59
	s_wait_dscnt 0x0
	v_max_num_f32_e32 v63, v63, v63
	s_delay_alu instid0(VALU_DEP_2) | instskip(NEXT) | instid1(VALU_DEP_2)
	v_max_num_f32_e32 v15, v15, v59
	v_max_num_f32_e32 v14, v14, v63
	ds_bpermute_b32 v59, v62, v15
	ds_bpermute_b32 v62, v62, v14
	s_wait_dscnt 0x0
	v_max_num_f32_e32 v62, v62, v62
	s_delay_alu instid0(VALU_DEP_1) | instskip(NEXT) | instid1(VALU_DEP_1)
	v_dual_max_num_f32 v14, v14, v62 :: v_dual_max_num_f32 v59, v59, v59
	v_max_num_f32_e32 v15, v15, v59
	ds_bpermute_b32 v59, v58, v15
	ds_bpermute_b32 v58, v58, v14
	s_wait_dscnt 0x0
	v_dual_max_num_f32 v59, v59, v59 :: v_dual_max_num_f32 v58, v58, v58
	s_delay_alu instid0(VALU_DEP_1) | instskip(NEXT) | instid1(VALU_DEP_1)
	v_max_num_f32_e32 v58, v14, v58
	v_dual_sub_f32 v14, v2, v58 :: v_dual_max_num_f32 v59, v15, v59
	s_delay_alu instid0(VALU_DEP_1) | instskip(SKIP_1) | instid1(VALU_DEP_2)
	v_mul_f32_e32 v15, 0x3fb8aa3b, v14
	v_cmp_ngt_f32_e64 s2, 0xc2ce8ed0, v14
	v_fma_f32 v64, 0x3fb8aa3b, v14, -v15
	s_delay_alu instid0(VALU_DEP_1) | instskip(SKIP_1) | instid1(VALU_DEP_2)
	v_dual_fmac_f32 v64, 0x32a5705f, v14 :: v_dual_sub_f32 v3, v3, v59
	v_sub_f32_e32 v18, v18, v59
	v_mul_f32_e32 v2, 0x3fb8aa3b, v3
	v_cmp_ngt_f32_e32 vcc_lo, 0xc2ce8ed0, v3
	s_delay_alu instid0(VALU_DEP_2) | instskip(SKIP_1) | instid1(VALU_DEP_2)
	v_fma_f32 v62, 0x3fb8aa3b, v3, -v2
	v_rndne_f32_e32 v63, v2
	v_fmac_f32_e32 v62, 0x32a5705f, v3
	s_delay_alu instid0(VALU_DEP_2) | instskip(SKIP_1) | instid1(VALU_DEP_2)
	v_sub_f32_e32 v2, v2, v63
	v_cvt_i32_f32_e32 v63, v63
	v_add_f32_e32 v2, v2, v62
	v_rndne_f32_e32 v62, v15
	s_delay_alu instid0(VALU_DEP_2) | instskip(NEXT) | instid1(VALU_DEP_1)
	v_exp_f32_e32 v2, v2
	v_sub_f32_e32 v15, v15, v62
	v_cvt_i32_f32_e32 v62, v62
	s_delay_alu instid0(VALU_DEP_2) | instskip(NEXT) | instid1(TRANS32_DEP_1)
	v_add_f32_e32 v15, v15, v64
	v_ldexp_f32 v2, v2, v63
	v_sub_f32_e32 v64, v19, v58
	s_delay_alu instid0(VALU_DEP_3) | instskip(NEXT) | instid1(VALU_DEP_2)
	v_exp_f32_e32 v15, v15
	v_cndmask_b32_e32 v63, 0, v2, vcc_lo
	v_cmp_nlt_f32_e32 vcc_lo, 0x42b17218, v3
	global_load_b128 v[0:3], v[0:1], off
	v_ldexp_f32 v15, v15, v62
	v_cndmask_b32_e32 v63, 0x7f800000, v63, vcc_lo
	s_delay_alu instid0(VALU_DEP_2) | instskip(SKIP_1) | instid1(VALU_DEP_1)
	v_cndmask_b32_e64 v15, 0, v15, s2
	v_cmp_nlt_f32_e64 s2, 0x42b17218, v14
	v_cndmask_b32_e64 v62, 0x7f800000, v15, s2
	v_mul_f32_e32 v15, 0x3fb8aa3b, v64
	v_cmp_ngt_f32_e32 vcc_lo, 0xc2ce8ed0, v18
	v_cmp_ngt_f32_e64 s2, 0xc2ce8ed0, v64
	s_delay_alu instid0(VALU_DEP_4) | instskip(NEXT) | instid1(VALU_DEP_4)
	v_cvt_pk_f16_f32 v14, v62, v63
	v_fma_f32 v109, 0x3fb8aa3b, v64, -v15
	ds_store_b32 v93, v14
	s_wait_loadcnt 0x1
	ds_store_b128 v83, v[4:7]
	v_mul_f32_e32 v14, 0x3fb8aa3b, v18
	v_fmac_f32_e32 v109, 0x32a5705f, v64
	s_clause 0x1
	global_load_b128 v[4:7], v[8:9], off
	global_load_b128 v[8:11], v[10:11], off
	ds_store_b128 v86, v[110:113]
	v_fma_f32 v19, 0x3fb8aa3b, v18, -v14
	v_rndne_f32_e32 v65, v14
	s_delay_alu instid0(VALU_DEP_1) | instskip(SKIP_1) | instid1(VALU_DEP_2)
	v_dual_fmac_f32 v19, 0x32a5705f, v18 :: v_dual_sub_f32 v14, v14, v65
	v_cvt_i32_f32_e32 v65, v65
	v_add_f32_e32 v14, v14, v19
	v_rndne_f32_e32 v19, v15
	s_delay_alu instid0(VALU_DEP_2) | instskip(NEXT) | instid1(VALU_DEP_1)
	v_exp_f32_e32 v14, v14
	v_sub_f32_e32 v15, v15, v19
	v_cvt_i32_f32_e32 v19, v19
	s_delay_alu instid0(VALU_DEP_2) | instskip(NEXT) | instid1(TRANS32_DEP_1)
	v_add_f32_e32 v109, v15, v109
	v_ldexp_f32 v65, v14, v65
	global_load_b128 v[12:15], v[12:13], off
	v_exp_f32_e32 v109, v109
	v_cndmask_b32_e32 v65, 0, v65, vcc_lo
	v_cmp_nlt_f32_e32 vcc_lo, 0x42b17218, v18
	s_delay_alu instid0(TRANS32_DEP_1) | instskip(NEXT) | instid1(VALU_DEP_3)
	v_ldexp_f32 v109, v109, v19
	v_cndmask_b32_e32 v65, 0x7f800000, v65, vcc_lo
	global_load_b128 v[16:19], v[16:17], off
	v_cndmask_b32_e64 v109, 0, v109, s2
	v_cmp_nlt_f32_e64 s2, 0x42b17218, v64
	s_delay_alu instid0(VALU_DEP_1) | instskip(NEXT) | instid1(VALU_DEP_1)
	v_cndmask_b32_e64 v64, 0x7f800000, v109, s2
	v_pk_fma_f32 v[40:41], v[40:41], v[64:65], v[62:63]
	global_load_b128 v[60:63], v[60:61], off
	v_cvt_f16_f32_e32 v65, v65
	v_cvt_f16_f32_e32 v64, v64
	s_wait_loadcnt 0x5
	ds_store_b128 v87, v[0:3]
	s_wait_loadcnt 0x4
	ds_store_b128 v88, v[4:7]
	;; [unrolled: 2-line block ×6, first 2 shown]
	s_wait_dscnt 0x0
	s_barrier_signal -1
	s_barrier_wait -1
	ds_load_b128 v[4:7], v85
	v_and_b32_e32 v61, 0xffff, v65
	ds_load_2addr_b64 v[8:11], v68 offset1:32
	ds_load_2addr_b64 v[12:15], v68 offset0:64 offset1:96
	ds_load_2addr_b64 v[16:19], v68 offset0:128 offset1:160
	ds_load_b128 v[0:3], v85 offset:16
	v_and_b32_e32 v60, 0xffff, v64
	v_mul_u32_u24_e32 v64, 0x10001, v61
	s_delay_alu instid0(VALU_DEP_2) | instskip(NEXT) | instid1(VALU_DEP_2)
	v_mul_u32_u24_e32 v60, 0x10001, v60
	v_pk_mul_f16 v65, v104, v64
	v_pk_mul_f16 v103, v103, v64
	s_delay_alu instid0(VALU_DEP_3)
	v_pk_mul_f16 v61, v108, v60
	v_pk_mul_f16 v62, v107, v60
	;; [unrolled: 1-line block ×4, first 2 shown]
	s_wait_dscnt 0x4
	v_and_b32_e32 v104, 0xffff, v4
	v_lshrrev_b32_e32 v4, 16, v4
	v_and_b32_e32 v109, 0xffff, v7
	v_lshrrev_b32_e32 v7, 16, v7
	s_delay_alu instid0(VALU_DEP_4) | instskip(NEXT) | instid1(VALU_DEP_4)
	v_mul_u32_u24_e32 v104, 0x10001, v104
	v_mul_u32_u24_e32 v4, 0x10001, v4
	s_delay_alu instid0(VALU_DEP_3) | instskip(SKIP_1) | instid1(VALU_DEP_3)
	v_mul_u32_u24_e32 v7, 0x10001, v7
	s_wait_dscnt 0x3
	v_pk_fma_f16 v106, v9, v104, v61
	v_pk_mul_f16 v61, v8, v104
	v_pk_fma_f16 v107, v10, v104, v62
	v_pk_fma_f16 v108, v11, v104, v63
	;; [unrolled: 1-line block ×5, first 2 shown]
	v_pk_mul_f16 v4, v8, v4
	v_pk_fma_f16 v104, v105, v60, v61
	v_and_b32_e32 v105, 0xffff, v5
	v_lshrrev_b32_e32 v5, 16, v5
	ds_load_2addr_b64 v[8:11], v68 offset0:192 offset1:224
	v_pk_fma_f16 v4, v101, v64, v4
	ds_load_2addr_b64 v[60:63], v94 offset1:32
	v_mul_u32_u24_e32 v64, 0x10001, v105
	v_mul_u32_u24_e32 v5, 0x10001, v5
	s_wait_dscnt 0x4
	s_delay_alu instid0(VALU_DEP_2)
	v_pk_fma_f16 v101, v13, v64, v106
	v_pk_fma_f16 v105, v14, v64, v107
	;; [unrolled: 1-line block ×7, first 2 shown]
	v_and_b32_e32 v5, 0xffff, v6
	v_lshrrev_b32_e32 v6, 16, v6
	v_pk_fma_f16 v64, v12, v64, v104
	ds_load_2addr_b64 v[12:15], v94 offset0:64 offset1:96
	v_mul_u32_u24_e32 v5, 0x10001, v5
	v_mul_u32_u24_e32 v6, 0x10001, v6
	s_wait_dscnt 0x4
	s_delay_alu instid0(VALU_DEP_2)
	v_pk_fma_f16 v101, v17, v5, v101
	v_pk_fma_f16 v110, v18, v5, v105
	;; [unrolled: 1-line block ×8, first 2 shown]
	v_mul_u32_u24_e32 v6, 0x10001, v109
	ds_load_2addr_b64 v[102:105], v94 offset0:128 offset1:160
	ds_load_2addr_b64 v[16:19], v94 offset0:192 offset1:224
	s_wait_dscnt 0x4
	v_pk_fma_f16 v108, v10, v6, v110
	v_pk_fma_f16 v10, v10, v7, v65
	v_and_b32_e32 v65, 0xffff, v0
	v_lshrrev_b32_e32 v0, 16, v0
	v_pk_fma_f16 v101, v9, v6, v101
	v_pk_fma_f16 v106, v11, v6, v106
	;; [unrolled: 1-line block ×6, first 2 shown]
	v_mul_u32_u24_e32 v65, 0x10001, v65
	v_mul_u32_u24_e32 v0, 0x10001, v0
	ds_load_b128 v[4:7], v85 offset:32
	s_wait_dscnt 0x4
	v_pk_fma_f16 v101, v61, v65, v101
	v_pk_fma_f16 v107, v62, v65, v108
	;; [unrolled: 1-line block ×8, first 2 shown]
	v_and_b32_e32 v60, 0xffff, v1
	v_lshrrev_b32_e32 v1, 16, v1
	ds_load_2addr_b64 v[8:11], v95 offset1:32
	v_mul_u32_u24_e32 v60, 0x10001, v60
	s_wait_dscnt 0x4
	s_delay_alu instid0(VALU_DEP_1)
	v_pk_fma_f16 v65, v13, v60, v101
	v_pk_fma_f16 v101, v14, v60, v107
	;; [unrolled: 1-line block ×4, first 2 shown]
	v_and_b32_e32 v64, 0xffff, v3
	v_lshrrev_b32_e32 v3, 16, v3
	v_mul_u32_u24_e32 v1, 0x10001, v1
	s_delay_alu instid0(VALU_DEP_2) | instskip(NEXT) | instid1(VALU_DEP_2)
	v_mul_u32_u24_e32 v3, 0x10001, v3
	v_pk_fma_f16 v107, v13, v1, v61
	v_pk_fma_f16 v108, v14, v1, v62
	;; [unrolled: 1-line block ×4, first 2 shown]
	v_and_b32_e32 v1, 0xffff, v2
	v_lshrrev_b32_e32 v2, 16, v2
	ds_load_2addr_b64 v[12:15], v95 offset0:64 offset1:96
	v_mul_u32_u24_e32 v1, 0x10001, v1
	v_mul_u32_u24_e32 v2, 0x10001, v2
	s_wait_dscnt 0x4
	s_delay_alu instid0(VALU_DEP_2)
	v_pk_fma_f16 v65, v103, v1, v65
	v_pk_fma_f16 v101, v104, v1, v101
	;; [unrolled: 1-line block ×8, first 2 shown]
	v_mul_u32_u24_e32 v2, 0x10001, v64
	ds_load_2addr_b64 v[60:63], v95 offset0:128 offset1:160
	ds_load_2addr_b64 v[102:105], v95 offset0:192 offset1:224
	s_wait_dscnt 0x5
	v_pk_fma_f16 v64, v17, v2, v65
	v_pk_fma_f16 v65, v18, v2, v101
	v_pk_fma_f16 v101, v19, v2, v106
	v_pk_fma_f16 v17, v17, v3, v107
	v_pk_fma_f16 v18, v18, v3, v108
	v_pk_fma_f16 v19, v19, v3, v109
	v_pk_fma_f16 v106, v16, v2, v1
	v_pk_fma_f16 v16, v16, v3, v0
	ds_load_b128 v[0:3], v85 offset:48
	s_wait_dscnt 0x5
	v_and_b32_e32 v107, 0xffff, v4
	v_lshrrev_b32_e32 v4, 16, v4
	s_delay_alu instid0(VALU_DEP_2) | instskip(NEXT) | instid1(VALU_DEP_2)
	v_mul_u32_u24_e32 v107, 0x10001, v107
	v_mul_u32_u24_e32 v4, 0x10001, v4
	s_wait_dscnt 0x4
	s_delay_alu instid0(VALU_DEP_2) | instskip(NEXT) | instid1(VALU_DEP_2)
	v_pk_fma_f16 v64, v9, v107, v64
	v_pk_fma_f16 v17, v9, v4, v17
	v_pk_fma_f16 v18, v10, v4, v18
	v_pk_fma_f16 v19, v11, v4, v19
	v_pk_fma_f16 v4, v8, v4, v16
	v_and_b32_e32 v16, 0xffff, v5
	v_lshrrev_b32_e32 v5, 16, v5
	v_pk_fma_f16 v65, v10, v107, v65
	v_pk_fma_f16 v101, v11, v107, v101
	;; [unrolled: 1-line block ×3, first 2 shown]
	v_mul_u32_u24_e32 v16, 0x10001, v16
	v_mul_u32_u24_e32 v5, 0x10001, v5
	ds_load_2addr_b64 v[8:11], v96 offset1:32
	s_wait_dscnt 0x4
	v_pk_fma_f16 v64, v13, v16, v64
	v_pk_fma_f16 v107, v13, v5, v17
	;; [unrolled: 1-line block ×5, first 2 shown]
	v_and_b32_e32 v5, 0xffff, v6
	v_lshrrev_b32_e32 v6, 16, v6
	v_pk_fma_f16 v65, v14, v16, v65
	v_pk_fma_f16 v101, v15, v16, v101
	;; [unrolled: 1-line block ×3, first 2 shown]
	v_and_b32_e32 v106, 0xffff, v7
	v_lshrrev_b32_e32 v7, 16, v7
	v_mul_u32_u24_e32 v5, 0x10001, v5
	v_mul_u32_u24_e32 v6, 0x10001, v6
	ds_load_2addr_b64 v[12:15], v96 offset0:64 offset1:96
	v_mul_u32_u24_e32 v7, 0x10001, v7
	s_wait_dscnt 0x4
	v_pk_fma_f16 v64, v61, v5, v64
	v_pk_fma_f16 v107, v61, v6, v107
	;; [unrolled: 1-line block ×5, first 2 shown]
	v_mul_u32_u24_e32 v6, 0x10001, v106
	v_pk_fma_f16 v65, v62, v5, v65
	v_pk_fma_f16 v101, v63, v5, v101
	;; [unrolled: 1-line block ×3, first 2 shown]
	ds_load_2addr_b64 v[16:19], v96 offset0:128 offset1:160
	s_wait_dscnt 0x4
	v_pk_fma_f16 v64, v103, v6, v64
	v_pk_fma_f16 v103, v103, v7, v107
	s_wait_dscnt 0x3
	v_and_b32_e32 v107, 0xffff, v0
	v_lshrrev_b32_e32 v0, 16, v0
	v_pk_fma_f16 v65, v104, v6, v65
	v_pk_fma_f16 v101, v105, v6, v101
	;; [unrolled: 1-line block ×6, first 2 shown]
	v_mul_u32_u24_e32 v0, 0x10001, v0
	ds_load_2addr_b64 v[60:63], v96 offset0:192 offset1:224
	ds_load_b128 v[4:7], v85 offset:64
	v_mul_u32_u24_e32 v107, 0x10001, v107
	s_wait_dscnt 0x4
	v_pk_fma_f16 v103, v9, v0, v103
	v_pk_fma_f16 v104, v10, v0, v104
	;; [unrolled: 1-line block ×4, first 2 shown]
	v_and_b32_e32 v102, 0xffff, v1
	v_lshrrev_b32_e32 v1, 16, v1
	v_pk_fma_f16 v64, v9, v107, v64
	v_pk_fma_f16 v65, v10, v107, v65
	v_pk_fma_f16 v101, v11, v107, v101
	v_pk_fma_f16 v106, v8, v107, v106
	v_mul_u32_u24_e32 v1, 0x10001, v1
	v_mul_u32_u24_e32 v102, 0x10001, v102
	ds_load_2addr_b64 v[8:11], v97 offset1:32
	s_wait_dscnt 0x4
	v_pk_fma_f16 v107, v13, v1, v103
	v_pk_fma_f16 v108, v14, v1, v104
	;; [unrolled: 1-line block ×4, first 2 shown]
	v_and_b32_e32 v1, 0xffff, v2
	v_lshrrev_b32_e32 v2, 16, v2
	v_pk_fma_f16 v64, v13, v102, v64
	v_pk_fma_f16 v65, v14, v102, v65
	;; [unrolled: 1-line block ×4, first 2 shown]
	v_and_b32_e32 v106, 0xffff, v3
	v_lshrrev_b32_e32 v3, 16, v3
	v_mul_u32_u24_e32 v1, 0x10001, v1
	v_mul_u32_u24_e32 v2, 0x10001, v2
	ds_load_2addr_b64 v[12:15], v97 offset0:64 offset1:96
	v_mul_u32_u24_e32 v3, 0x10001, v3
	s_wait_dscnt 0x4
	v_pk_fma_f16 v64, v17, v1, v64
	v_pk_fma_f16 v65, v18, v1, v65
	v_pk_fma_f16 v101, v19, v1, v101
	v_pk_fma_f16 v1, v16, v1, v102
	v_pk_fma_f16 v107, v17, v2, v107
	v_pk_fma_f16 v108, v18, v2, v108
	v_pk_fma_f16 v109, v19, v2, v109
	v_pk_fma_f16 v0, v16, v2, v0
	v_mul_u32_u24_e32 v2, 0x10001, v106
	ds_load_2addr_b64 v[102:105], v97 offset0:128 offset1:160
	ds_load_2addr_b64 v[16:19], v97 offset0:192 offset1:224
	s_wait_dscnt 0x5
	v_pk_fma_f16 v64, v61, v2, v64
	v_pk_fma_f16 v65, v62, v2, v65
	;; [unrolled: 1-line block ×8, first 2 shown]
	ds_load_b128 v[0:3], v85 offset:80
	s_wait_dscnt 0x5
	v_and_b32_e32 v107, 0xffff, v4
	v_lshrrev_b32_e32 v4, 16, v4
	s_delay_alu instid0(VALU_DEP_2) | instskip(NEXT) | instid1(VALU_DEP_2)
	v_mul_u32_u24_e32 v107, 0x10001, v107
	v_mul_u32_u24_e32 v4, 0x10001, v4
	s_wait_dscnt 0x4
	s_delay_alu instid0(VALU_DEP_2) | instskip(NEXT) | instid1(VALU_DEP_2)
	v_pk_fma_f16 v64, v9, v107, v64
	v_pk_fma_f16 v61, v9, v4, v61
	;; [unrolled: 1-line block ×5, first 2 shown]
	v_and_b32_e32 v60, 0xffff, v5
	v_lshrrev_b32_e32 v5, 16, v5
	v_pk_fma_f16 v65, v10, v107, v65
	v_pk_fma_f16 v101, v11, v107, v101
	;; [unrolled: 1-line block ×3, first 2 shown]
	v_mul_u32_u24_e32 v60, 0x10001, v60
	v_mul_u32_u24_e32 v5, 0x10001, v5
	ds_load_2addr_b64 v[8:11], v98 offset1:32
	s_wait_dscnt 0x1
	v_and_b32_e32 v110, 0xffff, v3
	v_lshrrev_b32_e32 v3, 16, v3
	v_pk_fma_f16 v64, v13, v60, v64
	v_pk_fma_f16 v107, v13, v5, v61
	;; [unrolled: 1-line block ×5, first 2 shown]
	v_and_b32_e32 v5, 0xffff, v6
	v_lshrrev_b32_e32 v6, 16, v6
	v_pk_fma_f16 v65, v14, v60, v65
	v_pk_fma_f16 v101, v15, v60, v101
	;; [unrolled: 1-line block ×3, first 2 shown]
	v_and_b32_e32 v106, 0xffff, v7
	v_lshrrev_b32_e32 v7, 16, v7
	v_mul_u32_u24_e32 v5, 0x10001, v5
	v_mul_u32_u24_e32 v6, 0x10001, v6
	ds_load_2addr_b64 v[12:15], v98 offset0:64 offset1:96
	v_mul_u32_u24_e32 v3, 0x10001, v3
	v_mul_u32_u24_e32 v7, 0x10001, v7
	v_pk_fma_f16 v64, v103, v5, v64
	v_pk_fma_f16 v107, v103, v6, v107
	;; [unrolled: 1-line block ×5, first 2 shown]
	v_mul_u32_u24_e32 v6, 0x10001, v106
	v_pk_fma_f16 v65, v104, v5, v65
	v_pk_fma_f16 v101, v105, v5, v101
	;; [unrolled: 1-line block ×3, first 2 shown]
	ds_load_2addr_b64 v[60:63], v98 offset0:128 offset1:160
	v_pk_fma_f16 v64, v17, v6, v64
	v_pk_fma_f16 v17, v17, v7, v107
	v_and_b32_e32 v107, 0xffff, v0
	v_lshrrev_b32_e32 v0, 16, v0
	v_pk_fma_f16 v65, v18, v6, v65
	v_pk_fma_f16 v101, v19, v6, v101
	;; [unrolled: 1-line block ×6, first 2 shown]
	v_mul_u32_u24_e32 v107, 0x10001, v107
	v_mul_u32_u24_e32 v0, 0x10001, v0
	ds_load_2addr_b64 v[102:105], v98 offset0:192 offset1:224
	ds_load_b128 v[4:7], v85 offset:96
	s_wait_dscnt 0x4
	v_pk_fma_f16 v64, v9, v107, v64
	v_pk_fma_f16 v65, v10, v107, v65
	;; [unrolled: 1-line block ×8, first 2 shown]
	v_and_b32_e32 v8, 0xffff, v1
	v_lshrrev_b32_e32 v1, 16, v1
	ds_load_2addr_b64 v[16:19], v99 offset1:32
	v_mul_u32_u24_e32 v8, 0x10001, v8
	v_mul_u32_u24_e32 v1, 0x10001, v1
	s_wait_dscnt 0x4
	s_delay_alu instid0(VALU_DEP_2) | instskip(NEXT) | instid1(VALU_DEP_2)
	v_pk_fma_f16 v64, v13, v8, v64
	v_pk_fma_f16 v9, v13, v1, v9
	;; [unrolled: 1-line block ×5, first 2 shown]
	v_and_b32_e32 v1, 0xffff, v2
	v_lshrrev_b32_e32 v2, 16, v2
	v_pk_fma_f16 v65, v14, v8, v65
	v_pk_fma_f16 v101, v15, v8, v101
	;; [unrolled: 1-line block ×3, first 2 shown]
	v_mul_u32_u24_e32 v1, 0x10001, v1
	v_mul_u32_u24_e32 v2, 0x10001, v2
	ds_load_2addr_b64 v[12:15], v99 offset0:64 offset1:96
	ds_load_2addr_b64 v[106:109], v99 offset0:128 offset1:160
	s_wait_dscnt 0x5
	v_pk_fma_f16 v64, v61, v1, v64
	v_pk_fma_f16 v65, v62, v1, v65
	;; [unrolled: 1-line block ×8, first 2 shown]
	v_mul_u32_u24_e32 v2, 0x10001, v110
	s_wait_dscnt 0x4
	v_pk_fma_f16 v61, v103, v3, v61
	v_pk_fma_f16 v62, v104, v3, v62
	;; [unrolled: 1-line block ×3, first 2 shown]
	ds_load_2addr_b64 v[8:11], v99 offset0:192 offset1:224
	v_pk_fma_f16 v60, v103, v2, v64
	v_pk_fma_f16 v64, v104, v2, v65
	;; [unrolled: 1-line block ×5, first 2 shown]
	ds_load_b128 v[0:3], v85 offset:112
	s_wait_dscnt 0x5
	v_and_b32_e32 v103, 0xffff, v4
	v_lshrrev_b32_e32 v4, 16, v4
	v_and_b32_e32 v104, 0xffff, v7
	v_lshrrev_b32_e32 v105, 16, v7
	s_delay_alu instid0(VALU_DEP_4) | instskip(NEXT) | instid1(VALU_DEP_4)
	v_mul_u32_u24_e32 v103, 0x10001, v103
	v_mul_u32_u24_e32 v4, 0x10001, v4
	s_delay_alu instid0(VALU_DEP_4) | instskip(SKIP_1) | instid1(VALU_DEP_3)
	v_mul_u32_u24_e32 v104, 0x10001, v104
	s_wait_dscnt 0x4
	v_pk_fma_f16 v60, v17, v103, v60
	s_delay_alu instid0(VALU_DEP_3)
	v_pk_fma_f16 v61, v17, v4, v61
	v_pk_fma_f16 v62, v18, v4, v62
	;; [unrolled: 1-line block ×4, first 2 shown]
	v_and_b32_e32 v102, 0xffff, v5
	v_lshrrev_b32_e32 v5, 16, v5
	v_pk_fma_f16 v64, v18, v103, v64
	v_pk_fma_f16 v65, v19, v103, v65
	v_pk_fma_f16 v101, v16, v103, v101
	v_mul_u32_u24_e32 v102, 0x10001, v102
	v_mul_u32_u24_e32 v5, 0x10001, v5
	ds_load_2addr_b64 v[16:19], v100 offset1:32
	v_lshrrev_b32_e32 v103, 16, v6
	s_wait_dscnt 0x4
	v_pk_fma_f16 v60, v13, v102, v60
	v_pk_fma_f16 v64, v14, v102, v64
	;; [unrolled: 1-line block ×5, first 2 shown]
	v_and_b32_e32 v4, 0xffff, v6
	v_pk_fma_f16 v61, v13, v5, v61
	v_pk_fma_f16 v62, v14, v5, v62
	v_pk_fma_f16 v63, v15, v5, v63
	ds_load_2addr_b64 v[12:15], v100 offset0:64 offset1:96
	v_mul_u32_u24_e32 v4, 0x10001, v4
	s_wait_dscnt 0x4
	s_delay_alu instid0(VALU_DEP_1)
	v_pk_fma_f16 v110, v107, v4, v60
	v_pk_fma_f16 v64, v108, v4, v64
	;; [unrolled: 1-line block ×4, first 2 shown]
	v_mul_u32_u24_e32 v60, 0x10001, v103
	ds_load_2addr_b64 v[4:7], v100 offset0:128 offset1:160
	s_wait_dscnt 0x4
	v_pk_fma_f16 v64, v10, v104, v64
	v_pk_fma_f16 v65, v11, v104, v65
	;; [unrolled: 1-line block ×7, first 2 shown]
	s_wait_dscnt 0x3
	v_and_b32_e32 v106, 0xffff, v0
	v_pk_fma_f16 v109, v9, v104, v110
	v_lshrrev_b32_e32 v0, 16, v0
	v_mul_u32_u24_e32 v104, 0x10001, v105
	ds_load_2addr_b64 v[60:63], v100 offset0:192 offset1:224
	s_wait_dscnt 0x0
	s_barrier_signal -1
	s_barrier_wait -1
	s_load_b32 s2, s[20:21], 0x4
	v_pk_fma_f16 v9, v9, v104, v103
	v_pk_fma_f16 v10, v10, v104, v107
	;; [unrolled: 1-line block ×4, first 2 shown]
	v_and_b32_e32 v102, 0xffff, v1
	v_lshrrev_b32_e32 v1, 16, v1
	v_and_b32_e32 v104, 0xffff, v3
	v_mul_u32_u24_e32 v105, 0x10001, v106
	v_mul_u32_u24_e32 v0, 0x10001, v0
	v_and_b32_e32 v103, 0xffff, v2
	v_dual_lshrrev_b32 v2, 16, v2 :: v_dual_lshrrev_b32 v3, 16, v3
	v_mul_u32_u24_e32 v102, 0x10001, v102
	v_mul_u32_u24_e32 v1, 0x10001, v1
	v_mul_u32_u24_e32 v110, 0x10001, v104
	v_pk_fma_f16 v104, v17, v105, v109
	v_pk_fma_f16 v64, v18, v105, v64
	;; [unrolled: 1-line block ×8, first 2 shown]
	v_mul_u32_u24_e32 v103, 0x10001, v103
	v_mul_u32_u24_e32 v2, 0x10001, v2
	v_pk_fma_f16 v8, v13, v102, v104
	v_pk_fma_f16 v16, v14, v102, v64
	;; [unrolled: 1-line block ×8, first 2 shown]
	v_mul_u32_u24_e32 v3, 0x10001, v3
	v_pk_fma_f16 v1, v5, v103, v8
	v_pk_fma_f16 v8, v6, v103, v16
	;; [unrolled: 1-line block ×8, first 2 shown]
	s_wait_kmcnt 0x0
	s_lshl_b32 s2, s2, 5
	v_pk_fma_f16 v108, v61, v110, v1
	v_pk_fma_f16 v107, v62, v110, v8
	;; [unrolled: 1-line block ×8, first 2 shown]
	s_add_co_i32 s4, s2, s4
	s_delay_alu instid0(SALU_CYCLE_1)
	s_cmp_ge_i32 s4, s30
	s_cbranch_scc0 .LBB20_9
; %bb.10:
	v_mov_b32_e32 v3, v69
.LBB20_11:
	v_cmp_lt_i32_e32 vcc_lo, v80, v71
	s_cmp_lg_u64 s[12:13], 0
	s_cselect_b32 s2, -1, 0
	s_cmp_eq_u32 s31, 0
	v_cndmask_b32_e32 v0, v3, v80, vcc_lo
	v_cmp_lt_i32_e32 vcc_lo, v77, v71
	s_cselect_b32 s3, -1, 0
	s_delay_alu instid0(SALU_CYCLE_1) | instskip(NEXT) | instid1(VALU_DEP_2)
	s_and_b32 s2, s3, s2
	v_dual_cndmask_b32 v2, v3, v77 :: v_dual_lshlrev_b32 v1, 2, v0
	v_cmp_lt_i32_e32 vcc_lo, v75, v71
	s_delay_alu instid0(VALU_DEP_2)
	v_lshlrev_b32_e32 v2, 2, v2
	ds_bpermute_b32 v0, v1, v40
	ds_bpermute_b32 v1, v1, v41
	s_wait_dscnt 0x0
	v_pk_add_f32 v[0:1], v[40:41], v[0:1]
	ds_bpermute_b32 v4, v2, v0
	ds_bpermute_b32 v5, v2, v1
	v_cndmask_b32_e32 v2, v3, v75, vcc_lo
	v_cmp_lt_i32_e32 vcc_lo, v73, v71
	s_delay_alu instid0(VALU_DEP_2)
	v_lshlrev_b32_e32 v2, 2, v2
	s_wait_dscnt 0x0
	v_pk_add_f32 v[0:1], v[0:1], v[4:5]
	ds_bpermute_b32 v4, v2, v0
	ds_bpermute_b32 v5, v2, v1
	v_cndmask_b32_e32 v2, v3, v73, vcc_lo
	v_cmp_lt_i32_e32 vcc_lo, v72, v71
	s_delay_alu instid0(VALU_DEP_2)
	v_lshlrev_b32_e32 v2, 2, v2
	s_wait_dscnt 0x0
	v_pk_add_f32 v[0:1], v[0:1], v[4:5]
	ds_bpermute_b32 v4, v2, v0
	ds_bpermute_b32 v5, v2, v1
	v_cndmask_b32_e32 v2, v3, v72, vcc_lo
	s_and_b32 vcc_lo, exec_lo, s2
	s_delay_alu instid0(VALU_DEP_1)
	v_lshlrev_b32_e32 v3, 2, v2
	s_wait_dscnt 0x0
	v_pk_add_f32 v[0:1], v[0:1], v[4:5]
	ds_bpermute_b32 v2, v3, v0
	ds_bpermute_b32 v3, v3, v1
	s_wait_dscnt 0x0
	v_pk_add_f32 v[0:1], v[0:1], v[2:3]
	v_add_nc_u32_e32 v2, s33, v20
	s_cbranch_vccz .LBB20_13
; %bb.12:
	s_delay_alu instid0(VALU_DEP_1) | instskip(NEXT) | instid1(VALU_DEP_1)
	v_dual_ashrrev_i32 v3, 31, v2 :: v_dual_max_num_f32 v7, v59, v59
	v_lshl_add_u64 v[4:5], v[2:3], 2, s[12:13]
	v_max_num_f32_e32 v3, v58, v58
	global_load_b64 v[4:5], v[4:5], off
	s_wait_loadcnt 0x0
	v_dual_max_num_f32 v6, v4, v4 :: v_dual_max_num_f32 v8, v5, v5
	s_delay_alu instid0(VALU_DEP_1) | instskip(NEXT) | instid1(VALU_DEP_1)
	v_max_num_f32_e32 v6, v3, v6
	v_dual_max_num_f32 v7, v7, v8 :: v_dual_sub_f32 v3, v58, v6
	s_delay_alu instid0(VALU_DEP_1) | instskip(SKIP_2) | instid1(VALU_DEP_3)
	v_dual_sub_f32 v8, v4, v6 :: v_dual_sub_f32 v9, v59, v7
	v_sub_f32_e32 v10, v5, v7
	v_mov_b64_e32 v[58:59], v[6:7]
	v_dual_mul_f32 v4, 0x3fb8aa3b, v3 :: v_dual_mul_f32 v5, 0x3fb8aa3b, v8
	s_delay_alu instid0(VALU_DEP_4) | instskip(SKIP_1) | instid1(VALU_DEP_3)
	v_mul_f32_e32 v11, 0x3fb8aa3b, v9
	v_cmp_ngt_f32_e32 vcc_lo, 0xc2ce8ed0, v3
	v_fma_f32 v13, 0x3fb8aa3b, v3, -v4
	v_rndne_f32_e32 v14, v4
	s_delay_alu instid0(VALU_DEP_4) | instskip(SKIP_2) | instid1(VALU_DEP_4)
	v_rndne_f32_e32 v18, v11
	v_fma_f32 v17, 0x3fb8aa3b, v9, -v11
	v_rndne_f32_e32 v16, v5
	v_dual_fmac_f32 v13, 0x32a5705f, v3 :: v_dual_sub_f32 v4, v4, v14
	s_delay_alu instid0(VALU_DEP_4) | instskip(SKIP_2) | instid1(VALU_DEP_4)
	v_sub_f32_e32 v11, v11, v18
	v_mul_f32_e32 v12, 0x3fb8aa3b, v10
	v_fma_f32 v15, 0x3fb8aa3b, v8, -v5
	v_dual_sub_f32 v5, v5, v16 :: v_dual_add_f32 v4, v4, v13
	v_cvt_i32_f32_e32 v13, v14
	s_delay_alu instid0(VALU_DEP_4) | instskip(SKIP_4) | instid1(VALU_DEP_3)
	v_fma_f32 v19, 0x3fb8aa3b, v10, -v12
	v_rndne_f32_e32 v20, v12
	v_fmac_f32_e32 v17, 0x32a5705f, v9
	v_exp_f32_e32 v4, v4
	v_cvt_i32_f32_e32 v14, v18
	v_sub_f32_e32 v12, v12, v20
	s_delay_alu instid0(TRANS32_DEP_1) | instskip(SKIP_2) | instid1(VALU_DEP_3)
	v_ldexp_f32 v4, v4, v13
	v_fmac_f32_e32 v19, 0x32a5705f, v10
	v_cvt_i32_f32_e32 v13, v20
	v_cndmask_b32_e32 v4, 0, v4, vcc_lo
	s_delay_alu instid0(VALU_DEP_3) | instskip(SKIP_2) | instid1(VALU_DEP_3)
	v_dual_fmac_f32 v15, 0x32a5705f, v8 :: v_dual_add_f32 v12, v12, v19
	v_add_f32_e32 v11, v11, v17
	v_cmp_ngt_f32_e32 vcc_lo, 0xc2ce8ed0, v9
	v_add_f32_e32 v5, v5, v15
	v_cvt_i32_f32_e32 v15, v16
	s_delay_alu instid0(VALU_DEP_4) | instskip(SKIP_1) | instid1(VALU_DEP_2)
	v_exp_f32_e32 v11, v11
	v_exp_f32_e32 v12, v12
	v_exp_f32_e32 v5, v5
	s_delay_alu instid0(TRANS32_DEP_3) | instskip(NEXT) | instid1(TRANS32_DEP_2)
	v_ldexp_f32 v11, v11, v14
	v_ldexp_f32 v12, v12, v13
	s_delay_alu instid0(VALU_DEP_2) | instskip(SKIP_1) | instid1(TRANS32_DEP_1)
	v_cndmask_b32_e32 v11, 0, v11, vcc_lo
	v_cmp_nlt_f32_e32 vcc_lo, 0x42b17218, v3
	v_ldexp_f32 v3, v5, v15
	v_cndmask_b32_e32 v4, 0x7f800000, v4, vcc_lo
	v_cmp_nlt_f32_e32 vcc_lo, 0x42b17218, v9
	s_delay_alu instid0(VALU_DEP_2) | instskip(SKIP_2) | instid1(VALU_DEP_3)
	v_cvt_f16_f32_e32 v9, v4
	v_cndmask_b32_e32 v5, 0x7f800000, v11, vcc_lo
	v_cmp_ngt_f32_e32 vcc_lo, 0xc2ce8ed0, v8
	v_and_b32_e32 v13, 0xffff, v9
	v_cndmask_b32_e32 v3, 0, v3, vcc_lo
	v_cmp_ngt_f32_e32 vcc_lo, 0xc2ce8ed0, v10
	v_cndmask_b32_e32 v11, 0, v12, vcc_lo
	v_cvt_f16_f32_e32 v12, v5
	v_cmp_nlt_f32_e32 vcc_lo, 0x42b17218, v8
	v_cndmask_b32_e32 v8, 0x7f800000, v3, vcc_lo
	v_cmp_nlt_f32_e32 vcc_lo, 0x42b17218, v10
	s_delay_alu instid0(VALU_DEP_4) | instskip(SKIP_2) | instid1(VALU_DEP_3)
	v_and_b32_e32 v3, 0xffff, v12
	v_mul_u32_u24_e32 v10, 0x10001, v13
	v_cndmask_b32_e32 v9, 0x7f800000, v11, vcc_lo
	v_mul_u32_u24_e32 v3, 0x10001, v3
	s_delay_alu instid0(VALU_DEP_3)
	v_pk_mul_f16 v105, v105, v10
	v_pk_mul_f16 v108, v108, v10
	v_pk_mul_f16 v107, v107, v10
	v_pk_fma_f32 v[0:1], v[0:1], v[4:5], v[8:9]
	v_pk_mul_f16 v106, v106, v10
	v_pk_mul_f16 v101, v101, v3
	;; [unrolled: 1-line block ×5, first 2 shown]
.LBB20_13:
	s_mov_b32 s2, exec_lo
	v_cmpx_gt_i32_e64 s22, v66
	s_cbranch_execz .LBB20_22
; %bb.14:
	s_load_b32 s0, s[0:1], 0xd4
	v_mov_b32_e32 v4, 1.0
	s_wait_kmcnt 0x0
	s_cmp_lg_u32 s0, 1
	s_cselect_b32 s2, -1, 0
	s_cmp_eq_u32 s0, 1
	s_cselect_b32 s1, -1, 0
	s_and_b32 vcc_lo, exec_lo, s2
	s_cbranch_vccnz .LBB20_16
; %bb.15:
	v_div_scale_f32 v3, null, v0, v0, 1.0
	s_delay_alu instid0(VALU_DEP_1) | instskip(SKIP_1) | instid1(TRANS32_DEP_1)
	v_rcp_f32_e32 v4, v3
	v_nop
	v_fma_f32 v5, -v3, v4, 1.0
	s_delay_alu instid0(VALU_DEP_1) | instskip(SKIP_1) | instid1(VALU_DEP_1)
	v_fmac_f32_e32 v4, v5, v4
	v_div_scale_f32 v5, vcc_lo, 1.0, v0, 1.0
	v_mul_f32_e32 v6, v5, v4
	s_delay_alu instid0(VALU_DEP_1) | instskip(NEXT) | instid1(VALU_DEP_1)
	v_fma_f32 v7, -v3, v6, v5
	v_fmac_f32_e32 v6, v7, v4
	s_delay_alu instid0(VALU_DEP_1) | instskip(NEXT) | instid1(VALU_DEP_1)
	v_fma_f32 v3, -v3, v6, v5
	v_div_fmas_f32 v3, v3, v4, v6
	s_delay_alu instid0(VALU_DEP_1)
	v_div_fixup_f32 v4, v3, v0, 1.0
.LBB20_16:
	v_mad_u32 v3, s28, s22, v66
	v_dual_mov_b32 v13, 0 :: v_dual_lshrrev_b32 v5, 16, v108
	v_dual_lshrrev_b32 v11, 16, v107 :: v_dual_lshrrev_b32 v15, 16, v106
	v_cvt_f32_f16_e32 v6, v105
	v_cvt_f32_f16_e32 v8, v108
	s_delay_alu instid0(VALU_DEP_4)
	v_cvt_f32_f16_e32 v9, v5
	v_cvt_f32_f16_e32 v10, v107
	;; [unrolled: 1-line block ×4, first 2 shown]
	v_mad_u32 v2, v3, s23, v2
	v_lshrrev_b32_e32 v3, 16, v105
	v_cvt_f32_f16_e32 v15, v15
	v_cmp_eq_u32_e32 vcc_lo, 0, v21
	v_pk_mul_f32 v[8:9], v[4:5], v[8:9] op_sel_hi:[0,1]
	v_pk_mul_f32 v[10:11], v[4:5], v[10:11] op_sel_hi:[0,1]
	v_cvt_f32_f16_e32 v7, v3
	s_and_b32 s2, vcc_lo, s2
	s_delay_alu instid0(VALU_DEP_1) | instskip(SKIP_1) | instid1(VALU_DEP_1)
	v_pk_mul_f32 v[6:7], v[4:5], v[6:7] op_sel_hi:[0,1]
	v_mad_u32 v2, s0, v2, s31
	v_lshl_add_u32 v12, v2, 8, v67
	s_delay_alu instid0(VALU_DEP_1) | instskip(SKIP_1) | instid1(VALU_DEP_1)
	v_lshl_add_u64 v[16:17], v[12:13], 2, s[16:17]
	v_add_nc_u32_e32 v12, 0x80, v12
	v_lshl_add_u64 v[18:19], v[12:13], 2, s[16:17]
	v_pk_mul_f32 v[12:13], v[4:5], v[14:15] op_sel_hi:[0,1]
	s_clause 0x1
	global_store_b128 v[16:17], v[6:9], off
	global_store_b128 v[18:19], v[10:13], off
	s_wait_xcnt 0x0
	s_and_saveexec_b32 s3, s2
	s_cbranch_execz .LBB20_18
; %bb.17:
	v_dual_mov_b32 v4, v58 :: v_dual_mov_b32 v5, v0
	global_store_b64 v2, v[4:5], s[18:19] scale_offset
.LBB20_18:
	s_wait_xcnt 0x0
	s_or_b32 exec_lo, exec_lo, s3
	v_mov_b32_e32 v0, 1.0
	s_and_not1_b32 vcc_lo, exec_lo, s1
	s_cbranch_vccnz .LBB20_20
; %bb.19:
	v_div_scale_f32 v0, null, v1, v1, 1.0
	s_delay_alu instid0(VALU_DEP_1) | instskip(SKIP_1) | instid1(TRANS32_DEP_1)
	v_rcp_f32_e32 v3, v0
	v_nop
	v_fma_f32 v4, -v0, v3, 1.0
	s_delay_alu instid0(VALU_DEP_1) | instskip(SKIP_1) | instid1(VALU_DEP_1)
	v_fmac_f32_e32 v3, v4, v3
	v_div_scale_f32 v4, vcc_lo, 1.0, v1, 1.0
	v_mul_f32_e32 v5, v4, v3
	s_delay_alu instid0(VALU_DEP_1) | instskip(NEXT) | instid1(VALU_DEP_1)
	v_fma_f32 v6, -v0, v5, v4
	v_fmac_f32_e32 v5, v6, v3
	s_delay_alu instid0(VALU_DEP_1) | instskip(NEXT) | instid1(VALU_DEP_1)
	v_fma_f32 v0, -v0, v5, v4
	v_div_fmas_f32 v0, v0, v3, v5
	s_delay_alu instid0(VALU_DEP_1)
	v_div_fixup_f32 v0, v0, v1, 1.0
.LBB20_20:
	v_dual_mov_b32 v9, 0 :: v_dual_add_nc_u32 v2, s0, v2
	v_dual_lshrrev_b32 v3, 16, v101 :: v_dual_lshrrev_b32 v6, 16, v104
	v_dual_lshrrev_b32 v10, 16, v103 :: v_dual_lshrrev_b32 v14, 16, v102
	s_delay_alu instid0(VALU_DEP_3) | instskip(SKIP_1) | instid1(VALU_DEP_4)
	v_lshl_add_u32 v8, v2, 8, v67
	v_cvt_f32_f16_e32 v4, v101
	v_cvt_f32_f16_e32 v5, v3
	;; [unrolled: 1-line block ×4, first 2 shown]
	v_lshl_add_u64 v[12:13], v[8:9], 2, s[16:17]
	v_add_nc_u32_e32 v8, 0x80, v8
	v_cvt_f32_f16_e32 v11, v10
	v_cvt_f32_f16_e32 v10, v103
	;; [unrolled: 1-line block ×4, first 2 shown]
	v_pk_mul_f32 v[4:5], v[0:1], v[4:5] op_sel_hi:[0,1]
	v_pk_mul_f32 v[6:7], v[0:1], v[6:7] op_sel_hi:[0,1]
	v_lshl_add_u64 v[16:17], v[8:9], 2, s[16:17]
	v_pk_mul_f32 v[8:9], v[0:1], v[10:11] op_sel_hi:[0,1]
	v_pk_mul_f32 v[10:11], v[0:1], v[14:15] op_sel_hi:[0,1]
	s_clause 0x1
	global_store_b128 v[12:13], v[4:7], off
	global_store_b128 v[16:17], v[8:11], off
	s_wait_xcnt 0x0
	s_and_b32 exec_lo, exec_lo, s2
	s_cbranch_execz .LBB20_22
; %bb.21:
	v_mov_b32_e32 v0, v59
	global_store_b64 v2, v[0:1], s[18:19] scale_offset
.LBB20_22:
	s_sendmsg sendmsg(MSG_DEALLOC_VGPRS)
	s_endpgm
	.section	.rodata,"a",@progbits
	.p2align	6, 0x0
	.amdhsa_kernel _ZL15flash_attn_tileILi256ELi256ELi2ELi4ELb0EEvPKcS1_S1_S1_S1_PKiPfP15HIP_vector_typeIfLj2EEffffjfiS5_IjLj3EEiiiiiiiiiiiliiliiiiil
		.amdhsa_group_segment_fixed_size 21504
		.amdhsa_private_segment_fixed_size 0
		.amdhsa_kernarg_size 464
		.amdhsa_user_sgpr_count 2
		.amdhsa_user_sgpr_dispatch_ptr 0
		.amdhsa_user_sgpr_queue_ptr 0
		.amdhsa_user_sgpr_kernarg_segment_ptr 1
		.amdhsa_user_sgpr_dispatch_id 0
		.amdhsa_user_sgpr_kernarg_preload_length 0
		.amdhsa_user_sgpr_kernarg_preload_offset 0
		.amdhsa_user_sgpr_private_segment_size 0
		.amdhsa_wavefront_size32 1
		.amdhsa_uses_dynamic_stack 0
		.amdhsa_enable_private_segment 0
		.amdhsa_system_sgpr_workgroup_id_x 1
		.amdhsa_system_sgpr_workgroup_id_y 1
		.amdhsa_system_sgpr_workgroup_id_z 1
		.amdhsa_system_sgpr_workgroup_info 0
		.amdhsa_system_vgpr_workitem_id 1
		.amdhsa_next_free_vgpr 118
		.amdhsa_next_free_sgpr 41
		.amdhsa_named_barrier_count 0
		.amdhsa_reserve_vcc 1
		.amdhsa_float_round_mode_32 0
		.amdhsa_float_round_mode_16_64 0
		.amdhsa_float_denorm_mode_32 3
		.amdhsa_float_denorm_mode_16_64 3
		.amdhsa_fp16_overflow 0
		.amdhsa_memory_ordered 1
		.amdhsa_forward_progress 1
		.amdhsa_inst_pref_size 78
		.amdhsa_round_robin_scheduling 0
		.amdhsa_exception_fp_ieee_invalid_op 0
		.amdhsa_exception_fp_denorm_src 0
		.amdhsa_exception_fp_ieee_div_zero 0
		.amdhsa_exception_fp_ieee_overflow 0
		.amdhsa_exception_fp_ieee_underflow 0
		.amdhsa_exception_fp_ieee_inexact 0
		.amdhsa_exception_int_div_zero 0
	.end_amdhsa_kernel
	.section	.text._ZL15flash_attn_tileILi256ELi256ELi2ELi4ELb0EEvPKcS1_S1_S1_S1_PKiPfP15HIP_vector_typeIfLj2EEffffjfiS5_IjLj3EEiiiiiiiiiiiliiliiiiil,"axG",@progbits,_ZL15flash_attn_tileILi256ELi256ELi2ELi4ELb0EEvPKcS1_S1_S1_S1_PKiPfP15HIP_vector_typeIfLj2EEffffjfiS5_IjLj3EEiiiiiiiiiiiliiliiiiil,comdat
.Lfunc_end20:
	.size	_ZL15flash_attn_tileILi256ELi256ELi2ELi4ELb0EEvPKcS1_S1_S1_S1_PKiPfP15HIP_vector_typeIfLj2EEffffjfiS5_IjLj3EEiiiiiiiiiiiliiliiiiil, .Lfunc_end20-_ZL15flash_attn_tileILi256ELi256ELi2ELi4ELb0EEvPKcS1_S1_S1_S1_PKiPfP15HIP_vector_typeIfLj2EEffffjfiS5_IjLj3EEiiiiiiiiiiiliiliiiiil
                                        ; -- End function
	.set _ZL15flash_attn_tileILi256ELi256ELi2ELi4ELb0EEvPKcS1_S1_S1_S1_PKiPfP15HIP_vector_typeIfLj2EEffffjfiS5_IjLj3EEiiiiiiiiiiiliiliiiiil.num_vgpr, 118
	.set _ZL15flash_attn_tileILi256ELi256ELi2ELi4ELb0EEvPKcS1_S1_S1_S1_PKiPfP15HIP_vector_typeIfLj2EEffffjfiS5_IjLj3EEiiiiiiiiiiiliiliiiiil.num_agpr, 0
	.set _ZL15flash_attn_tileILi256ELi256ELi2ELi4ELb0EEvPKcS1_S1_S1_S1_PKiPfP15HIP_vector_typeIfLj2EEffffjfiS5_IjLj3EEiiiiiiiiiiiliiliiiiil.numbered_sgpr, 41
	.set _ZL15flash_attn_tileILi256ELi256ELi2ELi4ELb0EEvPKcS1_S1_S1_S1_PKiPfP15HIP_vector_typeIfLj2EEffffjfiS5_IjLj3EEiiiiiiiiiiiliiliiiiil.num_named_barrier, 0
	.set _ZL15flash_attn_tileILi256ELi256ELi2ELi4ELb0EEvPKcS1_S1_S1_S1_PKiPfP15HIP_vector_typeIfLj2EEffffjfiS5_IjLj3EEiiiiiiiiiiiliiliiiiil.private_seg_size, 0
	.set _ZL15flash_attn_tileILi256ELi256ELi2ELi4ELb0EEvPKcS1_S1_S1_S1_PKiPfP15HIP_vector_typeIfLj2EEffffjfiS5_IjLj3EEiiiiiiiiiiiliiliiiiil.uses_vcc, 1
	.set _ZL15flash_attn_tileILi256ELi256ELi2ELi4ELb0EEvPKcS1_S1_S1_S1_PKiPfP15HIP_vector_typeIfLj2EEffffjfiS5_IjLj3EEiiiiiiiiiiiliiliiiiil.uses_flat_scratch, 0
	.set _ZL15flash_attn_tileILi256ELi256ELi2ELi4ELb0EEvPKcS1_S1_S1_S1_PKiPfP15HIP_vector_typeIfLj2EEffffjfiS5_IjLj3EEiiiiiiiiiiiliiliiiiil.has_dyn_sized_stack, 0
	.set _ZL15flash_attn_tileILi256ELi256ELi2ELi4ELb0EEvPKcS1_S1_S1_S1_PKiPfP15HIP_vector_typeIfLj2EEffffjfiS5_IjLj3EEiiiiiiiiiiiliiliiiiil.has_recursion, 0
	.set _ZL15flash_attn_tileILi256ELi256ELi2ELi4ELb0EEvPKcS1_S1_S1_S1_PKiPfP15HIP_vector_typeIfLj2EEffffjfiS5_IjLj3EEiiiiiiiiiiiliiliiiiil.has_indirect_call, 0
	.section	.AMDGPU.csdata,"",@progbits
; Kernel info:
; codeLenInByte = 9924
; TotalNumSgprs: 43
; NumVgprs: 118
; ScratchSize: 0
; MemoryBound: 0
; FloatMode: 240
; IeeeMode: 1
; LDSByteSize: 21504 bytes/workgroup (compile time only)
; SGPRBlocks: 0
; VGPRBlocks: 7
; NumSGPRsForWavesPerEU: 43
; NumVGPRsForWavesPerEU: 118
; NamedBarCnt: 0
; Occupancy: 8
; WaveLimiterHint : 1
; COMPUTE_PGM_RSRC2:SCRATCH_EN: 0
; COMPUTE_PGM_RSRC2:USER_SGPR: 2
; COMPUTE_PGM_RSRC2:TRAP_HANDLER: 0
; COMPUTE_PGM_RSRC2:TGID_X_EN: 1
; COMPUTE_PGM_RSRC2:TGID_Y_EN: 1
; COMPUTE_PGM_RSRC2:TGID_Z_EN: 1
; COMPUTE_PGM_RSRC2:TIDIG_COMP_CNT: 1
	.section	.text._ZL33flash_attn_stream_k_fixup_uniformILi256ELi2ELi4EEvPfPK15HIP_vector_typeIfLj2EEiiiiiiS1_IjLj3EES5_S5_,"axG",@progbits,_ZL33flash_attn_stream_k_fixup_uniformILi256ELi2ELi4EEvPfPK15HIP_vector_typeIfLj2EEiiiiiiS1_IjLj3EES5_S5_,comdat
	.globl	_ZL33flash_attn_stream_k_fixup_uniformILi256ELi2ELi4EEvPfPK15HIP_vector_typeIfLj2EEiiiiiiS1_IjLj3EES5_S5_ ; -- Begin function _ZL33flash_attn_stream_k_fixup_uniformILi256ELi2ELi4EEvPfPK15HIP_vector_typeIfLj2EEiiiiiiS1_IjLj3EES5_S5_
	.p2align	8
	.type	_ZL33flash_attn_stream_k_fixup_uniformILi256ELi2ELi4EEvPfPK15HIP_vector_typeIfLj2EEiiiiiiS1_IjLj3EES5_S5_,@function
_ZL33flash_attn_stream_k_fixup_uniformILi256ELi2ELi4EEvPfPK15HIP_vector_typeIfLj2EEiiiiiiS1_IjLj3EES5_S5_: ; @_ZL33flash_attn_stream_k_fixup_uniformILi256ELi2ELi4EEvPfPK15HIP_vector_typeIfLj2EEiiiiiiS1_IjLj3EES5_S5_
; %bb.0:
	s_load_b256 s[4:11], s[0:1], 0x1c
	s_bfe_u32 s2, ttmp6, 0x40014
	s_lshr_b32 s3, ttmp7, 16
	s_add_co_i32 s2, s2, 1
	s_bfe_u32 s13, ttmp6, 0x40010
	s_mul_i32 s2, s3, s2
	s_bfe_u32 s12, ttmp6, 0x40008
	s_and_b32 s15, ttmp7, 0xffff
	s_add_co_i32 s13, s13, 1
	s_bfe_u32 s14, ttmp6, 0x4000c
	s_add_co_i32 s12, s12, s2
	s_mul_i32 s2, s15, s13
	s_bfe_u32 s13, ttmp6, 0x40004
	s_add_co_i32 s14, s14, 1
	s_add_co_i32 s13, s13, s2
	s_and_b32 s2, ttmp6, 15
	s_mul_i32 s14, ttmp9, s14
	s_getreg_b32 s20, hwreg(HW_REG_IB_STS2, 6, 4)
	s_add_co_i32 s2, s2, s14
	s_load_b128 s[16:19], s[0:1], 0x3c
	s_cmp_eq_u32 s20, 0
	s_cselect_b32 s14, ttmp9, s2
	s_cselect_b32 s13, s15, s13
	s_wait_kmcnt 0x0
	s_mul_hi_u32 s2, s7, s14
	s_cselect_b32 s12, s3, s12
	s_add_co_i32 s2, s14, s2
	s_delay_alu instid0(SALU_CYCLE_1) | instskip(NEXT) | instid1(SALU_CYCLE_1)
	s_lshr_b32 s7, s2, s8
	s_mul_i32 s2, s7, s9
	s_delay_alu instid0(SALU_CYCLE_1) | instskip(NEXT) | instid1(SALU_CYCLE_1)
	s_sub_co_i32 s8, s14, s2
	s_mul_hi_u32 s2, s8, s10
	s_delay_alu instid0(SALU_CYCLE_1) | instskip(SKIP_2) | instid1(SALU_CYCLE_1)
	s_add_co_i32 s9, s8, s2
	s_load_b64 s[2:3], s[0:1], 0x10
	s_lshr_b32 s15, s9, s11
	s_mul_i32 s9, s15, s16
	s_delay_alu instid0(SALU_CYCLE_1) | instskip(NEXT) | instid1(SALU_CYCLE_1)
	s_sub_co_i32 s8, s8, s9
	s_mul_hi_u32 s9, s8, s17
	s_delay_alu instid0(SALU_CYCLE_1) | instskip(NEXT) | instid1(SALU_CYCLE_1)
	s_add_co_i32 s9, s8, s9
	s_lshr_b32 s9, s9, s18
	s_delay_alu instid0(SALU_CYCLE_1) | instskip(SKIP_2) | instid1(SALU_CYCLE_1)
	s_mul_i32 s10, s9, s19
	s_lshl_b32 s17, s9, 2
	s_sub_co_i32 s16, s8, s10
	s_lshl_b32 s8, s16, 1
	s_delay_alu instid0(SALU_CYCLE_1) | instskip(SKIP_4) | instid1(SALU_CYCLE_1)
	s_add_co_i32 s8, s8, s13
	s_wait_kmcnt 0x0
	s_cmp_lt_i32 s8, s2
	s_cselect_b32 s8, -1, 0
	s_add_co_i32 s9, s17, s12
	s_cmp_lt_i32 s9, s5
	s_cselect_b32 s9, -1, 0
	s_delay_alu instid0(SALU_CYCLE_1) | instskip(NEXT) | instid1(SALU_CYCLE_1)
	s_and_b32 s8, s8, s9
	s_and_not1_b32 vcc_lo, exec_lo, s8
	s_cbranch_vccnz .LBB21_6
; %bb.1:
	s_mul_i32 s2, s7, s2
	s_load_b128 s[8:11], s[0:1], 0x0
	s_wait_xcnt 0x0
	s_add_co_i32 s0, s2, s13
	s_mul_i32 s15, s15, s5
	s_mul_i32 s0, s0, s3
	;; [unrolled: 1-line block ×3, first 2 shown]
	s_add_co_i32 s0, s0, s12
	s_lshl_b32 s1, s1, 9
	s_add_co_i32 s0, s0, s15
	s_mul_i32 s7, s6, s14
	s_add_co_i32 s0, s0, s17
	s_lshl_b32 s5, s13, 2
	s_lshl_b32 s0, s0, 8
	s_add_co_i32 s15, s7, s6
	s_add_co_i32 s1, s1, s0
	;; [unrolled: 1-line block ×3, first 2 shown]
	v_or_b32_e32 v4, s1, v0
	s_lshl_b32 s1, s15, 3
	s_add_co_i32 s2, s15, -2
	s_add_co_i32 s0, s0, s1
	s_delay_alu instid0(SALU_CYCLE_1)
	s_add_co_i32 s0, s0, -8
	s_wait_kmcnt 0x0
	global_load_b32 v3, v4, s[8:9] scale_offset
	s_ashr_i32 s1, s0, 31
	v_ashrrev_i32_e32 v5, 31, v4
	s_lshl_b64 s[0:1], s[0:1], 3
	s_cmp_lt_i32 s2, s7
	s_add_nc_u64 s[0:1], s[10:11], s[0:1]
	s_load_b32 s16, s[0:1], 0x4
	s_cbranch_scc1 .LBB21_4
; %bb.2:
	s_wait_xcnt 0x0
	s_load_b32 s0, s[0:1], 0x0
	s_add_co_i32 s14, s14, 1
	s_lshl_b32 s3, s13, 10
	s_wait_xcnt 0x0
	s_mul_i32 s1, s6, s14
	s_lshl_b32 s6, s12, 8
	s_lshl_b32 s13, s1, 11
	s_add_co_i32 s6, s6, s3
	s_lshl_b32 s1, s1, 3
	s_add_co_i32 s6, s6, s13
	s_lshl_b32 s2, s4, 5
	s_wait_kmcnt 0x0
	v_dual_mov_b32 v2, s16 :: v_dual_bitop2_b32 v0, s6, v0 bitop3:0x54
	s_add_co_i32 s1, s12, s1
	s_lshl_b32 s4, s4, 3
	s_ashr_i32 s3, s2, 31
	s_add_co_i32 s1, s1, s4
	v_add_nc_u32_e32 v0, 0xfffff000, v0
	s_lshl_b64 s[2:3], s[2:3], 2
	s_add_co_i32 s4, s1, s5
	s_add_nc_u64 s[2:3], s[10:11], s[2:3]
	s_add_co_i32 s1, s15, -1
	s_add_co_i32 s4, s4, -16
.LBB21_3:                               ; =>This Inner Loop Header: Depth=1
	global_load_b32 v7, v0, s[2:3] scale_offset
	s_ashr_i32 s5, s4, 31
	v_max_num_f32_e64 v1, s0, s0
	s_lshl_b64 s[12:13], s[4:5], 3
	s_delay_alu instid0(SALU_CYCLE_1) | instskip(SKIP_1) | instid1(VALU_DEP_1)
	s_add_nc_u64 s[12:13], s[10:11], s[12:13]
	s_load_b64 s[12:13], s[12:13], 0x0
	v_readfirstlane_b32 s5, v1
	v_add_nc_u32_e32 v0, 0xfffff800, v0
	s_wait_kmcnt 0x0
	v_max_num_f32_e64 v1, s12, s12
	s_delay_alu instid0(VALU_DEP_1) | instskip(SKIP_1) | instid1(SALU_CYCLE_3)
	v_readfirstlane_b32 s6, v1
	s_max_num_f32 s5, s5, s6
	s_sub_f32 s0, s0, s5
	s_sub_f32 s6, s12, s5
	s_delay_alu instid0(SALU_CYCLE_2) | instskip(NEXT) | instid1(SALU_CYCLE_2)
	s_mul_f32 s12, s0, 0x3fb8aa3b
	s_mul_f32 s14, s6, 0x3fb8aa3b
	s_delay_alu instid0(SALU_CYCLE_2)
	s_xor_b32 s15, s12, 0x80000000
	s_rndne_f32 s16, s12
	s_fmamk_f32 s15, s0, 0x3fb8aa3b, s15
	s_cmp_nlt_f32 s0, 0xc2ce8ed0
	s_rndne_f32 s17, s14
	s_sub_f32 s12, s12, s16
	s_fmamk_f32 s15, s0, 0x32a5705f, s15
	s_cselect_b32 vcc_lo, -1, 0
	s_cmp_ngt_f32 s0, 0x42b17218
	s_delay_alu instid0(SALU_CYCLE_1) | instskip(SKIP_2) | instid1(SALU_CYCLE_1)
	s_add_f32 s12, s12, s15
	s_cvt_i32_f32 s15, s16
	s_sub_f32 s16, s14, s17
	v_s_exp_f32 s12, s12
	v_nop
	s_delay_alu instid0(TRANS32_DEP_1) | instskip(SKIP_1) | instid1(VALU_DEP_1)
	v_ldexp_f32 v1, s12, s15
	s_cvt_i32_f32 s12, s17
	v_cndmask_b32_e32 v1, 0, v1, vcc_lo
	s_cselect_b32 vcc_lo, -1, 0
	s_cmp_ge_f32 s0, 0xc1a00000
	s_delay_alu instid0(VALU_DEP_1)
	v_cndmask_b32_e32 v1, 0x7f800000, v1, vcc_lo
	s_cselect_b32 vcc_lo, -1, 0
	s_xor_b32 s0, s14, 0x80000000
	s_cmp_nlt_f32 s6, 0xc2ce8ed0
	s_fmamk_f32 s0, s6, 0x3fb8aa3b, s0
	v_cndmask_b32_e32 v10, 0, v1, vcc_lo
	s_delay_alu instid0(SALU_CYCLE_2) | instskip(NEXT) | instid1(SALU_CYCLE_3)
	s_fmamk_f32 s0, s6, 0x32a5705f, s0
	s_add_f32 s0, s16, s0
	s_delay_alu instid0(SALU_CYCLE_3) | instskip(SKIP_1) | instid1(TRANS32_DEP_1)
	v_s_exp_f32 s0, s0
	v_nop
	v_ldexp_f32 v6, s0, s12
	s_cselect_b32 s0, -1, 0
	s_cmp_ngt_f32 s6, 0x42b17218
	s_delay_alu instid0(VALU_DEP_1) | instskip(SKIP_2) | instid1(VALU_DEP_1)
	v_cndmask_b32_e64 v6, 0, v6, s0
	s_cselect_b32 s0, -1, 0
	s_cmp_ge_f32 s6, 0xc1a00000
	v_cndmask_b32_e64 v8, 0x7f800000, v6, s0
	s_cselect_b32 s0, -1, 0
	v_mov_b32_e32 v6, s13
	s_add_co_i32 s1, s1, -1
	s_add_co_i32 s4, s4, -8
	v_cndmask_b32_e64 v8, 0, v8, s0
	s_cmp_le_i32 s1, s7
	s_mov_b32 s0, s5
	s_wait_loadcnt 0x0
	s_delay_alu instid0(VALU_DEP_1) | instskip(NEXT) | instid1(VALU_DEP_1)
	v_pk_mul_f32 v[6:7], v[6:7], v[8:9] op_sel_hi:[1,0]
	v_pk_fma_f32 v[2:3], v[2:3], v[10:11], v[6:7] op_sel_hi:[1,0,1]
	s_cbranch_scc0 .LBB21_3
	s_branch .LBB21_5
.LBB21_4:
	s_wait_kmcnt 0x0
	v_mov_b32_e32 v2, s16
.LBB21_5:
	v_lshl_add_u64 v[0:1], v[4:5], 2, s[8:9]
	s_wait_loadcnt 0x0
	s_delay_alu instid0(VALU_DEP_2) | instskip(NEXT) | instid1(VALU_DEP_1)
	v_div_scale_f32 v4, null, v2, v2, v3
	v_rcp_f32_e32 v5, v4
	v_nop
	s_delay_alu instid0(TRANS32_DEP_1) | instskip(NEXT) | instid1(VALU_DEP_1)
	v_fma_f32 v6, -v4, v5, 1.0
	v_fmac_f32_e32 v5, v6, v5
	v_div_scale_f32 v6, vcc_lo, v3, v2, v3
	s_delay_alu instid0(VALU_DEP_1) | instskip(NEXT) | instid1(VALU_DEP_1)
	v_mul_f32_e32 v7, v6, v5
	v_fma_f32 v8, -v4, v7, v6
	s_delay_alu instid0(VALU_DEP_1) | instskip(NEXT) | instid1(VALU_DEP_1)
	v_fmac_f32_e32 v7, v8, v5
	v_fma_f32 v4, -v4, v7, v6
	s_delay_alu instid0(VALU_DEP_1) | instskip(NEXT) | instid1(VALU_DEP_1)
	v_div_fmas_f32 v4, v4, v5, v7
	v_div_fixup_f32 v2, v4, v2, v3
	global_store_b32 v[0:1], v2, off
.LBB21_6:
	s_endpgm
	.section	.rodata,"a",@progbits
	.p2align	6, 0x0
	.amdhsa_kernel _ZL33flash_attn_stream_k_fixup_uniformILi256ELi2ELi4EEvPfPK15HIP_vector_typeIfLj2EEiiiiiiS1_IjLj3EES5_S5_
		.amdhsa_group_segment_fixed_size 0
		.amdhsa_private_segment_fixed_size 0
		.amdhsa_kernarg_size 76
		.amdhsa_user_sgpr_count 2
		.amdhsa_user_sgpr_dispatch_ptr 0
		.amdhsa_user_sgpr_queue_ptr 0
		.amdhsa_user_sgpr_kernarg_segment_ptr 1
		.amdhsa_user_sgpr_dispatch_id 0
		.amdhsa_user_sgpr_kernarg_preload_length 0
		.amdhsa_user_sgpr_kernarg_preload_offset 0
		.amdhsa_user_sgpr_private_segment_size 0
		.amdhsa_wavefront_size32 1
		.amdhsa_uses_dynamic_stack 0
		.amdhsa_enable_private_segment 0
		.amdhsa_system_sgpr_workgroup_id_x 1
		.amdhsa_system_sgpr_workgroup_id_y 1
		.amdhsa_system_sgpr_workgroup_id_z 1
		.amdhsa_system_sgpr_workgroup_info 0
		.amdhsa_system_vgpr_workitem_id 0
		.amdhsa_next_free_vgpr 12
		.amdhsa_next_free_sgpr 21
		.amdhsa_named_barrier_count 0
		.amdhsa_reserve_vcc 1
		.amdhsa_float_round_mode_32 0
		.amdhsa_float_round_mode_16_64 0
		.amdhsa_float_denorm_mode_32 3
		.amdhsa_float_denorm_mode_16_64 3
		.amdhsa_fp16_overflow 0
		.amdhsa_memory_ordered 1
		.amdhsa_forward_progress 1
		.amdhsa_inst_pref_size 9
		.amdhsa_round_robin_scheduling 0
		.amdhsa_exception_fp_ieee_invalid_op 0
		.amdhsa_exception_fp_denorm_src 0
		.amdhsa_exception_fp_ieee_div_zero 0
		.amdhsa_exception_fp_ieee_overflow 0
		.amdhsa_exception_fp_ieee_underflow 0
		.amdhsa_exception_fp_ieee_inexact 0
		.amdhsa_exception_int_div_zero 0
	.end_amdhsa_kernel
	.section	.text._ZL33flash_attn_stream_k_fixup_uniformILi256ELi2ELi4EEvPfPK15HIP_vector_typeIfLj2EEiiiiiiS1_IjLj3EES5_S5_,"axG",@progbits,_ZL33flash_attn_stream_k_fixup_uniformILi256ELi2ELi4EEvPfPK15HIP_vector_typeIfLj2EEiiiiiiS1_IjLj3EES5_S5_,comdat
.Lfunc_end21:
	.size	_ZL33flash_attn_stream_k_fixup_uniformILi256ELi2ELi4EEvPfPK15HIP_vector_typeIfLj2EEiiiiiiS1_IjLj3EES5_S5_, .Lfunc_end21-_ZL33flash_attn_stream_k_fixup_uniformILi256ELi2ELi4EEvPfPK15HIP_vector_typeIfLj2EEiiiiiiS1_IjLj3EES5_S5_
                                        ; -- End function
	.set _ZL33flash_attn_stream_k_fixup_uniformILi256ELi2ELi4EEvPfPK15HIP_vector_typeIfLj2EEiiiiiiS1_IjLj3EES5_S5_.num_vgpr, 12
	.set _ZL33flash_attn_stream_k_fixup_uniformILi256ELi2ELi4EEvPfPK15HIP_vector_typeIfLj2EEiiiiiiS1_IjLj3EES5_S5_.num_agpr, 0
	.set _ZL33flash_attn_stream_k_fixup_uniformILi256ELi2ELi4EEvPfPK15HIP_vector_typeIfLj2EEiiiiiiS1_IjLj3EES5_S5_.numbered_sgpr, 21
	.set _ZL33flash_attn_stream_k_fixup_uniformILi256ELi2ELi4EEvPfPK15HIP_vector_typeIfLj2EEiiiiiiS1_IjLj3EES5_S5_.num_named_barrier, 0
	.set _ZL33flash_attn_stream_k_fixup_uniformILi256ELi2ELi4EEvPfPK15HIP_vector_typeIfLj2EEiiiiiiS1_IjLj3EES5_S5_.private_seg_size, 0
	.set _ZL33flash_attn_stream_k_fixup_uniformILi256ELi2ELi4EEvPfPK15HIP_vector_typeIfLj2EEiiiiiiS1_IjLj3EES5_S5_.uses_vcc, 1
	.set _ZL33flash_attn_stream_k_fixup_uniformILi256ELi2ELi4EEvPfPK15HIP_vector_typeIfLj2EEiiiiiiS1_IjLj3EES5_S5_.uses_flat_scratch, 0
	.set _ZL33flash_attn_stream_k_fixup_uniformILi256ELi2ELi4EEvPfPK15HIP_vector_typeIfLj2EEiiiiiiS1_IjLj3EES5_S5_.has_dyn_sized_stack, 0
	.set _ZL33flash_attn_stream_k_fixup_uniformILi256ELi2ELi4EEvPfPK15HIP_vector_typeIfLj2EEiiiiiiS1_IjLj3EES5_S5_.has_recursion, 0
	.set _ZL33flash_attn_stream_k_fixup_uniformILi256ELi2ELi4EEvPfPK15HIP_vector_typeIfLj2EEiiiiiiS1_IjLj3EES5_S5_.has_indirect_call, 0
	.section	.AMDGPU.csdata,"",@progbits
; Kernel info:
; codeLenInByte = 1092
; TotalNumSgprs: 23
; NumVgprs: 12
; ScratchSize: 0
; MemoryBound: 0
; FloatMode: 240
; IeeeMode: 1
; LDSByteSize: 0 bytes/workgroup (compile time only)
; SGPRBlocks: 0
; VGPRBlocks: 0
; NumSGPRsForWavesPerEU: 23
; NumVGPRsForWavesPerEU: 12
; NamedBarCnt: 0
; Occupancy: 16
; WaveLimiterHint : 0
; COMPUTE_PGM_RSRC2:SCRATCH_EN: 0
; COMPUTE_PGM_RSRC2:USER_SGPR: 2
; COMPUTE_PGM_RSRC2:TRAP_HANDLER: 0
; COMPUTE_PGM_RSRC2:TGID_X_EN: 1
; COMPUTE_PGM_RSRC2:TGID_Y_EN: 1
; COMPUTE_PGM_RSRC2:TGID_Z_EN: 1
; COMPUTE_PGM_RSRC2:TIDIG_COMP_CNT: 0
	.section	.text._ZL33flash_attn_stream_k_fixup_generalILi256ELi2ELi4EEvPfPK15HIP_vector_typeIfLj2EEiiiiS1_IjLj3EES5_S5_S5_,"axG",@progbits,_ZL33flash_attn_stream_k_fixup_generalILi256ELi2ELi4EEvPfPK15HIP_vector_typeIfLj2EEiiiiS1_IjLj3EES5_S5_S5_,comdat
	.globl	_ZL33flash_attn_stream_k_fixup_generalILi256ELi2ELi4EEvPfPK15HIP_vector_typeIfLj2EEiiiiS1_IjLj3EES5_S5_S5_ ; -- Begin function _ZL33flash_attn_stream_k_fixup_generalILi256ELi2ELi4EEvPfPK15HIP_vector_typeIfLj2EEiiiiS1_IjLj3EES5_S5_S5_
	.p2align	8
	.type	_ZL33flash_attn_stream_k_fixup_generalILi256ELi2ELi4EEvPfPK15HIP_vector_typeIfLj2EEiiiiS1_IjLj3EES5_S5_S5_,@function
_ZL33flash_attn_stream_k_fixup_generalILi256ELi2ELi4EEvPfPK15HIP_vector_typeIfLj2EEiiiiS1_IjLj3EES5_S5_S5_: ; @_ZL33flash_attn_stream_k_fixup_generalILi256ELi2ELi4EEvPfPK15HIP_vector_typeIfLj2EEiiiiS1_IjLj3EES5_S5_S5_
; %bb.0:
	s_clause 0x1
	s_load_b128 s[4:7], s[0:1], 0x10
	s_load_b32 s16, s[0:1], 0x50
	s_bfe_u32 s2, ttmp6, 0x4000c
	s_and_b32 s3, ttmp6, 15
	s_add_co_i32 s2, s2, 1
	s_getreg_b32 s15, hwreg(HW_REG_IB_STS2, 6, 4)
	s_mul_i32 s2, ttmp9, s2
	s_mov_b32 s17, 0
	s_add_co_i32 s3, s3, s2
	s_cmp_eq_u32 s15, 0
	s_cselect_b32 s2, ttmp9, s3
	s_delay_alu instid0(SALU_CYCLE_1) | instskip(SKIP_3) | instid1(SALU_CYCLE_1)
	s_ashr_i32 s3, s2, 31
	s_wait_kmcnt 0x0
	s_ashr_i32 s19, s7, 31
	s_mov_b32 s18, s7
	s_mul_u64 s[8:9], s[18:19], s[2:3]
	s_delay_alu instid0(SALU_CYCLE_1) | instskip(NEXT) | instid1(SALU_CYCLE_1)
	s_and_b64 s[10:11], s[8:9], 0xffffffff00000000
	s_cmp_lg_u64 s[10:11], 0
	s_cbranch_scc0 .LBB22_21
; %bb.1:
	s_add_nc_u64 s[10:11], s[16:17], 0
	s_mov_b32 s23, s17
	s_xor_b64 s[10:11], s[10:11], 0
	s_mov_b32 s27, s17
	s_cvt_f32_u32 s3, s10
	s_cvt_f32_u32 s7, s11
	s_sub_nc_u64 s[20:21], 0, s[10:11]
	s_delay_alu instid0(SALU_CYCLE_2) | instskip(NEXT) | instid1(SALU_CYCLE_3)
	s_fmamk_f32 s3, s7, 0x4f800000, s3
	v_s_rcp_f32 s3, s3
	s_delay_alu instid0(TRANS32_DEP_1) | instskip(NEXT) | instid1(SALU_CYCLE_3)
	s_mul_f32 s3, s3, 0x5f7ffffc
	s_mul_f32 s7, s3, 0x2f800000
	s_delay_alu instid0(SALU_CYCLE_3) | instskip(NEXT) | instid1(SALU_CYCLE_3)
	s_trunc_f32 s7, s7
	s_fmamk_f32 s3, s7, 0xcf800000, s3
	s_cvt_u32_f32 s13, s7
	s_delay_alu instid0(SALU_CYCLE_2) | instskip(NEXT) | instid1(SALU_CYCLE_3)
	s_cvt_u32_f32 s12, s3
	s_mul_u64 s[24:25], s[20:21], s[12:13]
	s_delay_alu instid0(SALU_CYCLE_1)
	s_mul_hi_u32 s29, s12, s25
	s_mul_i32 s28, s12, s25
	s_mul_hi_u32 s22, s12, s24
	s_mul_i32 s7, s13, s24
	s_add_nc_u64 s[22:23], s[22:23], s[28:29]
	s_mul_hi_u32 s3, s13, s24
	s_mul_hi_u32 s14, s13, s25
	s_add_co_u32 s7, s22, s7
	s_add_co_ci_u32 s26, s23, s3
	s_mul_i32 s24, s13, s25
	s_add_co_ci_u32 s25, s14, 0
	s_delay_alu instid0(SALU_CYCLE_1) | instskip(SKIP_3) | instid1(SALU_CYCLE_1)
	s_add_nc_u64 s[22:23], s[26:27], s[24:25]
	s_mov_b32 s25, s17
	s_add_co_u32 s12, s12, s22
	s_cselect_b32 s3, -1, 0
	s_cmp_lg_u32 s3, 0
	s_add_co_ci_u32 s13, s13, s23
	s_mov_b32 s23, s17
	s_mul_u64 s[20:21], s[20:21], s[12:13]
	s_delay_alu instid0(SALU_CYCLE_1)
	s_mul_hi_u32 s27, s12, s21
	s_mul_i32 s26, s12, s21
	s_mul_hi_u32 s22, s12, s20
	s_mul_i32 s7, s13, s20
	s_add_nc_u64 s[22:23], s[22:23], s[26:27]
	s_mul_hi_u32 s3, s13, s20
	s_mul_hi_u32 s14, s13, s21
	s_add_co_u32 s7, s22, s7
	s_add_co_ci_u32 s24, s23, s3
	s_mul_i32 s20, s13, s21
	s_add_co_ci_u32 s21, s14, 0
	s_mov_b32 s23, s17
	s_add_nc_u64 s[20:21], s[24:25], s[20:21]
	s_delay_alu instid0(SALU_CYCLE_1) | instskip(SKIP_1) | instid1(SALU_CYCLE_1)
	s_add_co_u32 s3, s12, s20
	s_cselect_b32 s7, -1, 0
	s_cmp_lg_u32 s7, 0
	s_add_co_ci_u32 s7, s13, s21
	s_ashr_i32 s12, s9, 31
	s_delay_alu instid0(SALU_CYCLE_1) | instskip(NEXT) | instid1(SALU_CYCLE_1)
	s_mov_b32 s13, s12
	s_add_nc_u64 s[20:21], s[8:9], s[12:13]
	s_delay_alu instid0(SALU_CYCLE_1) | instskip(NEXT) | instid1(SALU_CYCLE_1)
	s_xor_b64 s[20:21], s[20:21], s[12:13]
	s_mul_hi_u32 s27, s20, s7
	s_mul_i32 s26, s20, s7
	s_mul_hi_u32 s22, s20, s3
	s_mul_hi_u32 s14, s21, s3
	s_mul_i32 s3, s21, s3
	s_add_nc_u64 s[22:23], s[22:23], s[26:27]
	s_mul_hi_u32 s9, s21, s7
	s_add_co_u32 s3, s22, s3
	s_add_co_ci_u32 s24, s23, s14
	s_mul_i32 s26, s21, s7
	s_add_co_ci_u32 s27, s9, 0
	s_delay_alu instid0(SALU_CYCLE_1) | instskip(NEXT) | instid1(SALU_CYCLE_1)
	s_add_nc_u64 s[22:23], s[24:25], s[26:27]
	s_and_b64 s[24:25], s[22:23], 0xffffffff00000000
	s_delay_alu instid0(SALU_CYCLE_1) | instskip(NEXT) | instid1(SALU_CYCLE_1)
	s_or_b32 s24, s24, s22
	s_mul_u64 s[22:23], s[10:11], s[24:25]
	s_add_nc_u64 s[26:27], s[24:25], 1
	s_sub_co_u32 s3, s20, s22
	s_cselect_b32 s7, -1, 0
	s_sub_co_i32 s9, s21, s23
	s_cmp_lg_u32 s7, 0
	s_add_nc_u64 s[28:29], s[24:25], 2
	s_sub_co_ci_u32 s9, s9, s11
	s_sub_co_u32 s14, s3, s10
	s_cselect_b32 s20, -1, 0
	s_delay_alu instid0(SALU_CYCLE_1) | instskip(SKIP_1) | instid1(SALU_CYCLE_1)
	s_cmp_lg_u32 s20, 0
	s_sub_co_ci_u32 s9, s9, 0
	s_cmp_ge_u32 s9, s11
	s_cselect_b32 s20, -1, 0
	s_cmp_ge_u32 s14, s10
	s_cselect_b32 s14, -1, 0
	s_cmp_eq_u32 s9, s11
	s_cselect_b32 s9, s14, s20
	s_delay_alu instid0(SALU_CYCLE_1) | instskip(SKIP_4) | instid1(SALU_CYCLE_1)
	s_cmp_lg_u32 s9, 0
	s_cselect_b32 s9, s28, s26
	s_cselect_b32 s14, s29, s27
	s_cmp_lg_u32 s7, 0
	s_sub_co_ci_u32 s7, s21, s23
	s_cmp_ge_u32 s7, s11
	s_cselect_b32 s20, -1, 0
	s_cmp_ge_u32 s3, s10
	s_cselect_b32 s3, -1, 0
	s_cmp_eq_u32 s7, s11
	s_cselect_b32 s3, s3, s20
	s_delay_alu instid0(SALU_CYCLE_1) | instskip(SKIP_4) | instid1(SALU_CYCLE_1)
	s_cmp_lg_u32 s3, 0
	s_mov_b32 s3, s17
	s_cselect_b32 s11, s14, s25
	s_cselect_b32 s10, s9, s24
	s_xor_b64 s[12:13], s[12:13], 0
	s_xor_b64 s[10:11], s[10:11], s[12:13]
	s_delay_alu instid0(SALU_CYCLE_1)
	s_sub_nc_u64 s[20:21], s[10:11], s[12:13]
	s_and_not1_b32 vcc_lo, exec_lo, s3
	s_cbranch_vccnz .LBB22_3
.LBB22_2:
	v_cvt_f32_u32_e32 v1, s16
	s_sub_co_i32 s7, 0, s16
	s_mov_b32 s21, 0
	s_delay_alu instid0(VALU_DEP_1) | instskip(SKIP_1) | instid1(TRANS32_DEP_1)
	v_rcp_iflag_f32_e32 v1, v1
	v_nop
	v_mul_f32_e32 v1, 0x4f7ffffe, v1
	s_delay_alu instid0(VALU_DEP_1) | instskip(NEXT) | instid1(VALU_DEP_1)
	v_cvt_u32_f32_e32 v1, v1
	v_readfirstlane_b32 s3, v1
	s_mul_i32 s7, s7, s3
	s_delay_alu instid0(SALU_CYCLE_1) | instskip(NEXT) | instid1(SALU_CYCLE_1)
	s_mul_hi_u32 s7, s3, s7
	s_add_co_i32 s3, s3, s7
	s_delay_alu instid0(SALU_CYCLE_1) | instskip(NEXT) | instid1(SALU_CYCLE_1)
	s_mul_hi_u32 s3, s8, s3
	s_mul_i32 s7, s3, s16
	s_delay_alu instid0(SALU_CYCLE_1)
	s_sub_co_i32 s7, s8, s7
	s_add_co_i32 s8, s3, 1
	s_sub_co_i32 s9, s7, s16
	s_cmp_ge_u32 s7, s16
	s_cselect_b32 s3, s8, s3
	s_cselect_b32 s7, s9, s7
	s_add_co_i32 s8, s3, 1
	s_cmp_ge_u32 s7, s16
	s_cselect_b32 s20, s8, s3
.LBB22_3:
	s_add_co_i32 s8, s2, 1
	s_delay_alu instid0(SALU_CYCLE_1) | instskip(NEXT) | instid1(SALU_CYCLE_1)
	s_ashr_i32 s9, s8, 31
	s_mul_u64 s[8:9], s[18:19], s[8:9]
	s_delay_alu instid0(SALU_CYCLE_1) | instskip(NEXT) | instid1(SALU_CYCLE_1)
	s_and_b64 s[10:11], s[8:9], 0xffffffff00000000
	s_cmp_lg_u64 s[10:11], 0
	s_cbranch_scc0 .LBB22_22
; %bb.4:
	s_add_nc_u64 s[10:11], s[16:17], 0
	s_delay_alu instid0(SALU_CYCLE_1) | instskip(SKIP_4) | instid1(SALU_CYCLE_2)
	s_xor_b64 s[12:13], s[10:11], 0
	s_mov_b32 s11, 0
	s_cvt_f32_u32 s3, s12
	s_cvt_f32_u32 s7, s13
	s_sub_nc_u64 s[24:25], 0, s[12:13]
	s_fmamk_f32 s3, s7, 0x4f800000, s3
	s_delay_alu instid0(SALU_CYCLE_3) | instskip(NEXT) | instid1(TRANS32_DEP_1)
	v_s_rcp_f32 s3, s3
	s_mul_f32 s3, s3, 0x5f7ffffc
	s_delay_alu instid0(SALU_CYCLE_3) | instskip(NEXT) | instid1(SALU_CYCLE_3)
	s_mul_f32 s7, s3, 0x2f800000
	s_trunc_f32 s7, s7
	s_delay_alu instid0(SALU_CYCLE_3) | instskip(SKIP_1) | instid1(SALU_CYCLE_2)
	s_fmamk_f32 s3, s7, 0xcf800000, s3
	s_cvt_u32_f32 s23, s7
	s_cvt_u32_f32 s22, s3
	s_delay_alu instid0(SALU_CYCLE_3) | instskip(NEXT) | instid1(SALU_CYCLE_1)
	s_mul_u64 s[26:27], s[24:25], s[22:23]
	s_mul_hi_u32 s29, s22, s27
	s_mul_i32 s28, s22, s27
	s_mul_hi_u32 s10, s22, s26
	s_mul_i32 s7, s23, s26
	s_add_nc_u64 s[28:29], s[10:11], s[28:29]
	s_mul_hi_u32 s3, s23, s26
	s_mul_hi_u32 s14, s23, s27
	s_add_co_u32 s7, s28, s7
	s_add_co_ci_u32 s10, s29, s3
	s_mul_i32 s26, s23, s27
	s_add_co_ci_u32 s27, s14, 0
	s_delay_alu instid0(SALU_CYCLE_1) | instskip(NEXT) | instid1(SALU_CYCLE_1)
	s_add_nc_u64 s[26:27], s[10:11], s[26:27]
	s_add_co_u32 s22, s22, s26
	s_cselect_b32 s3, -1, 0
	s_delay_alu instid0(SALU_CYCLE_1) | instskip(SKIP_1) | instid1(SALU_CYCLE_1)
	s_cmp_lg_u32 s3, 0
	s_add_co_ci_u32 s23, s23, s27
	s_mul_u64 s[24:25], s[24:25], s[22:23]
	s_delay_alu instid0(SALU_CYCLE_1)
	s_mul_hi_u32 s27, s22, s25
	s_mul_i32 s26, s22, s25
	s_mul_hi_u32 s10, s22, s24
	s_mul_i32 s7, s23, s24
	s_add_nc_u64 s[26:27], s[10:11], s[26:27]
	s_mul_hi_u32 s3, s23, s24
	s_mul_hi_u32 s14, s23, s25
	s_add_co_u32 s7, s26, s7
	s_add_co_ci_u32 s10, s27, s3
	s_mul_i32 s24, s23, s25
	s_add_co_ci_u32 s25, s14, 0
	s_delay_alu instid0(SALU_CYCLE_1) | instskip(NEXT) | instid1(SALU_CYCLE_1)
	s_add_nc_u64 s[24:25], s[10:11], s[24:25]
	s_add_co_u32 s3, s22, s24
	s_cselect_b32 s7, -1, 0
	s_delay_alu instid0(SALU_CYCLE_1) | instskip(SKIP_2) | instid1(SALU_CYCLE_1)
	s_cmp_lg_u32 s7, 0
	s_add_co_ci_u32 s7, s23, s25
	s_ashr_i32 s22, s9, 31
	s_mov_b32 s23, s22
	s_delay_alu instid0(SALU_CYCLE_1) | instskip(NEXT) | instid1(SALU_CYCLE_1)
	s_add_nc_u64 s[24:25], s[8:9], s[22:23]
	s_xor_b64 s[24:25], s[24:25], s[22:23]
	s_delay_alu instid0(SALU_CYCLE_1)
	s_mul_hi_u32 s27, s24, s7
	s_mul_i32 s26, s24, s7
	s_mul_hi_u32 s10, s24, s3
	s_mul_hi_u32 s14, s25, s3
	s_mul_i32 s3, s25, s3
	s_add_nc_u64 s[26:27], s[10:11], s[26:27]
	s_mul_hi_u32 s9, s25, s7
	s_add_co_u32 s3, s26, s3
	s_add_co_ci_u32 s10, s27, s14
	s_mul_i32 s28, s25, s7
	s_add_co_ci_u32 s29, s9, 0
	s_delay_alu instid0(SALU_CYCLE_1) | instskip(NEXT) | instid1(SALU_CYCLE_1)
	s_add_nc_u64 s[26:27], s[10:11], s[28:29]
	s_and_b64 s[28:29], s[26:27], 0xffffffff00000000
	s_delay_alu instid0(SALU_CYCLE_1) | instskip(NEXT) | instid1(SALU_CYCLE_1)
	s_or_b32 s28, s28, s26
	s_mul_u64 s[26:27], s[12:13], s[28:29]
	s_add_nc_u64 s[30:31], s[28:29], 1
	s_sub_co_u32 s3, s24, s26
	s_cselect_b32 s7, -1, 0
	s_sub_co_i32 s9, s25, s27
	s_cmp_lg_u32 s7, 0
	s_add_nc_u64 s[34:35], s[28:29], 2
	s_sub_co_ci_u32 s9, s9, s13
	s_sub_co_u32 s10, s3, s12
	s_cselect_b32 s14, -1, 0
	s_delay_alu instid0(SALU_CYCLE_1) | instskip(SKIP_1) | instid1(SALU_CYCLE_1)
	s_cmp_lg_u32 s14, 0
	s_sub_co_ci_u32 s9, s9, 0
	s_cmp_ge_u32 s9, s13
	s_cselect_b32 s14, -1, 0
	s_cmp_ge_u32 s10, s12
	s_cselect_b32 s10, -1, 0
	s_cmp_eq_u32 s9, s13
	s_cselect_b32 s9, s10, s14
	s_delay_alu instid0(SALU_CYCLE_1) | instskip(SKIP_4) | instid1(SALU_CYCLE_1)
	s_cmp_lg_u32 s9, 0
	s_cselect_b32 s9, s34, s30
	s_cselect_b32 s10, s35, s31
	s_cmp_lg_u32 s7, 0
	s_sub_co_ci_u32 s7, s25, s27
	s_cmp_ge_u32 s7, s13
	s_cselect_b32 s14, -1, 0
	s_cmp_ge_u32 s3, s12
	s_cselect_b32 s3, -1, 0
	s_cmp_eq_u32 s7, s13
	s_cselect_b32 s3, s3, s14
	s_delay_alu instid0(SALU_CYCLE_1) | instskip(SKIP_3) | instid1(SALU_CYCLE_1)
	s_cmp_lg_u32 s3, 0
	s_cselect_b32 s13, s10, s29
	s_cselect_b32 s12, s9, s28
	s_xor_b64 s[22:23], s[22:23], 0
	s_xor_b64 s[12:13], s[12:13], s[22:23]
	s_delay_alu instid0(SALU_CYCLE_1)
	s_sub_nc_u64 s[24:25], s[12:13], s[22:23]
	s_load_b96 s[12:14], s[0:1], 0x44
	s_cbranch_execnz .LBB22_6
.LBB22_5:
	v_cvt_f32_u32_e32 v1, s16
	s_sub_co_i32 s7, 0, s16
	s_delay_alu instid0(VALU_DEP_1) | instskip(SKIP_1) | instid1(TRANS32_DEP_1)
	v_rcp_iflag_f32_e32 v1, v1
	v_nop
	v_mul_f32_e32 v1, 0x4f7ffffe, v1
	s_delay_alu instid0(VALU_DEP_1) | instskip(NEXT) | instid1(VALU_DEP_1)
	v_cvt_u32_f32_e32 v1, v1
	v_readfirstlane_b32 s3, v1
	s_mul_i32 s7, s7, s3
	s_delay_alu instid0(SALU_CYCLE_1) | instskip(NEXT) | instid1(SALU_CYCLE_1)
	s_mul_hi_u32 s7, s3, s7
	s_add_co_i32 s3, s3, s7
	s_delay_alu instid0(SALU_CYCLE_1) | instskip(NEXT) | instid1(SALU_CYCLE_1)
	s_mul_hi_u32 s3, s8, s3
	s_mul_i32 s7, s3, s16
	s_delay_alu instid0(SALU_CYCLE_1)
	s_sub_co_i32 s7, s8, s7
	s_add_co_i32 s8, s3, 1
	s_sub_co_i32 s9, s7, s16
	s_cmp_ge_u32 s7, s16
	s_cselect_b32 s3, s8, s3
	s_cselect_b32 s7, s9, s7
	s_add_co_i32 s8, s3, 1
	s_cmp_ge_u32 s7, s16
	s_cselect_b32 s24, s8, s3
.LBB22_6:
	s_delay_alu instid0(SALU_CYCLE_1)
	s_cmp_eq_u32 s20, s24
	s_mov_b64 s[8:9], 0xffffffff
	s_cselect_b32 s3, -1, 0
	s_and_b64 s[8:9], s[20:21], s[8:9]
	s_mov_b32 s23, 0
	s_wait_kmcnt 0x0
	s_mov_b32 s22, s12
	s_mov_b32 s25, s23
	s_mul_u64 s[10:11], s[8:9], s[22:23]
	s_delay_alu instid0(SALU_CYCLE_1) | instskip(SKIP_2) | instid1(SALU_CYCLE_1)
	s_add_co_i32 s7, s11, s20
	s_mul_u64 s[10:11], s[24:25], s[22:23]
	s_lshr_b32 s12, s7, s13
	s_mul_i32 s7, s12, s14
	s_delay_alu instid0(SALU_CYCLE_1) | instskip(SKIP_2) | instid1(SALU_CYCLE_1)
	s_cmp_eq_u32 s7, s20
	s_cselect_b32 s7, -1, 0
	s_add_co_i32 s10, s11, s24
	s_lshr_b32 s10, s10, s13
	s_delay_alu instid0(SALU_CYCLE_1)
	s_cmp_eq_u32 s12, s10
	s_mul_i32 s10, s10, s14
	s_cselect_b32 s11, -1, 0
	s_cmp_lg_u32 s10, s24
	s_cselect_b32 s10, -1, 0
	s_or_b32 s3, s3, s7
	s_and_b32 s10, s11, s10
	s_delay_alu instid0(SALU_CYCLE_1) | instskip(NEXT) | instid1(SALU_CYCLE_1)
	s_or_b32 s3, s3, s10
	s_and_b32 vcc_lo, exec_lo, s3
	s_cbranch_vccnz .LBB22_24
; %bb.7:
	s_load_b256 s[24:31], s[0:1], 0x20
	s_bfe_u32 s7, ttmp6, 0x40014
	s_bfe_u32 s33, ttmp6, 0x40010
	s_lshr_b32 s3, ttmp7, 16
	s_add_co_i32 s7, s7, 1
	s_and_b32 s21, ttmp7, 0xffff
	s_add_co_i32 s33, s33, 1
	s_bfe_u32 s10, ttmp6, 0x40008
	s_mul_i32 s7, s3, s7
	s_bfe_u32 s34, ttmp6, 0x40004
	s_mul_i32 s33, s21, s33
	s_mov_b32 s11, s23
	s_add_co_i32 s35, s10, s7
	s_add_co_i32 s34, s34, s33
	s_cmp_eq_u32 s15, 0
	s_cselect_b32 s7, s21, s34
	s_cselect_b32 s3, s3, s35
	s_wait_kmcnt 0x0
	s_mov_b32 s10, s24
	s_delay_alu instid0(SALU_CYCLE_1) | instskip(NEXT) | instid1(SALU_CYCLE_1)
	s_mul_u64 s[8:9], s[8:9], s[10:11]
	s_add_co_i32 s8, s9, s20
	s_load_b32 s9, s[0:1], 0x40
	s_lshr_b32 s8, s8, s25
	s_delay_alu instid0(SALU_CYCLE_1) | instskip(NEXT) | instid1(SALU_CYCLE_1)
	s_mul_i32 s10, s8, s26
	s_sub_co_i32 s10, s20, s10
	s_delay_alu instid0(SALU_CYCLE_1) | instskip(NEXT) | instid1(SALU_CYCLE_1)
	s_mul_hi_u32 s11, s10, s27
	s_add_co_i32 s11, s10, s11
	s_delay_alu instid0(SALU_CYCLE_1) | instskip(NEXT) | instid1(SALU_CYCLE_1)
	s_lshr_b32 s15, s11, s28
	s_mul_i32 s11, s15, s29
	s_delay_alu instid0(SALU_CYCLE_1) | instskip(NEXT) | instid1(SALU_CYCLE_1)
	s_sub_co_i32 s10, s10, s11
	s_mul_hi_u32 s11, s10, s30
	s_delay_alu instid0(SALU_CYCLE_1) | instskip(NEXT) | instid1(SALU_CYCLE_1)
	s_add_co_i32 s11, s10, s11
	s_lshr_b32 s26, s11, s31
	s_mov_b32 s11, s23
	s_wait_kmcnt 0x0
	s_mul_i32 s9, s26, s9
	s_delay_alu instid0(SALU_CYCLE_1) | instskip(NEXT) | instid1(SALU_CYCLE_1)
	s_sub_co_i32 s10, s10, s9
	s_mul_u64 s[24:25], s[10:11], s[22:23]
	s_lshl_b32 s24, s26, 2
	s_add_co_i32 s9, s10, s25
	s_delay_alu instid0(SALU_CYCLE_1) | instskip(NEXT) | instid1(SALU_CYCLE_1)
	s_lshr_b32 s21, s9, s13
	s_lshl_b32 s9, s21, 1
	s_delay_alu instid0(SALU_CYCLE_1) | instskip(NEXT) | instid1(SALU_CYCLE_1)
	s_add_co_i32 s9, s9, s7
	s_cmp_lt_i32 s9, s4
	s_cselect_b32 s9, -1, 0
	s_add_co_i32 s10, s24, s3
	s_delay_alu instid0(SALU_CYCLE_1) | instskip(SKIP_1) | instid1(SALU_CYCLE_1)
	s_cmp_lt_i32 s10, s6
	s_cselect_b32 s10, -1, 0
	s_and_b32 s9, s9, s10
	s_delay_alu instid0(SALU_CYCLE_1)
	s_and_not1_b32 vcc_lo, exec_lo, s9
	s_cbranch_vccnz .LBB22_24
; %bb.8:
	s_mul_i32 s4, s8, s4
	s_load_b128 s[8:11], s[0:1], 0x0
	s_wait_xcnt 0x0
	s_add_co_i32 s0, s4, s7
	s_mul_i32 s15, s15, s6
	s_mul_i32 s0, s0, s5
	;; [unrolled: 1-line block ×3, first 2 shown]
	s_add_co_i32 s0, s0, s3
	s_lshl_b32 s1, s1, 9
	s_add_co_i32 s0, s0, s15
	s_lshl_b32 s15, s7, 2
	s_add_co_i32 s0, s0, s24
	s_add_co_i32 s15, s15, s3
	s_lshl_b32 s0, s0, 8
	v_lshl_or_b32 v6, s15, 8, v0
	s_add_co_i32 s1, s1, s0
	v_cvt_f32_u32_e32 v4, s16
	v_or_b32_e32 v2, s1, v0
	s_add_nc_u64 s[0:1], s[16:17], 0
	s_lshl_b32 s24, s16, 5
	s_xor_b64 s[6:7], s[0:1], 0
	s_lshl_b32 s0, s2, 3
	s_cvt_f32_u32 s3, s6
	s_add_co_i32 s0, s15, s0
	s_cvt_f32_u32 s4, s7
	s_ashr_i32 s1, s0, 31
	v_rcp_iflag_f32_e32 v4, v4
	s_lshl_b64 s[0:1], s[0:1], 3
	s_fmamk_f32 s3, s4, 0x4f800000, s3
	s_wait_kmcnt 0x0
	s_add_nc_u64 s[0:1], s[10:11], s[0:1]
	s_mov_b32 s25, 0
	s_load_b64 s[28:29], s[0:1], 0x0
	v_s_rcp_f32 s3, s3
	s_wait_xcnt 0x0
	s_lshl_b64 s[0:1], s[24:25], 2
	s_add_co_i32 s36, s2, -1
	s_add_nc_u64 s[26:27], s[10:11], s[0:1]
	s_sub_nc_u64 s[34:35], 0, s[6:7]
	v_mul_f32_e32 v4, 0x4f7ffffe, v4
	s_delay_alu instid0(TRANS32_DEP_1) | instskip(NEXT) | instid1(VALU_DEP_1)
	s_mul_f32 s3, s3, 0x5f7ffffc
	v_cvt_u32_f32_e32 v7, v4
	s_delay_alu instid0(SALU_CYCLE_2) | instskip(NEXT) | instid1(SALU_CYCLE_3)
	s_mul_f32 s4, s3, 0x2f800000
	s_trunc_f32 s4, s4
	s_wait_kmcnt 0x0
	v_mov_b32_e32 v0, s29
	global_load_b32 v1, v2, s[8:9] scale_offset
	v_ashrrev_i32_e32 v3, 31, v2
	s_fmamk_f32 s0, s4, 0xcf800000, s3
	s_cvt_u32_f32 s31, s4
	s_wait_xcnt 0x0
	s_delay_alu instid0(VALU_DEP_1)
	v_lshl_add_u64 v[2:3], v[2:3], 2, s[8:9]
	s_cvt_u32_f32 s30, s0
	s_mov_b64 s[8:9], 0xffffffff
.LBB22_9:                               ; =>This Inner Loop Header: Depth=1
	s_ashr_i32 s37, s36, 31
                                        ; implicit-def: $sgpr40_sgpr41
	s_delay_alu instid0(SALU_CYCLE_1) | instskip(NEXT) | instid1(SALU_CYCLE_1)
	s_mul_u64 s[0:1], s[36:37], s[18:19]
	s_and_b64 s[2:3], s[0:1], 0xffffffff00000000
	s_delay_alu instid0(SALU_CYCLE_1)
	s_cmp_lg_u64 s[2:3], 0
	s_mov_b32 s2, -1
	s_cbranch_scc0 .LBB22_11
; %bb.10:                               ;   in Loop: Header=BB22_9 Depth=1
	s_mul_u64 s[2:3], s[34:35], s[30:31]
	s_delay_alu instid0(SALU_CYCLE_1)
	s_mul_hi_u32 s5, s30, s3
	s_mul_i32 s4, s30, s3
	s_mul_hi_u32 s24, s30, s2
	s_mul_hi_u32 s17, s31, s2
	s_add_nc_u64 s[4:5], s[24:25], s[4:5]
	s_mul_i32 s2, s31, s2
	s_mul_hi_u32 s21, s31, s3
	s_add_co_u32 s2, s4, s2
	s_add_co_ci_u32 s24, s5, s17
	s_add_co_ci_u32 s5, s21, 0
	s_mul_i32 s4, s31, s3
	s_delay_alu instid0(SALU_CYCLE_1) | instskip(NEXT) | instid1(SALU_CYCLE_1)
	s_add_nc_u64 s[2:3], s[24:25], s[4:5]
	s_add_co_u32 s2, s30, s2
	s_cselect_b32 s4, -1, 0
	s_delay_alu instid0(SALU_CYCLE_1) | instskip(SKIP_1) | instid1(SALU_CYCLE_1)
	s_cmp_lg_u32 s4, 0
	s_add_co_ci_u32 s3, s31, s3
	s_mul_u64 s[4:5], s[34:35], s[2:3]
	s_delay_alu instid0(SALU_CYCLE_1)
	s_mul_hi_u32 s39, s2, s5
	s_mul_i32 s38, s2, s5
	s_mul_hi_u32 s24, s2, s4
	s_mul_hi_u32 s17, s3, s4
	s_mul_i32 s4, s3, s4
	s_add_nc_u64 s[38:39], s[24:25], s[38:39]
	s_mul_hi_u32 s21, s3, s5
	s_add_co_u32 s4, s38, s4
	s_add_co_ci_u32 s24, s39, s17
	s_mul_i32 s4, s3, s5
	s_add_co_ci_u32 s5, s21, 0
	s_delay_alu instid0(SALU_CYCLE_1) | instskip(NEXT) | instid1(SALU_CYCLE_1)
	s_add_nc_u64 s[4:5], s[24:25], s[4:5]
	s_add_co_u32 s17, s2, s4
	s_cselect_b32 s2, -1, 0
	s_delay_alu instid0(SALU_CYCLE_1) | instskip(SKIP_2) | instid1(SALU_CYCLE_1)
	s_cmp_lg_u32 s2, 0
	s_add_co_ci_u32 s21, s3, s5
	s_ashr_i32 s2, s1, 31
	s_mov_b32 s3, s2
	s_delay_alu instid0(SALU_CYCLE_1) | instskip(NEXT) | instid1(SALU_CYCLE_1)
	s_add_nc_u64 s[4:5], s[0:1], s[2:3]
	s_xor_b64 s[4:5], s[4:5], s[2:3]
	s_delay_alu instid0(SALU_CYCLE_1)
	s_mul_hi_u32 s39, s4, s21
	s_mul_i32 s38, s4, s21
	s_mul_hi_u32 s24, s4, s17
	s_mul_hi_u32 s29, s5, s17
	s_mul_i32 s17, s5, s17
	s_add_nc_u64 s[38:39], s[24:25], s[38:39]
	s_mul_hi_u32 s1, s5, s21
	s_add_co_u32 s17, s38, s17
	s_add_co_ci_u32 s24, s39, s29
	s_mul_i32 s40, s5, s21
	s_add_co_ci_u32 s41, s1, 0
	s_delay_alu instid0(SALU_CYCLE_1) | instskip(NEXT) | instid1(SALU_CYCLE_1)
	s_add_nc_u64 s[38:39], s[24:25], s[40:41]
	s_and_b64 s[40:41], s[38:39], 0xffffffff00000000
	s_delay_alu instid0(SALU_CYCLE_1) | instskip(NEXT) | instid1(SALU_CYCLE_1)
	s_or_b32 s40, s40, s38
	s_mul_u64 s[38:39], s[6:7], s[40:41]
	s_add_nc_u64 s[42:43], s[40:41], 1
	s_sub_co_u32 s1, s4, s38
	s_cselect_b32 s4, -1, 0
	s_sub_co_i32 s17, s5, s39
	s_cmp_lg_u32 s4, 0
	s_add_nc_u64 s[44:45], s[40:41], 2
	s_sub_co_ci_u32 s17, s17, s7
	s_sub_co_u32 s21, s1, s6
	s_cselect_b32 s24, -1, 0
	s_delay_alu instid0(SALU_CYCLE_1) | instskip(SKIP_1) | instid1(SALU_CYCLE_1)
	s_cmp_lg_u32 s24, 0
	s_sub_co_ci_u32 s17, s17, 0
	s_cmp_ge_u32 s17, s7
	s_cselect_b32 s24, -1, 0
	s_cmp_ge_u32 s21, s6
	s_cselect_b32 s21, -1, 0
	s_cmp_eq_u32 s17, s7
	s_cselect_b32 s17, s21, s24
	s_delay_alu instid0(SALU_CYCLE_1) | instskip(SKIP_4) | instid1(SALU_CYCLE_1)
	s_cmp_lg_u32 s17, 0
	s_cselect_b32 s17, s44, s42
	s_cselect_b32 s21, s45, s43
	s_cmp_lg_u32 s4, 0
	s_sub_co_ci_u32 s4, s5, s39
	s_cmp_ge_u32 s4, s7
	s_cselect_b32 s5, -1, 0
	s_cmp_ge_u32 s1, s6
	s_cselect_b32 s1, -1, 0
	s_cmp_eq_u32 s4, s7
	s_cselect_b32 s1, s1, s5
	s_delay_alu instid0(SALU_CYCLE_1) | instskip(SKIP_3) | instid1(SALU_CYCLE_1)
	s_cmp_lg_u32 s1, 0
	s_cselect_b32 s5, s21, s41
	s_cselect_b32 s4, s17, s40
	s_xor_b64 s[2:3], s[2:3], 0
	s_xor_b64 s[4:5], s[4:5], s[2:3]
	s_delay_alu instid0(SALU_CYCLE_1)
	s_sub_nc_u64 s[40:41], s[4:5], s[2:3]
	s_mov_b32 s2, 0
.LBB22_11:                              ;   in Loop: Header=BB22_9 Depth=1
	s_delay_alu instid0(SALU_CYCLE_1)
	s_and_not1_b32 vcc_lo, exec_lo, s2
	s_cbranch_vccnz .LBB22_13
; %bb.12:                               ;   in Loop: Header=BB22_9 Depth=1
	v_readfirstlane_b32 s1, v7
	s_sub_co_i32 s2, 0, s16
	s_delay_alu instid0(SALU_CYCLE_1) | instskip(NEXT) | instid1(SALU_CYCLE_1)
	s_mul_i32 s2, s2, s1
	s_mul_hi_u32 s2, s1, s2
	s_delay_alu instid0(SALU_CYCLE_1) | instskip(NEXT) | instid1(SALU_CYCLE_1)
	s_add_co_i32 s1, s1, s2
	s_mul_hi_u32 s1, s0, s1
	s_delay_alu instid0(SALU_CYCLE_1) | instskip(NEXT) | instid1(SALU_CYCLE_1)
	s_mul_i32 s2, s1, s16
	s_sub_co_i32 s0, s0, s2
	s_add_co_i32 s2, s1, 1
	s_sub_co_i32 s3, s0, s16
	s_cmp_ge_u32 s0, s16
	s_cselect_b32 s1, s2, s1
	s_cselect_b32 s0, s3, s0
	s_add_co_i32 s2, s1, 1
	s_cmp_ge_u32 s0, s16
	s_cselect_b32 s24, s2, s1
	s_delay_alu instid0(SALU_CYCLE_1)
	s_mov_b64 s[40:41], s[24:25]
.LBB22_13:                              ;   in Loop: Header=BB22_9 Depth=1
	s_delay_alu instid0(SALU_CYCLE_1)
	s_cmp_lg_u32 s20, s40
	s_mov_b32 s0, -1
                                        ; implicit-def: $vgpr4_vgpr5
                                        ; implicit-def: $sgpr24
                                        ; implicit-def: $sgpr17
                                        ; implicit-def: $sgpr21
                                        ; implicit-def: $sgpr29
	s_cbranch_scc0 .LBB22_18
; %bb.14:                               ;   in Loop: Header=BB22_9 Depth=1
	s_add_co_i32 s0, s36, s16
	v_max_num_f32_e64 v4, s28, s28
	s_lshl_b32 s0, s0, 3
	s_mov_b32 s29, s20
	s_add_co_i32 s0, s0, s15
	s_load_b64 s[38:39], s[10:11], s0 offset:0x0 scale_offset
	s_wait_xcnt 0x0
	v_readfirstlane_b32 s0, v4
	s_wait_kmcnt 0x0
	v_max_num_f32_e64 v5, s38, s38
	s_delay_alu instid0(VALU_DEP_1) | instskip(SKIP_1) | instid1(SALU_CYCLE_3)
	v_readfirstlane_b32 s1, v5
	s_max_num_f32 s17, s0, s1
	s_sub_f32 s33, s28, s17
	s_sub_f32 s37, s38, s17
	s_delay_alu instid0(SALU_CYCLE_2)
	s_cmp_nlt_f32 s33, 0xc2ce8ed0
	s_cselect_b32 s1, -1, 0
	s_cmp_ngt_f32 s33, 0x42b17218
	s_cselect_b32 s2, -1, 0
	s_cmp_ge_f32 s33, 0xc1a00000
	s_cselect_b32 s0, -1, 0
	s_cmp_nlt_f32 s37, 0xc2ce8ed0
	s_cselect_b32 s3, -1, 0
	s_cmp_ngt_f32 s37, 0x42b17218
	s_cselect_b32 s4, -1, 0
	s_cmp_ge_f32 s37, 0xc1a00000
	s_cselect_b32 s5, -1, 0
	s_and_b64 s[42:43], s[40:41], s[8:9]
	s_delay_alu instid0(SALU_CYCLE_1) | instskip(NEXT) | instid1(SALU_CYCLE_1)
	s_mul_u64 s[42:43], s[42:43], s[22:23]
	s_add_co_i32 s21, s43, s40
	s_delay_alu instid0(SALU_CYCLE_1) | instskip(NEXT) | instid1(SALU_CYCLE_1)
	s_lshr_b32 s21, s21, s13
	s_mul_i32 s24, s21, s14
	s_delay_alu instid0(SALU_CYCLE_1) | instskip(SKIP_3) | instid1(SALU_CYCLE_1)
	s_cmp_eq_u32 s24, s40
	s_cselect_b32 s24, -1, 0
	s_cmp_lt_u32 s21, s12
	s_cselect_b32 s21, -1, 0
	s_or_b32 s21, s21, s24
	s_mov_b32 s24, -1
	s_and_b32 vcc_lo, exec_lo, s21
	s_mov_b32 s21, s36
	s_cbranch_vccnz .LBB22_16
; %bb.15:                               ;   in Loop: Header=BB22_9 Depth=1
	s_add_co_i32 s21, s36, -1
	s_mov_b32 s24, 0
	s_mov_b32 s29, s40
.LBB22_16:                              ;   in Loop: Header=BB22_9 Depth=1
	v_lshl_add_u32 v4, s36, 11, v6
	s_mul_f32 s40, s33, 0x3fb8aa3b
	s_mul_f32 s38, s37, 0x3fb8aa3b
	s_delay_alu instid0(SALU_CYCLE_2)
	s_xor_b32 s42, s40, 0x80000000
	global_load_b32 v5, v4, s[26:27] scale_offset
	s_fmamk_f32 s42, s33, 0x3fb8aa3b, s42
	s_rndne_f32 s44, s40
	s_xor_b32 s41, s38, 0x80000000
	s_rndne_f32 s43, s38
	s_fmamk_f32 s33, s33, 0x32a5705f, s42
	s_sub_f32 s40, s40, s44
	s_fmamk_f32 s41, s37, 0x3fb8aa3b, s41
	s_sub_f32 s38, s38, s43
	s_delay_alu instid0(SALU_CYCLE_1) | instskip(NEXT) | instid1(SALU_CYCLE_1)
	s_add_f32 s33, s40, s33
	s_fmamk_f32 s37, s37, 0x32a5705f, s41
	s_cvt_i32_f32 s40, s44
	s_delay_alu instid0(SALU_CYCLE_1) | instskip(NEXT) | instid1(SALU_CYCLE_1)
	v_s_exp_f32 s33, s33
	s_add_f32 s37, s38, s37
	s_cvt_i32_f32 s38, s43
	s_delay_alu instid0(SALU_CYCLE_2) | instskip(NEXT) | instid1(TRANS32_DEP_2)
	v_s_exp_f32 s37, s37
	v_ldexp_f32 v8, s33, s40
	s_wait_xcnt 0x0
	s_delay_alu instid0(TRANS32_DEP_1) | instskip(NEXT) | instid1(VALU_DEP_2)
	v_ldexp_f32 v4, s37, s38
	v_cndmask_b32_e64 v8, 0, v8, s1
	s_delay_alu instid0(VALU_DEP_1) | instskip(NEXT) | instid1(VALU_DEP_1)
	v_cndmask_b32_e64 v9, 0x7f800000, v8, s2
	v_dual_cndmask_b32 v4, 0, v4, s3 :: v_dual_cndmask_b32 v10, 0, v9, s0
	s_delay_alu instid0(VALU_DEP_1) | instskip(NEXT) | instid1(VALU_DEP_1)
	v_cndmask_b32_e64 v4, 0x7f800000, v4, s4
	v_dual_cndmask_b32 v8, 0, v4, s5 :: v_dual_mov_b32 v4, s39
	s_wait_loadcnt 0x0
	s_delay_alu instid0(VALU_DEP_1) | instskip(NEXT) | instid1(VALU_DEP_1)
	v_pk_mul_f32 v[4:5], v[4:5], v[8:9] op_sel_hi:[1,0]
	v_pk_fma_f32 v[4:5], v[0:1], v[10:11], v[4:5] op_sel_hi:[1,0,1]
	s_cbranch_execz .LBB22_19
.LBB22_17:                              ;   in Loop: Header=BB22_9 Depth=1
	s_and_not1_b32 vcc_lo, exec_lo, s24
	s_cbranch_vccnz .LBB22_20
	s_branch .LBB22_23
.LBB22_18:                              ;   in Loop: Header=BB22_9 Depth=1
	s_and_not1_b32 vcc_lo, exec_lo, s0
	s_cbranch_vccnz .LBB22_17
.LBB22_19:                              ;   in Loop: Header=BB22_9 Depth=1
	s_wait_loadcnt 0x0
	v_mov_b64_e32 v[4:5], v[0:1]
	s_add_co_i32 s21, s36, -1
	s_mov_b32 s29, s20
	s_mov_b32 s17, s28
	s_cbranch_execz .LBB22_23
.LBB22_20:                              ;   in Loop: Header=BB22_9 Depth=1
	s_wait_loadcnt 0x0
	s_delay_alu instid0(VALU_DEP_1)
	v_mov_b64_e32 v[0:1], v[4:5]
	s_mov_b32 s20, s29
	s_mov_b32 s36, s21
	;; [unrolled: 1-line block ×3, first 2 shown]
	s_branch .LBB22_9
.LBB22_21:
                                        ; implicit-def: $sgpr20_sgpr21
	s_branch .LBB22_2
.LBB22_22:
                                        ; implicit-def: $sgpr24_sgpr25
	s_load_b96 s[12:14], s[0:1], 0x44
	s_branch .LBB22_5
.LBB22_23:
	s_delay_alu instid0(VALU_DEP_1) | instskip(SKIP_1) | instid1(VALU_DEP_1)
	v_div_scale_f32 v0, null, v4, v4, v5
	s_wait_loadcnt 0x0
	v_rcp_f32_e32 v1, v0
	v_nop
	s_delay_alu instid0(TRANS32_DEP_1) | instskip(NEXT) | instid1(VALU_DEP_1)
	v_fma_f32 v6, -v0, v1, 1.0
	v_fmac_f32_e32 v1, v6, v1
	v_div_scale_f32 v6, vcc_lo, v5, v4, v5
	s_delay_alu instid0(VALU_DEP_1) | instskip(NEXT) | instid1(VALU_DEP_1)
	v_mul_f32_e32 v7, v6, v1
	v_fma_f32 v8, -v0, v7, v6
	s_delay_alu instid0(VALU_DEP_1) | instskip(NEXT) | instid1(VALU_DEP_1)
	v_fmac_f32_e32 v7, v8, v1
	v_fma_f32 v0, -v0, v7, v6
	s_delay_alu instid0(VALU_DEP_1) | instskip(NEXT) | instid1(VALU_DEP_1)
	v_div_fmas_f32 v0, v0, v1, v7
	v_div_fixup_f32 v0, v0, v4, v5
	global_store_b32 v[2:3], v0, off
.LBB22_24:
	s_endpgm
	.section	.rodata,"a",@progbits
	.p2align	6, 0x0
	.amdhsa_kernel _ZL33flash_attn_stream_k_fixup_generalILi256ELi2ELi4EEvPfPK15HIP_vector_typeIfLj2EEiiiiS1_IjLj3EES5_S5_S5_
		.amdhsa_group_segment_fixed_size 0
		.amdhsa_private_segment_fixed_size 0
		.amdhsa_kernarg_size 336
		.amdhsa_user_sgpr_count 2
		.amdhsa_user_sgpr_dispatch_ptr 0
		.amdhsa_user_sgpr_queue_ptr 0
		.amdhsa_user_sgpr_kernarg_segment_ptr 1
		.amdhsa_user_sgpr_dispatch_id 0
		.amdhsa_user_sgpr_kernarg_preload_length 0
		.amdhsa_user_sgpr_kernarg_preload_offset 0
		.amdhsa_user_sgpr_private_segment_size 0
		.amdhsa_wavefront_size32 1
		.amdhsa_uses_dynamic_stack 0
		.amdhsa_enable_private_segment 0
		.amdhsa_system_sgpr_workgroup_id_x 1
		.amdhsa_system_sgpr_workgroup_id_y 1
		.amdhsa_system_sgpr_workgroup_id_z 1
		.amdhsa_system_sgpr_workgroup_info 0
		.amdhsa_system_vgpr_workitem_id 0
		.amdhsa_next_free_vgpr 12
		.amdhsa_next_free_sgpr 46
		.amdhsa_named_barrier_count 0
		.amdhsa_reserve_vcc 1
		.amdhsa_float_round_mode_32 0
		.amdhsa_float_round_mode_16_64 0
		.amdhsa_float_denorm_mode_32 3
		.amdhsa_float_denorm_mode_16_64 3
		.amdhsa_fp16_overflow 0
		.amdhsa_memory_ordered 1
		.amdhsa_forward_progress 1
		.amdhsa_inst_pref_size 27
		.amdhsa_round_robin_scheduling 0
		.amdhsa_exception_fp_ieee_invalid_op 0
		.amdhsa_exception_fp_denorm_src 0
		.amdhsa_exception_fp_ieee_div_zero 0
		.amdhsa_exception_fp_ieee_overflow 0
		.amdhsa_exception_fp_ieee_underflow 0
		.amdhsa_exception_fp_ieee_inexact 0
		.amdhsa_exception_int_div_zero 0
	.end_amdhsa_kernel
	.section	.text._ZL33flash_attn_stream_k_fixup_generalILi256ELi2ELi4EEvPfPK15HIP_vector_typeIfLj2EEiiiiS1_IjLj3EES5_S5_S5_,"axG",@progbits,_ZL33flash_attn_stream_k_fixup_generalILi256ELi2ELi4EEvPfPK15HIP_vector_typeIfLj2EEiiiiS1_IjLj3EES5_S5_S5_,comdat
.Lfunc_end22:
	.size	_ZL33flash_attn_stream_k_fixup_generalILi256ELi2ELi4EEvPfPK15HIP_vector_typeIfLj2EEiiiiS1_IjLj3EES5_S5_S5_, .Lfunc_end22-_ZL33flash_attn_stream_k_fixup_generalILi256ELi2ELi4EEvPfPK15HIP_vector_typeIfLj2EEiiiiS1_IjLj3EES5_S5_S5_
                                        ; -- End function
	.set _ZL33flash_attn_stream_k_fixup_generalILi256ELi2ELi4EEvPfPK15HIP_vector_typeIfLj2EEiiiiS1_IjLj3EES5_S5_S5_.num_vgpr, 12
	.set _ZL33flash_attn_stream_k_fixup_generalILi256ELi2ELi4EEvPfPK15HIP_vector_typeIfLj2EEiiiiS1_IjLj3EES5_S5_S5_.num_agpr, 0
	.set _ZL33flash_attn_stream_k_fixup_generalILi256ELi2ELi4EEvPfPK15HIP_vector_typeIfLj2EEiiiiS1_IjLj3EES5_S5_S5_.numbered_sgpr, 46
	.set _ZL33flash_attn_stream_k_fixup_generalILi256ELi2ELi4EEvPfPK15HIP_vector_typeIfLj2EEiiiiS1_IjLj3EES5_S5_S5_.num_named_barrier, 0
	.set _ZL33flash_attn_stream_k_fixup_generalILi256ELi2ELi4EEvPfPK15HIP_vector_typeIfLj2EEiiiiS1_IjLj3EES5_S5_S5_.private_seg_size, 0
	.set _ZL33flash_attn_stream_k_fixup_generalILi256ELi2ELi4EEvPfPK15HIP_vector_typeIfLj2EEiiiiS1_IjLj3EES5_S5_S5_.uses_vcc, 1
	.set _ZL33flash_attn_stream_k_fixup_generalILi256ELi2ELi4EEvPfPK15HIP_vector_typeIfLj2EEiiiiS1_IjLj3EES5_S5_S5_.uses_flat_scratch, 0
	.set _ZL33flash_attn_stream_k_fixup_generalILi256ELi2ELi4EEvPfPK15HIP_vector_typeIfLj2EEiiiiS1_IjLj3EES5_S5_S5_.has_dyn_sized_stack, 0
	.set _ZL33flash_attn_stream_k_fixup_generalILi256ELi2ELi4EEvPfPK15HIP_vector_typeIfLj2EEiiiiS1_IjLj3EES5_S5_S5_.has_recursion, 0
	.set _ZL33flash_attn_stream_k_fixup_generalILi256ELi2ELi4EEvPfPK15HIP_vector_typeIfLj2EEiiiiS1_IjLj3EES5_S5_S5_.has_indirect_call, 0
	.section	.AMDGPU.csdata,"",@progbits
; Kernel info:
; codeLenInByte = 3360
; TotalNumSgprs: 48
; NumVgprs: 12
; ScratchSize: 0
; MemoryBound: 0
; FloatMode: 240
; IeeeMode: 1
; LDSByteSize: 0 bytes/workgroup (compile time only)
; SGPRBlocks: 0
; VGPRBlocks: 0
; NumSGPRsForWavesPerEU: 48
; NumVGPRsForWavesPerEU: 12
; NamedBarCnt: 0
; Occupancy: 16
; WaveLimiterHint : 0
; COMPUTE_PGM_RSRC2:SCRATCH_EN: 0
; COMPUTE_PGM_RSRC2:USER_SGPR: 2
; COMPUTE_PGM_RSRC2:TRAP_HANDLER: 0
; COMPUTE_PGM_RSRC2:TGID_X_EN: 1
; COMPUTE_PGM_RSRC2:TGID_Y_EN: 1
; COMPUTE_PGM_RSRC2:TGID_Z_EN: 1
; COMPUTE_PGM_RSRC2:TIDIG_COMP_CNT: 0
	.section	.text._ZL15flash_attn_tileILi256ELi256ELi1ELi4ELb0EEvPKcS1_S1_S1_S1_PKiPfP15HIP_vector_typeIfLj2EEffffjfiS5_IjLj3EEiiiiiiiiiiiliiliiiiil,"axG",@progbits,_ZL15flash_attn_tileILi256ELi256ELi1ELi4ELb0EEvPKcS1_S1_S1_S1_PKiPfP15HIP_vector_typeIfLj2EEffffjfiS5_IjLj3EEiiiiiiiiiiiliiliiiiil,comdat
	.globl	_ZL15flash_attn_tileILi256ELi256ELi1ELi4ELb0EEvPKcS1_S1_S1_S1_PKiPfP15HIP_vector_typeIfLj2EEffffjfiS5_IjLj3EEiiiiiiiiiiiliiliiiiil ; -- Begin function _ZL15flash_attn_tileILi256ELi256ELi1ELi4ELb0EEvPKcS1_S1_S1_S1_PKiPfP15HIP_vector_typeIfLj2EEffffjfiS5_IjLj3EEiiiiiiiiiiiliiliiiiil
	.p2align	8
	.type	_ZL15flash_attn_tileILi256ELi256ELi1ELi4ELb0EEvPKcS1_S1_S1_S1_PKiPfP15HIP_vector_typeIfLj2EEffffjfiS5_IjLj3EEiiiiiiiiiiiliiliiiiil,@function
_ZL15flash_attn_tileILi256ELi256ELi1ELi4ELb0EEvPKcS1_S1_S1_S1_PKiPfP15HIP_vector_typeIfLj2EEffffjfiS5_IjLj3EEiiiiiiiiiiiliiliiiiil: ; @_ZL15flash_attn_tileILi256ELi256ELi1ELi4ELb0EEvPKcS1_S1_S1_S1_PKiPfP15HIP_vector_typeIfLj2EEffffjfiS5_IjLj3EEiiiiiiiiiiiliiliiiiil
; %bb.0:
	s_clause 0x1
	s_load_b128 s[20:23], s[0:1], 0x5c
	s_load_b64 s[28:29], s[0:1], 0x80
	s_bfe_u32 s5, ttmp6, 0x40014
	s_lshr_b32 s4, ttmp7, 16
	s_add_co_i32 s5, s5, 1
	s_bfe_u32 s6, ttmp6, 0x40008
	s_mul_i32 s5, s4, s5
	s_getreg_b32 s24, hwreg(HW_REG_IB_STS2, 6, 4)
	s_add_co_i32 s6, s6, s5
	s_load_b64 s[36:37], s[0:1], 0xb8
	s_mov_b32 s35, 0
	s_mov_b64 s[30:31], 0
	s_wait_kmcnt 0x0
	s_ashr_i32 s2, s23, 31
	s_delay_alu instid0(SALU_CYCLE_1) | instskip(NEXT) | instid1(SALU_CYCLE_1)
	s_lshr_b32 s2, s2, 30
	s_add_co_i32 s2, s23, s2
	s_delay_alu instid0(SALU_CYCLE_1) | instskip(NEXT) | instid1(SALU_CYCLE_1)
	s_ashr_i32 s2, s2, 2
	s_cvt_f32_u32 s3, s2
	s_sub_co_i32 s7, 0, s2
	s_delay_alu instid0(SALU_CYCLE_2) | instskip(SKIP_1) | instid1(TRANS32_DEP_1)
	v_rcp_iflag_f32_e32 v1, s3
	v_nop
	v_readfirstlane_b32 s3, v1
	s_mul_f32 s3, s3, 0x4f7ffffe
	s_delay_alu instid0(SALU_CYCLE_3) | instskip(NEXT) | instid1(SALU_CYCLE_3)
	s_cvt_u32_f32 s3, s3
	s_mul_i32 s7, s7, s3
	s_delay_alu instid0(SALU_CYCLE_1) | instskip(NEXT) | instid1(SALU_CYCLE_1)
	s_mul_hi_u32 s7, s3, s7
	s_add_co_i32 s3, s3, s7
	s_cmp_eq_u32 s24, 0
	s_cselect_b32 s4, s4, s6
	s_delay_alu instid0(SALU_CYCLE_1) | instskip(NEXT) | instid1(SALU_CYCLE_1)
	s_mul_hi_u32 s3, s4, s3
	s_mul_i32 s5, s3, s2
	s_add_co_i32 s6, s3, 1
	s_sub_co_i32 s5, s4, s5
	s_delay_alu instid0(SALU_CYCLE_1)
	s_sub_co_i32 s7, s5, s2
	s_cmp_ge_u32 s5, s2
	s_cselect_b32 s3, s6, s3
	s_cselect_b32 s5, s7, s5
	s_add_co_i32 s6, s3, 1
	s_cmp_ge_u32 s5, s2
	s_cselect_b32 s2, s6, s3
	s_abs_i32 s3, s29
	s_lshl_b32 s4, s4, 2
	s_cvt_f32_u32 s5, s3
	s_sub_co_i32 s6, 0, s3
	s_mul_i32 s7, s2, s23
	s_abs_i32 s8, s23
	v_rcp_iflag_f32_e32 v1, s5
	s_sub_co_i32 s33, s4, s7
	v_nop
	s_delay_alu instid0(TRANS32_DEP_1) | instskip(SKIP_1) | instid1(SALU_CYCLE_3)
	v_readfirstlane_b32 s5, v1
	s_mul_f32 s5, s5, 0x4f7ffffe
	s_cvt_u32_f32 s5, s5
	s_delay_alu instid0(SALU_CYCLE_3) | instskip(NEXT) | instid1(SALU_CYCLE_1)
	s_mul_i32 s6, s6, s5
	s_mul_hi_u32 s6, s5, s6
	s_delay_alu instid0(SALU_CYCLE_1) | instskip(NEXT) | instid1(SALU_CYCLE_1)
	s_add_co_i32 s5, s5, s6
	s_mul_hi_u32 s4, s8, s5
	s_xor_b32 s5, s23, s29
	s_mul_i32 s6, s4, s3
	s_ashr_i32 s25, s5, 31
	s_sub_co_i32 s5, s8, s6
	s_add_co_i32 s6, s4, 1
	s_sub_co_i32 s7, s5, s3
	s_cmp_ge_u32 s5, s3
	s_cselect_b32 s4, s6, s4
	s_cselect_b32 s5, s7, s5
	s_add_co_i32 s6, s4, 1
	s_cmp_ge_u32 s5, s3
	s_cselect_b32 s3, s6, s4
	s_load_b512 s[4:19], s[0:1], 0x0
	s_xor_b32 s3, s3, s25
	s_delay_alu instid0(SALU_CYCLE_1) | instskip(NEXT) | instid1(SALU_CYCLE_1)
	s_sub_co_i32 s3, s3, s25
	s_abs_i32 s38, s3
	s_delay_alu instid0(SALU_CYCLE_1) | instskip(NEXT) | instid1(SALU_CYCLE_3)
	s_cvt_f32_u32 s25, s38
	v_rcp_iflag_f32_e32 v1, s25
	v_nop
	s_delay_alu instid0(TRANS32_DEP_1)
	v_readfirstlane_b32 s34, v1
	s_wait_kmcnt 0x0
	s_cmp_eq_u64 s[10:11], 0
	s_cbranch_scc1 .LBB23_2
; %bb.1:
	s_abs_i32 s25, s36
	s_abs_i32 s29, s2
	s_cvt_f32_u32 s26, s25
	s_sub_co_i32 s27, 0, s25
	s_delay_alu instid0(SALU_CYCLE_2) | instskip(SKIP_1) | instid1(TRANS32_DEP_1)
	v_rcp_iflag_f32_e32 v1, s26
	v_nop
	v_readfirstlane_b32 s26, v1
	s_mul_f32 s26, s26, 0x4f7ffffe
	s_delay_alu instid0(SALU_CYCLE_3) | instskip(NEXT) | instid1(SALU_CYCLE_3)
	s_cvt_u32_f32 s26, s26
	s_mul_i32 s27, s27, s26
	s_delay_alu instid0(SALU_CYCLE_1) | instskip(NEXT) | instid1(SALU_CYCLE_1)
	s_mul_hi_u32 s27, s26, s27
	s_add_co_i32 s26, s26, s27
	s_delay_alu instid0(SALU_CYCLE_1) | instskip(SKIP_2) | instid1(SALU_CYCLE_1)
	s_mul_hi_u32 s30, s29, s26
	s_load_b64 s[26:27], s[0:1], 0xc8
	s_mul_i32 s30, s30, s25
	s_sub_co_i32 s29, s29, s30
	s_ashr_i32 s30, s2, 31
	s_sub_co_i32 s31, s29, s25
	s_cmp_ge_u32 s29, s25
	s_cselect_b32 s29, s31, s29
	s_delay_alu instid0(SALU_CYCLE_1) | instskip(SKIP_2) | instid1(SALU_CYCLE_1)
	s_sub_co_i32 s31, s29, s25
	s_cmp_ge_u32 s29, s25
	s_cselect_b32 s25, s31, s29
	s_xor_b32 s25, s25, s30
	s_delay_alu instid0(SALU_CYCLE_1) | instskip(NEXT) | instid1(SALU_CYCLE_1)
	s_sub_co_i32 s30, s25, s30
	s_ashr_i32 s31, s30, 31
	s_wait_kmcnt 0x0
	s_mul_u64 s[26:27], s[26:27], s[30:31]
	s_delay_alu instid0(SALU_CYCLE_1)
	s_add_nc_u64 s[30:31], s[10:11], s[26:27]
.LBB23_2:
	s_bfe_u32 s10, ttmp6, 0x4000c
	v_dual_lshrrev_b32 v1, 10, v0 :: v_dual_mov_b32 v9, 0
	s_add_co_i32 s10, s10, 1
	s_and_b32 s11, ttmp6, 15
	s_mul_i32 s10, ttmp9, s10
	s_delay_alu instid0(VALU_DEP_1)
	v_bfe_u32 v1, v1, 2, 8
	s_add_co_i32 s11, s11, s10
	s_cmp_eq_u32 s24, 0
	s_load_b96 s[40:42], s[0:1], 0x70
	s_cselect_b32 s10, ttmp9, s11
	v_bfe_u32 v8, v0, 10, 2
	v_add_nc_u32_e32 v46, s10, v1
	v_and_b32_e32 v47, 0x3ff, v0
	v_mov_b32_e32 v3, v9
	s_delay_alu instid0(VALU_DEP_3) | instskip(NEXT) | instid1(VALU_DEP_1)
	v_mul_hi_u32 v1, s20, v46
	v_dual_lshlrev_b32 v10, 4, v47 :: v_dual_add_nc_u32 v1, v46, v1
	s_wait_kmcnt 0x0
	s_mov_b32 s20, s41
	s_mul_i32 s26, s33, s41
	s_delay_alu instid0(SALU_CYCLE_1) | instskip(SKIP_4) | instid1(VALU_DEP_1)
	s_ashr_i32 s27, s26, 31
	v_lshrrev_b32_e32 v1, s21, v1
	s_ashr_i32 s21, s41, 31
	s_ashr_i32 s41, s40, 31
	s_lshr_b64 s[20:21], s[20:21], 2
	v_mul_lo_u32 v1, v1, s22
	v_mul_u64_e32 v[4:5], s[20:21], v[8:9]
	s_lshr_b64 s[20:21], s[40:41], 2
	s_delay_alu instid0(VALU_DEP_2) | instskip(SKIP_2) | instid1(VALU_DEP_3)
	v_sub_nc_u32_e32 v2, v46, v1
	v_bfe_u32 v1, v0, 10, 10
	v_mov_b32_e32 v11, v9
	v_mul_u64_e32 v[6:7], s[20:21], v[2:3]
	s_mul_i32 s20, s2, s42
	s_delay_alu instid0(VALU_DEP_3) | instskip(SKIP_3) | instid1(SALU_CYCLE_1)
	v_lshlrev_b32_e32 v0, 9, v1
	s_ashr_i32 s21, s20, 31
	s_cmp_eq_u64 s[14:15], 0
	s_add_nc_u64 s[4:5], s[4:5], s[20:21]
	s_add_nc_u64 s[4:5], s[4:5], s[26:27]
	v_add_nc_u32_e32 v48, 0x4200, v0
	v_lshl_add_u64 v[4:5], v[4:5], 2, s[4:5]
	s_load_b32 s4, s[0:1], 0x40
	s_delay_alu instid0(VALU_DEP_1) | instskip(NEXT) | instid1(VALU_DEP_1)
	v_lshl_add_u64 v[4:5], v[6:7], 2, v[4:5]
	v_add_nc_u64_e32 v[14:15], v[4:5], v[10:11]
	s_clause 0x1
	global_load_b128 v[4:7], v[14:15], off
	global_load_b128 v[10:13], v[14:15], off offset:512
	s_wait_loadcnt 0x1
	s_wait_kmcnt 0x0
	v_fma_mixlo_f16 v3, s4, v4, 0
	v_fma_mixlo_f16 v4, s4, v5, 0
	;; [unrolled: 1-line block ×4, first 2 shown]
	s_wait_loadcnt 0x0
	v_fma_mixlo_f16 v7, s4, v10, 0
	v_fma_mixlo_f16 v9, s4, v11, 0
	v_dual_lshlrev_b32 v45, 3, v47 :: v_dual_lshlrev_b32 v4, 16, v4
	v_fma_mixlo_f16 v10, s4, v12, 0
	v_fma_mixlo_f16 v11, s4, v13, 0
	v_and_b32_e32 v3, 0xffff, v3
	v_dual_lshlrev_b32 v6, 16, v6 :: v_dual_lshlrev_b32 v9, 16, v9
	v_and_b32_e32 v7, 0xffff, v7
	v_and_b32_e32 v5, 0xffff, v5
	v_dual_lshlrev_b32 v11, 16, v11 :: v_dual_add_nc_u32 v12, v48, v45
	v_and_b32_e32 v10, 0xffff, v10
	v_or_b32_e32 v3, v4, v3
	v_or_b32_e32 v9, v9, v7
	v_or3_b32 v5, v6, v5, 0
	s_delay_alu instid0(VALU_DEP_4) | instskip(NEXT) | instid1(VALU_DEP_4)
	v_or3_b32 v7, v11, v10, 0
	v_or3_b32 v4, 0, 0, v3
	s_delay_alu instid0(VALU_DEP_4)
	v_or3_b32 v6, 0, 0, v9
	ds_store_2addr_b64 v12, v[4:5], v[6:7] offset1:32
	s_wait_dscnt 0x0
	s_barrier_signal -1
	s_barrier_wait -1
	s_cbranch_scc1 .LBB23_4
; %bb.3:
	s_load_b32 s4, s[0:1], 0xd0
	s_wait_kmcnt 0x0
	s_mul_i32 s4, s4, s2
	s_delay_alu instid0(SALU_CYCLE_1)
	s_add_co_i32 s4, s4, s10
	s_load_b32 s28, s[14:15], s4 offset:0x0 scale_offset
.LBB23_4:
	s_wait_xcnt 0x0
	s_bfe_u32 s4, ttmp6, 0x40010
	s_and_b32 s5, ttmp7, 0xffff
	s_add_co_i32 s4, s4, 1
	s_bfe_u32 s10, ttmp6, 0x40004
	s_mul_i32 s4, s5, s4
	v_lshlrev_b32_e32 v9, 2, v47
	s_add_co_i32 s10, s10, s4
	s_cmp_eq_u32 s24, 0
	v_mbcnt_lo_u32_b32 v49, -1, 0
	s_cselect_b32 s29, s5, s10
	s_mov_b32 s5, 0
	s_lshl_b32 s4, s29, 5
	s_wait_kmcnt 0x0
	s_cmp_lt_i32 s4, s28
	s_cbranch_scc1 .LBB23_7
; %bb.5:
	v_mbcnt_lo_u32_b32 v3, -1, 0
	s_delay_alu instid0(VALU_DEP_1)
	v_dual_mov_b32 v51, 32 :: v_dual_bitop2_b32 v56, 16, v3 bitop3:0x14
	v_xor_b32_e32 v55, 8, v3
	v_xor_b32_e32 v54, 4, v3
	;; [unrolled: 1-line block ×4, first 2 shown]
	s_and_not1_b32 vcc_lo, exec_lo, s5
	s_cbranch_vccz .LBB23_8
; %bb.6:
	v_dual_mov_b32 v82, 0 :: v_dual_mov_b32 v80, 0
	v_dual_mov_b32 v44, 0xfeffffff :: v_dual_mov_b32 v81, 0
	;; [unrolled: 1-line block ×3, first 2 shown]
	s_branch .LBB23_11
.LBB23_7:
                                        ; implicit-def: $vgpr3
                                        ; implicit-def: $vgpr51
                                        ; implicit-def: $vgpr56
                                        ; implicit-def: $vgpr55
                                        ; implicit-def: $vgpr54
                                        ; implicit-def: $vgpr53
                                        ; implicit-def: $vgpr52
.LBB23_8:
	s_clause 0x1
	s_load_b64 s[20:21], s[0:1], 0x8c
	s_load_b128 s[24:27], s[0:1], 0x98
	s_mul_f32 s5, s34, 0x4f7ffffe
	s_sub_co_i32 s10, 0, s38
	s_ashr_i32 s15, s3, 31
	s_abs_i32 s34, s33
	s_cvt_u32_f32 s5, s5
	s_mov_b32 s11, s35
	s_ashr_i32 s14, s33, 31
	s_load_b64 s[40:41], s[0:1], 0xa8
	s_mul_i32 s10, s10, s5
	s_xor_b32 s15, s14, s15
	s_mul_hi_u32 s3, s5, s10
	v_lshl_add_u32 v61, v1, 6, 0x4a00
	s_add_co_i32 s10, s5, s3
	s_ashr_i32 s5, s37, 1
	s_mul_u64 s[10:11], s[34:35], s[10:11]
	s_ashr_i32 s3, s2, 31
	s_mul_i32 s10, s11, s38
	s_add_co_i32 s35, s11, 1
	s_wait_kmcnt 0x0
	s_ashr_i32 s14, s20, 2
	s_sub_co_i32 s34, s34, s10
	v_mul_lo_u32 v10, s14, v1
	s_ashr_i32 s10, s26, 2
	s_sub_co_i32 s36, s34, s38
	s_cmp_ge_u32 s34, s38
	v_mul_lo_u32 v18, s10, v1
	s_cselect_b32 s11, s35, s11
	s_cselect_b32 s34, s36, s34
	s_add_co_i32 s35, s11, 1
	s_cmp_ge_u32 s34, s38
	s_mul_u64 s[24:25], s[24:25], s[2:3]
	s_cselect_b32 s11, s35, s11
	s_and_b32 s36, s20, -4
	s_delay_alu instid0(SALU_CYCLE_1)
	v_dual_lshlrev_b32 v12, 2, v9 :: v_dual_add_nc_u32 v14, s36, v10
	s_mul_u64 s[34:35], s[40:41], s[2:3]
	s_xor_b32 s3, s11, s15
	s_add_nc_u64 s[6:7], s[6:7], s[24:25]
	s_sub_co_i32 s3, s3, s15
	v_add_nc_u32_e32 v16, s36, v14
	v_ashrrev_i32_e32 v11, 31, v10
	s_mul_i32 s20, s3, s21
	s_mul_i32 s24, s3, s27
	s_and_b32 s3, s26, -4
	v_add_nc_u32_e32 v20, s36, v16
	v_mad_u32_u24 v50, 0x210, v1, v12
	v_mad_u32 v63, v2, s5, v47
	v_lshl_add_u32 v1, v1, 9, v12
	s_delay_alu instid0(VALU_DEP_4) | instskip(NEXT) | instid1(VALU_DEP_4)
	v_dual_mov_b32 v13, 0 :: v_dual_add_nc_u32 v22, s36, v20
	v_add_nc_u32_e32 v58, 0x2940, v50
	v_dual_ashrrev_i32 v15, 31, v14 :: v_dual_ashrrev_i32 v17, 31, v16
	s_delay_alu instid0(VALU_DEP_3) | instskip(SKIP_3) | instid1(VALU_DEP_4)
	v_dual_ashrrev_i32 v21, 31, v20 :: v_dual_add_nc_u32 v24, s36, v22
	v_add_nc_u32_e32 v26, s3, v18
	v_ashrrev_i32_e32 v23, 31, v22
	v_dual_mov_b32 v84, v13 :: v_dual_add_nc_u32 v57, 0x2100, v50
	v_dual_add_nc_u32 v28, s36, v24 :: v_dual_ashrrev_i32 v25, 31, v24
	s_delay_alu instid0(VALU_DEP_4) | instskip(SKIP_1) | instid1(VALU_DEP_3)
	v_add_nc_u32_e32 v30, s3, v26
	v_dual_mov_b32 v82, v13 :: v_dual_add_nc_u32 v59, 0x3180, v50
	v_dual_add_nc_u32 v32, s36, v28 :: v_dual_ashrrev_i32 v29, 31, v28
	s_delay_alu instid0(VALU_DEP_3) | instskip(SKIP_1) | instid1(VALU_DEP_3)
	v_add_nc_u32_e32 v34, s3, v30
	v_dual_mov_b32 v51, 32 :: v_dual_add_nc_u32 v60, 0x39c0, v50
	v_ashrrev_i32_e32 v33, 31, v32
	v_mul_u32_u24_e32 v62, 0x210, v47
	s_delay_alu instid0(VALU_DEP_4) | instskip(SKIP_3) | instid1(VALU_DEP_4)
	v_add_nc_u32_e32 v36, s3, v34
	v_ashrrev_i32_e32 v27, 31, v26
	v_lshl_add_u32 v64, v47, 1, v61
	v_dual_add_nc_u32 v65, v0, v12 :: v_dual_ashrrev_i32 v19, 31, v18
	v_add_nc_u32_e32 v38, s3, v36
	v_dual_mov_b32 v85, v13 :: v_dual_add_nc_u32 v66, 0x800, v1
	v_dual_mov_b32 v80, v13 :: v_dual_add_nc_u32 v67, 0x1000, v1
	s_delay_alu instid0(VALU_DEP_3) | instskip(SKIP_2) | instid1(VALU_DEP_3)
	v_dual_add_nc_u32 v40, s3, v38 :: v_dual_ashrrev_i32 v39, 31, v38
	v_ashrrev_i32_e32 v35, 31, v34
	v_dual_ashrrev_i32 v31, 31, v30 :: v_dual_ashrrev_i32 v37, 31, v36
	v_add_nc_u32_e32 v42, s3, v40
	v_dual_mov_b32 v81, v13 :: v_dual_add_nc_u32 v68, 0x1800, v1
	v_add_nc_u32_e32 v69, 0x2000, v1
	v_add_nc_u32_e32 v70, 0x2800, v1
	;; [unrolled: 1-line block ×3, first 2 shown]
	v_dual_ashrrev_i32 v41, 31, v40 :: v_dual_ashrrev_i32 v43, 31, v42
	v_add_nc_u32_e32 v72, 0x3800, v1
	v_xor_b32_e32 v56, 16, v49
	v_xor_b32_e32 v55, 8, v49
	;; [unrolled: 1-line block ×5, first 2 shown]
	v_add_nc_u32_e32 v73, 0x800, v45
	v_add_nc_u32_e32 v74, 0x1000, v45
	v_add_nc_u32_e32 v75, 0x1800, v45
	v_add_nc_u32_e32 v76, 0x2000, v45
	v_add_nc_u32_e32 v77, 0x2800, v45
	v_add_nc_u32_e32 v78, 0x3000, v45
	v_add_nc_u32_e32 v79, 0x3800, v45
	v_mov_b32_e32 v44, 0xfeffffff
	s_add_nc_u64 s[8:9], s[8:9], s[34:35]
	s_ashr_i32 s21, s20, 31
	s_ashr_i32 s25, s24, 31
	s_add_nc_u64 s[6:7], s[6:7], s[20:21]
	s_add_nc_u64 s[8:9], s[8:9], s[24:25]
	s_ashr_i32 s15, s14, 31
	s_ashr_i32 s11, s10, 31
	s_add_nc_u64 s[20:21], s[0:1], 0xd0
.LBB23_9:                               ; =>This Inner Loop Header: Depth=1
	v_cmp_gt_i32_e32 vcc_lo, 32, v56
	v_add_nc_u32_e32 v1, s4, v63
	s_ashr_i32 s5, s4, 31
	v_dual_mov_b32 v2, 0 :: v_dual_mov_b32 v0, v44
	v_cndmask_b32_e32 v3, v49, v56, vcc_lo
	v_cmp_gt_i32_e32 vcc_lo, 32, v55
	s_mul_u64 s[24:25], s[4:5], s[14:15]
	s_mul_u64 s[26:27], s[4:5], s[10:11]
	s_lshl_b64 s[24:25], s[24:25], 2
	v_dual_max_num_f32 v44, v0, v0 :: v_dual_lshlrev_b32 v83, 2, v3
	v_cndmask_b32_e32 v4, v49, v55, vcc_lo
	v_cmp_gt_i32_e32 vcc_lo, 32, v54
	s_add_nc_u64 s[34:35], s[6:7], s[24:25]
	v_add_nc_u32_e32 v3, 0x840, v50
	s_lshl_b64 s[26:27], s[26:27], 2
	v_cndmask_b32_e32 v5, v49, v54, vcc_lo
	v_cmp_gt_i32_e32 vcc_lo, 32, v53
	v_lshlrev_b32_e32 v98, 2, v4
	s_add_nc_u64 s[24:25], s[8:9], s[26:27]
	s_delay_alu instid0(VALU_DEP_3)
	v_lshlrev_b32_e32 v99, 2, v5
	v_cndmask_b32_e32 v6, v49, v53, vcc_lo
	v_cmp_gt_i32_e32 vcc_lo, 32, v52
	v_lshl_add_u64 v[4:5], v[10:11], 2, s[34:35]
	v_lshl_add_u64 v[92:93], v[30:31], 2, s[24:25]
	;; [unrolled: 1-line block ×4, first 2 shown]
	v_dual_cndmask_b32 v7, v49, v52 :: v_dual_lshlrev_b32 v100, 2, v6
	v_add_nc_u64_e32 v[4:5], v[4:5], v[12:13]
	s_delay_alu instid0(VALU_DEP_2) | instskip(SKIP_1) | instid1(VALU_DEP_1)
	v_lshlrev_b32_e32 v101, 2, v7
	v_lshl_add_u64 v[6:7], v[14:15], 2, s[34:35]
	v_add_nc_u64_e32 v[86:87], v[6:7], v[12:13]
	s_clause 0x1
	global_load_b128 v[4:7], v[4:5], off
	global_load_b128 v[86:89], v[86:87], off
	s_wait_loadcnt 0x1
	ds_store_b128 v50, v[4:7]
	v_lshl_add_u64 v[4:5], v[16:17], 2, s[34:35]
	v_lshl_add_u64 v[6:7], v[20:21], 2, s[34:35]
	s_wait_loadcnt 0x0
	ds_store_b128 v3, v[86:89]
	v_add_nc_u32_e32 v3, 0x1080, v50
	v_add_nc_u64_e32 v[4:5], v[4:5], v[12:13]
	v_add_nc_u64_e32 v[90:91], v[6:7], v[12:13]
	s_clause 0x1
	global_load_b128 v[4:7], v[4:5], off
	global_load_b128 v[86:89], v[90:91], off
	s_wait_loadcnt 0x1
	ds_store_b128 v3, v[4:7]
	v_lshl_add_u64 v[4:5], v[22:23], 2, s[34:35]
	v_lshl_add_u64 v[6:7], v[24:25], 2, s[34:35]
	v_add_nc_u32_e32 v3, 0x18c0, v50
	s_delay_alu instid0(VALU_DEP_3) | instskip(SKIP_1) | instid1(VALU_DEP_3)
	v_add_nc_u64_e32 v[4:5], v[4:5], v[12:13]
	s_wait_xcnt 0x0
	v_add_nc_u64_e32 v[90:91], v[6:7], v[12:13]
	s_wait_loadcnt 0x0
	ds_store_b128 v3, v[86:89]
	s_clause 0x1
	global_load_b128 v[4:7], v[4:5], off
	global_load_b128 v[86:89], v[90:91], off
	s_wait_loadcnt 0x1
	ds_store_b128 v57, v[4:7]
	v_lshl_add_u64 v[4:5], v[28:29], 2, s[34:35]
	v_lshl_add_u64 v[6:7], v[32:33], 2, s[34:35]
	s_wait_loadcnt 0x0
	ds_store_b128 v58, v[86:89]
	v_add_nc_u64_e32 v[4:5], v[4:5], v[12:13]
	v_add_nc_u64_e32 v[90:91], v[6:7], v[12:13]
	s_clause 0x1
	global_load_b128 v[4:7], v[4:5], off
	global_load_b128 v[86:89], v[90:91], off
	s_wait_loadcnt 0x1
	ds_store_b128 v59, v[4:7]
	s_wait_loadcnt 0x0
	ds_store_b128 v60, v[86:89]
	s_wait_dscnt 0x0
	s_barrier_signal -1
	s_barrier_wait -1
	ds_load_b128 v[4:7], v62
	ds_load_b128 v[86:89], v48
	s_wait_dscnt 0x0
	;;#ASMSTART
	v_dot2_f32_f16 v2, v4, v86, v2
	;;#ASMEND
	;;#ASMSTART
	v_dot2_f32_f16 v2, v5, v87, v2
	;;#ASMEND
	;;#ASMSTART
	v_dot2_f32_f16 v2, v6, v88, v2
	;;#ASMEND
	;;#ASMSTART
	v_dot2_f32_f16 v2, v7, v89, v2
	;;#ASMEND
	ds_load_b128 v[4:7], v62 offset:16
	ds_load_b128 v[86:89], v48 offset:16
	s_wait_dscnt 0x0
	;;#ASMSTART
	v_dot2_f32_f16 v2, v4, v86, v2
	;;#ASMEND
	;;#ASMSTART
	v_dot2_f32_f16 v2, v5, v87, v2
	;;#ASMEND
	;;#ASMSTART
	v_dot2_f32_f16 v2, v6, v88, v2
	;;#ASMEND
	;;#ASMSTART
	v_dot2_f32_f16 v2, v7, v89, v2
	;;#ASMEND
	ds_load_b128 v[4:7], v62 offset:32
	ds_load_b128 v[86:89], v48 offset:32
	;; [unrolled: 15-line block ×31, first 2 shown]
	s_wait_dscnt 0x0
	;;#ASMSTART
	v_dot2_f32_f16 v2, v4, v86, v2
	;;#ASMEND
	;;#ASMSTART
	v_dot2_f32_f16 v2, v5, v87, v2
	;;#ASMEND
	;; [unrolled: 3-line block ×4, first 2 shown]
	global_load_u16 v1, v1, s[30:31] scale_offset
	v_lshl_add_u64 v[4:5], v[18:19], 2, s[24:25]
	v_lshl_add_u64 v[6:7], v[26:27], 2, s[24:25]
	s_wait_loadcnt 0x0
	s_barrier_signal -1
	s_barrier_wait -1
	s_delay_alu instid0(VALU_DEP_1) | instskip(SKIP_3) | instid1(VALU_DEP_1)
	v_add_nc_u64_e32 v[6:7], v[6:7], v[12:13]
	global_load_b128 v[88:91], v[6:7], off
	s_wait_xcnt 0x0
	v_lshl_add_u64 v[6:7], v[38:39], 2, s[24:25]
	v_add_nc_u64_e32 v[6:7], v[6:7], v[12:13]
	v_cvt_f32_f16_e32 v1, v1
	s_delay_alu instid0(VALU_DEP_1) | instskip(NEXT) | instid1(VALU_DEP_1)
	v_add_f32_e32 v1, v2, v1
	v_add_f32_e32 v2, 0x40051340, v1
	s_delay_alu instid0(VALU_DEP_1) | instskip(SKIP_4) | instid1(VALU_DEP_1)
	v_max_num_f32_e32 v44, v44, v2
	v_add_nc_u64_e32 v[2:3], v[4:5], v[12:13]
	ds_bpermute_b32 v4, v83, v44
	s_wait_dscnt 0x0
	v_max_num_f32_e32 v4, v4, v4
	v_max_num_f32_e32 v4, v44, v4
	ds_bpermute_b32 v5, v98, v4
	s_wait_dscnt 0x0
	v_max_num_f32_e32 v5, v5, v5
	s_delay_alu instid0(VALU_DEP_1) | instskip(SKIP_4) | instid1(VALU_DEP_1)
	v_max_num_f32_e32 v4, v4, v5
	ds_bpermute_b32 v5, v99, v4
	v_lshl_add_u64 v[98:99], v[40:41], 2, s[24:25]
	s_wait_dscnt 0x0
	v_max_num_f32_e32 v5, v5, v5
	v_max_num_f32_e32 v4, v4, v5
	ds_bpermute_b32 v5, v100, v4
	s_wait_dscnt 0x0
	v_max_num_f32_e32 v5, v5, v5
	s_delay_alu instid0(VALU_DEP_1) | instskip(SKIP_3) | instid1(VALU_DEP_1)
	v_max_num_f32_e32 v4, v4, v5
	ds_bpermute_b32 v5, v101, v4
	s_wait_dscnt 0x0
	v_max_num_f32_e32 v5, v5, v5
	v_max_num_f32_e32 v44, v4, v5
	s_delay_alu instid0(VALU_DEP_1) | instskip(NEXT) | instid1(VALU_DEP_1)
	v_sub_f32_e32 v1, v1, v44
	v_mul_f32_e32 v4, 0x3fb8aa3b, v1
	v_cmp_ngt_f32_e32 vcc_lo, 0xc2ce8ed0, v1
	s_delay_alu instid0(VALU_DEP_2) | instskip(SKIP_1) | instid1(VALU_DEP_1)
	v_fma_f32 v5, 0x3fb8aa3b, v1, -v4
	v_rndne_f32_e32 v83, v4
	v_dual_fmac_f32 v5, 0x32a5705f, v1 :: v_dual_sub_f32 v4, v4, v83
	v_cvt_i32_f32_e32 v83, v83
	s_delay_alu instid0(VALU_DEP_2) | instskip(SKIP_3) | instid1(TRANS32_DEP_1)
	v_add_f32_e32 v86, v4, v5
	global_load_b128 v[2:5], v[2:3], off
	v_exp_f32_e32 v86, v86
	v_nop
	v_ldexp_f32 v83, v86, v83
	s_delay_alu instid0(VALU_DEP_1) | instskip(SKIP_1) | instid1(VALU_DEP_2)
	v_cndmask_b32_e32 v83, 0, v83, vcc_lo
	v_cmp_nlt_f32_e32 vcc_lo, 0x42b17218, v1
	v_cndmask_b32_e32 v86, 0x7f800000, v83, vcc_lo
	s_delay_alu instid0(VALU_DEP_1)
	v_cvt_f16_f32_e32 v1, v86
	ds_store_b16 v64, v1
	s_wait_loadcnt 0x0
	ds_store_b128 v65, v[2:5]
	v_add_nc_u64_e32 v[2:3], v[92:93], v[12:13]
	v_add_nc_u64_e32 v[92:93], v[94:95], v[12:13]
	ds_store_b128 v66, v[88:91]
	s_clause 0x1
	global_load_b128 v[2:5], v[2:3], off
	global_load_b128 v[88:91], v[92:93], off
	s_wait_xcnt 0x0
	v_add_nc_u64_e32 v[92:93], v[98:99], v[12:13]
	s_wait_loadcnt 0x1
	ds_store_b128 v67, v[2:5]
	v_add_nc_u64_e32 v[4:5], v[96:97], v[12:13]
	v_lshl_add_u64 v[2:3], v[42:43], 2, s[24:25]
	s_wait_loadcnt 0x0
	ds_store_b128 v68, v[88:91]
	v_add_nc_u64_e32 v[96:97], v[2:3], v[12:13]
	s_clause 0x2
	global_load_b128 v[2:5], v[4:5], off
	global_load_b128 v[88:91], v[6:7], off
	;; [unrolled: 1-line block ×3, first 2 shown]
	s_wait_xcnt 0x1
	v_sub_f32_e32 v6, v0, v44
	s_delay_alu instid0(VALU_DEP_1) | instskip(SKIP_1) | instid1(VALU_DEP_2)
	v_mul_f32_e32 v0, 0x3fb8aa3b, v6
	v_cmp_ngt_f32_e32 vcc_lo, 0xc2ce8ed0, v6
	v_fma_f32 v1, 0x3fb8aa3b, v6, -v0
	s_wait_loadcnt 0x2
	ds_store_b128 v69, v[2:5]
	v_rndne_f32_e32 v4, v0
	s_delay_alu instid0(VALU_DEP_1) | instskip(SKIP_1) | instid1(VALU_DEP_2)
	v_dual_fmac_f32 v1, 0x32a5705f, v6 :: v_dual_sub_f32 v0, v0, v4
	v_cvt_i32_f32_e32 v4, v4
	v_add_f32_e32 v5, v0, v1
	global_load_b128 v[0:3], v[96:97], off
	s_wait_loadcnt 0x2
	ds_store_b128 v70, v[88:91]
	s_wait_loadcnt 0x1
	ds_store_b128 v71, v[92:95]
	;; [unrolled: 2-line block ×3, first 2 shown]
	v_exp_f32_e32 v5, v5
	s_wait_dscnt 0x0
	s_barrier_signal -1
	s_barrier_wait -1
	v_nop
	s_delay_alu instid0(TRANS32_DEP_1) | instskip(NEXT) | instid1(VALU_DEP_1)
	v_ldexp_f32 v4, v5, v4
	v_cndmask_b32_e32 v4, 0, v4, vcc_lo
	v_cmp_nlt_f32_e32 vcc_lo, 0x42b17218, v6
	s_delay_alu instid0(VALU_DEP_2) | instskip(SKIP_4) | instid1(VALU_DEP_1)
	v_cndmask_b32_e32 v83, 0x7f800000, v4, vcc_lo
	ds_load_b128 v[4:7], v61
	ds_load_2addr_b64 v[90:93], v45 offset1:32
	ds_load_b128 v[0:3], v61 offset:16
	v_cvt_f16_f32_e32 v87, v83
	v_and_b32_e32 v87, 0xffff, v87
	s_delay_alu instid0(VALU_DEP_1) | instskip(NEXT) | instid1(VALU_DEP_1)
	v_mul_u32_u24_e32 v87, 0x10001, v87
	v_pk_mul_f16 v88, v84, v87
	s_wait_dscnt 0x2
	v_and_b32_e32 v84, 0xffff, v4
	v_pk_mul_f16 v85, v85, v87
	v_lshrrev_b32_e32 v4, 16, v4
	s_delay_alu instid0(VALU_DEP_3) | instskip(NEXT) | instid1(VALU_DEP_2)
	v_mul_u32_u24_e32 v94, 0x10001, v84
	v_mul_u32_u24_e32 v4, 0x10001, v4
	s_wait_dscnt 0x1
	s_delay_alu instid0(VALU_DEP_2)
	v_pk_fma_f16 v84, v92, v94, v85
	v_pk_fma_f16 v85, v93, v94, v88
	v_pk_mul_f16 v89, v90, v94
	v_pk_mul_f16 v88, v91, v94
	ds_load_2addr_b64 v[92:95], v45 offset0:64 offset1:96
	v_mov_b32_e32 v90, v80
	v_and_b32_e32 v91, 0xffff, v7
	v_pk_fma_f16 v82, v82, v87, v89
	v_pk_fma_f16 v81, v81, v87, v88
	s_delay_alu instid0(VALU_DEP_3)
	v_mul_u32_u24_e32 v91, 0x10001, v91
	s_wait_dscnt 0x0
	v_pk_fma_f16 v88, v94, v4, v84
	v_pk_fma_f16 v89, v95, v4, v85
	;; [unrolled: 1-line block ×4, first 2 shown]
	v_and_b32_e32 v81, 0xffff, v5
	v_dual_mov_b32 v80, v86 :: v_dual_lshrrev_b32 v5, 16, v5
	ds_load_2addr_b64 v[84:87], v45 offset0:128 offset1:160
	v_lshrrev_b32_e32 v92, 16, v7
	v_mul_u32_u24_e32 v81, 0x10001, v81
	v_mul_u32_u24_e32 v5, 0x10001, v5
	v_fmac_f32_e32 v80, v90, v83
	s_wait_dscnt 0x0
	s_delay_alu instid0(VALU_DEP_3)
	v_pk_fma_f16 v88, v86, v81, v88
	v_pk_fma_f16 v89, v87, v81, v89
	;; [unrolled: 1-line block ×4, first 2 shown]
	ds_load_2addr_b64 v[84:87], v45 offset0:192 offset1:224
	s_wait_dscnt 0x0
	v_pk_fma_f16 v81, v86, v5, v88
	v_pk_fma_f16 v88, v87, v5, v89
	;; [unrolled: 1-line block ×4, first 2 shown]
	ds_load_2addr_b64 v[84:87], v73 offset1:32
	v_and_b32_e32 v5, 0xffff, v6
	s_delay_alu instid0(VALU_DEP_1) | instskip(SKIP_1) | instid1(VALU_DEP_1)
	v_mul_u32_u24_e32 v5, 0x10001, v5
	s_wait_dscnt 0x0
	v_pk_fma_f16 v81, v86, v5, v81
	v_pk_fma_f16 v88, v87, v5, v88
	;; [unrolled: 1-line block ×4, first 2 shown]
	ds_load_2addr_b64 v[84:87], v73 offset0:64 offset1:96
	v_lshrrev_b32_e32 v5, 16, v6
	s_delay_alu instid0(VALU_DEP_1) | instskip(SKIP_1) | instid1(VALU_DEP_1)
	v_mul_u32_u24_e32 v5, 0x10001, v5
	s_wait_dscnt 0x0
	v_pk_fma_f16 v81, v86, v5, v81
	v_pk_fma_f16 v88, v87, v5, v88
	v_pk_fma_f16 v82, v84, v5, v82
	v_pk_fma_f16 v89, v85, v5, v4
	ds_load_2addr_b64 v[84:87], v73 offset0:128 offset1:160
	ds_load_2addr_b64 v[4:7], v73 offset0:192 offset1:224
	s_wait_dscnt 0x1
	v_pk_fma_f16 v81, v86, v91, v81
	v_pk_fma_f16 v88, v87, v91, v88
	;; [unrolled: 1-line block ×4, first 2 shown]
	ds_load_2addr_b64 v[84:87], v74 offset1:32
	v_mul_u32_u24_e32 v91, 0x10001, v92
	ds_load_2addr_b64 v[92:95], v75 offset0:192 offset1:224
	s_wait_dscnt 0x2
	v_pk_fma_f16 v81, v6, v91, v81
	v_pk_fma_f16 v88, v7, v91, v88
	;; [unrolled: 1-line block ×4, first 2 shown]
	ds_load_2addr_b64 v[4:7], v74 offset0:64 offset1:96
	v_and_b32_e32 v91, 0xffff, v0
	v_lshrrev_b32_e32 v0, 16, v0
	s_delay_alu instid0(VALU_DEP_2) | instskip(NEXT) | instid1(VALU_DEP_2)
	v_mul_u32_u24_e32 v91, 0x10001, v91
	v_mul_u32_u24_e32 v0, 0x10001, v0
	s_wait_dscnt 0x2
	s_delay_alu instid0(VALU_DEP_2)
	v_pk_fma_f16 v81, v86, v91, v81
	v_pk_fma_f16 v88, v87, v91, v88
	;; [unrolled: 1-line block ×4, first 2 shown]
	ds_load_2addr_b64 v[84:87], v74 offset0:128 offset1:160
	s_wait_dscnt 0x1
	v_pk_fma_f16 v81, v6, v0, v81
	v_pk_fma_f16 v88, v7, v0, v88
	;; [unrolled: 1-line block ×4, first 2 shown]
	ds_load_2addr_b64 v[4:7], v74 offset0:192 offset1:224
	v_and_b32_e32 v89, 0xffff, v1
	v_lshrrev_b32_e32 v1, 16, v1
	s_delay_alu instid0(VALU_DEP_2) | instskip(NEXT) | instid1(VALU_DEP_2)
	v_mul_u32_u24_e32 v89, 0x10001, v89
	v_mul_u32_u24_e32 v1, 0x10001, v1
	s_wait_dscnt 0x1
	s_delay_alu instid0(VALU_DEP_2)
	v_pk_fma_f16 v81, v86, v89, v81
	v_pk_fma_f16 v88, v87, v89, v88
	;; [unrolled: 1-line block ×4, first 2 shown]
	ds_load_2addr_b64 v[84:87], v75 offset1:32
	s_wait_dscnt 0x1
	v_pk_fma_f16 v81, v6, v1, v81
	v_pk_fma_f16 v88, v7, v1, v88
	;; [unrolled: 1-line block ×4, first 2 shown]
	ds_load_2addr_b64 v[4:7], v75 offset0:64 offset1:96
	v_and_b32_e32 v1, 0xffff, v2
	s_delay_alu instid0(VALU_DEP_1) | instskip(SKIP_1) | instid1(VALU_DEP_1)
	v_mul_u32_u24_e32 v1, 0x10001, v1
	s_wait_dscnt 0x1
	v_pk_fma_f16 v81, v86, v1, v81
	v_pk_fma_f16 v88, v87, v1, v88
	;; [unrolled: 1-line block ×4, first 2 shown]
	ds_load_2addr_b64 v[84:87], v75 offset0:128 offset1:160
	v_lshrrev_b32_e32 v1, 16, v2
	s_delay_alu instid0(VALU_DEP_1) | instskip(SKIP_1) | instid1(VALU_DEP_1)
	v_mul_u32_u24_e32 v1, 0x10001, v1
	s_wait_dscnt 0x1
	v_pk_fma_f16 v2, v6, v1, v81
	v_pk_fma_f16 v81, v7, v1, v88
	;; [unrolled: 1-line block ×4, first 2 shown]
	v_and_b32_e32 v1, 0xffff, v3
	ds_load_b128 v[4:7], v61 offset:32
	v_lshrrev_b32_e32 v3, 16, v3
	v_mul_u32_u24_e32 v1, 0x10001, v1
	s_wait_dscnt 0x1
	s_delay_alu instid0(VALU_DEP_1)
	v_pk_fma_f16 v2, v86, v1, v2
	v_pk_fma_f16 v81, v87, v1, v81
	;; [unrolled: 1-line block ×4, first 2 shown]
	ds_load_2addr_b64 v[84:87], v76 offset1:32
	v_mul_u32_u24_e32 v1, 0x10001, v3
	s_delay_alu instid0(VALU_DEP_1)
	v_pk_fma_f16 v88, v94, v1, v2
	v_pk_fma_f16 v81, v95, v1, v81
	;; [unrolled: 1-line block ×4, first 2 shown]
	ds_load_b128 v[0:3], v61 offset:48
	s_wait_dscnt 0x2
	v_and_b32_e32 v91, 0xffff, v4
	v_lshrrev_b32_e32 v4, 16, v4
	s_delay_alu instid0(VALU_DEP_2) | instskip(NEXT) | instid1(VALU_DEP_2)
	v_mul_u32_u24_e32 v91, 0x10001, v91
	v_mul_u32_u24_e32 v4, 0x10001, v4
	s_wait_dscnt 0x1
	s_delay_alu instid0(VALU_DEP_2)
	v_pk_fma_f16 v88, v86, v91, v88
	v_pk_fma_f16 v81, v87, v91, v81
	;; [unrolled: 1-line block ×4, first 2 shown]
	ds_load_2addr_b64 v[84:87], v76 offset0:64 offset1:96
	s_wait_dscnt 0x1
	v_lshrrev_b32_e32 v92, 16, v3
	s_wait_dscnt 0x0
	v_pk_fma_f16 v88, v86, v4, v88
	v_pk_fma_f16 v81, v87, v4, v81
	;; [unrolled: 1-line block ×4, first 2 shown]
	ds_load_2addr_b64 v[84:87], v76 offset0:128 offset1:160
	v_and_b32_e32 v89, 0xffff, v5
	v_lshrrev_b32_e32 v5, 16, v5
	s_delay_alu instid0(VALU_DEP_2) | instskip(NEXT) | instid1(VALU_DEP_2)
	v_mul_u32_u24_e32 v89, 0x10001, v89
	v_mul_u32_u24_e32 v5, 0x10001, v5
	s_wait_dscnt 0x0
	s_delay_alu instid0(VALU_DEP_2)
	v_pk_fma_f16 v88, v86, v89, v88
	v_pk_fma_f16 v81, v87, v89, v81
	;; [unrolled: 1-line block ×4, first 2 shown]
	ds_load_2addr_b64 v[84:87], v76 offset0:192 offset1:224
	s_wait_dscnt 0x0
	v_pk_fma_f16 v88, v86, v5, v88
	v_pk_fma_f16 v81, v87, v5, v81
	v_pk_fma_f16 v82, v84, v5, v82
	v_pk_fma_f16 v4, v85, v5, v4
	ds_load_2addr_b64 v[84:87], v77 offset1:32
	v_and_b32_e32 v5, 0xffff, v6
	s_delay_alu instid0(VALU_DEP_1) | instskip(SKIP_1) | instid1(VALU_DEP_1)
	v_mul_u32_u24_e32 v5, 0x10001, v5
	s_wait_dscnt 0x0
	v_pk_fma_f16 v88, v86, v5, v88
	v_pk_fma_f16 v81, v87, v5, v81
	;; [unrolled: 1-line block ×4, first 2 shown]
	ds_load_2addr_b64 v[84:87], v77 offset0:64 offset1:96
	v_lshrrev_b32_e32 v5, 16, v6
	s_delay_alu instid0(VALU_DEP_1) | instskip(SKIP_1) | instid1(VALU_DEP_1)
	v_mul_u32_u24_e32 v5, 0x10001, v5
	s_wait_dscnt 0x0
	v_pk_fma_f16 v6, v86, v5, v88
	v_pk_fma_f16 v81, v87, v5, v81
	;; [unrolled: 1-line block ×4, first 2 shown]
	ds_load_2addr_b64 v[84:87], v77 offset0:128 offset1:160
	v_and_b32_e32 v5, 0xffff, v7
	ds_load_2addr_b64 v[88:91], v78 offset1:32
	v_mul_u32_u24_e32 v5, 0x10001, v5
	s_wait_dscnt 0x1
	s_delay_alu instid0(VALU_DEP_1)
	v_pk_fma_f16 v6, v86, v5, v6
	v_pk_fma_f16 v81, v87, v5, v81
	;; [unrolled: 1-line block ×4, first 2 shown]
	ds_load_2addr_b64 v[84:87], v77 offset0:192 offset1:224
	v_lshrrev_b32_e32 v5, 16, v7
	s_delay_alu instid0(VALU_DEP_1) | instskip(SKIP_1) | instid1(VALU_DEP_1)
	v_mul_u32_u24_e32 v5, 0x10001, v5
	s_wait_dscnt 0x0
	v_pk_fma_f16 v83, v86, v5, v6
	v_pk_fma_f16 v81, v87, v5, v81
	;; [unrolled: 1-line block ×4, first 2 shown]
	ds_load_2addr_b64 v[4:7], v78 offset0:64 offset1:96
	v_and_b32_e32 v85, 0xffff, v0
	v_lshrrev_b32_e32 v0, 16, v0
	s_delay_alu instid0(VALU_DEP_2) | instskip(NEXT) | instid1(VALU_DEP_2)
	v_mul_u32_u24_e32 v85, 0x10001, v85
	v_mul_u32_u24_e32 v0, 0x10001, v0
	s_delay_alu instid0(VALU_DEP_2)
	v_pk_fma_f16 v86, v90, v85, v83
	v_pk_fma_f16 v81, v91, v85, v81
	;; [unrolled: 1-line block ×4, first 2 shown]
	ds_load_2addr_b64 v[82:85], v78 offset0:128 offset1:160
	v_lshrrev_b32_e32 v90, 16, v2
	v_and_b32_e32 v89, 0xffff, v2
	v_and_b32_e32 v91, 0xffff, v3
	s_wait_dscnt 0x1
	v_pk_fma_f16 v86, v6, v0, v86
	v_pk_fma_f16 v81, v7, v0, v81
	v_pk_fma_f16 v87, v4, v0, v87
	v_pk_fma_f16 v0, v5, v0, v88
	v_and_b32_e32 v88, 0xffff, v1
	ds_load_2addr_b64 v[4:7], v78 offset0:192 offset1:224
	v_lshrrev_b32_e32 v1, 16, v1
	v_mul_u32_u24_e32 v89, 0x10001, v89
	v_mul_u32_u24_e32 v88, 0x10001, v88
	s_delay_alu instid0(VALU_DEP_3) | instskip(SKIP_1) | instid1(VALU_DEP_2)
	v_mul_u32_u24_e32 v1, 0x10001, v1
	s_wait_dscnt 0x1
	v_pk_fma_f16 v86, v84, v88, v86
	v_pk_fma_f16 v81, v85, v88, v81
	v_pk_fma_f16 v87, v82, v88, v87
	v_pk_fma_f16 v0, v83, v88, v0
	ds_load_2addr_b64 v[82:85], v79 offset1:32
	s_wait_dscnt 0x1
	v_pk_fma_f16 v86, v6, v1, v86
	v_pk_fma_f16 v81, v7, v1, v81
	;; [unrolled: 1-line block ×4, first 2 shown]
	ds_load_2addr_b64 v[4:7], v79 offset0:64 offset1:96
	ds_load_2addr_b64 v[0:3], v79 offset0:128 offset1:160
	s_wait_dscnt 0x2
	v_pk_fma_f16 v84, v84, v89, v86
	v_pk_fma_f16 v81, v85, v89, v81
	;; [unrolled: 1-line block ×4, first 2 shown]
	ds_load_2addr_b64 v[86:89], v79 offset0:192 offset1:224
	s_wait_dscnt 0x0
	s_barrier_signal -1
	s_barrier_wait -1
	s_load_b32 s3, s[20:21], 0x4
	v_mul_u32_u24_e32 v85, 0x10001, v90
	v_mul_u32_u24_e32 v90, 0x10001, v91
	s_delay_alu instid0(VALU_DEP_2)
	v_pk_fma_f16 v6, v6, v85, v84
	v_pk_fma_f16 v7, v7, v85, v81
	v_pk_fma_f16 v4, v4, v85, v82
	v_pk_fma_f16 v5, v5, v85, v83
	v_mul_u32_u24_e32 v81, 0x10001, v92
	v_pk_fma_f16 v2, v2, v90, v6
	v_pk_fma_f16 v3, v3, v90, v7
	;; [unrolled: 1-line block ×4, first 2 shown]
	s_delay_alu instid0(VALU_DEP_4) | instskip(NEXT) | instid1(VALU_DEP_4)
	v_pk_fma_f16 v85, v88, v81, v2
	v_pk_fma_f16 v84, v89, v81, v3
	s_delay_alu instid0(VALU_DEP_4) | instskip(NEXT) | instid1(VALU_DEP_4)
	v_pk_fma_f16 v82, v86, v81, v0
	v_pk_fma_f16 v81, v87, v81, v1
	s_wait_kmcnt 0x0
	s_lshl_b32 s3, s3, 5
	s_delay_alu instid0(SALU_CYCLE_1) | instskip(NEXT) | instid1(SALU_CYCLE_1)
	s_add_co_i32 s4, s3, s4
	s_cmp_ge_i32 s4, s28
	s_cbranch_scc0 .LBB23_9
; %bb.10:
	v_mov_b32_e32 v3, v49
.LBB23_11:
	v_cmp_lt_i32_e32 vcc_lo, v56, v51
	s_cmp_lg_u64 s[12:13], 0
	s_cselect_b32 s3, -1, 0
	s_cmp_eq_u32 s29, 0
	v_cndmask_b32_e32 v0, v3, v56, vcc_lo
	v_cmp_lt_i32_e32 vcc_lo, v55, v51
	s_cselect_b32 s4, -1, 0
	s_delay_alu instid0(SALU_CYCLE_1) | instskip(NEXT) | instid1(VALU_DEP_2)
	s_and_b32 s3, s4, s3
	v_dual_cndmask_b32 v1, v3, v55 :: v_dual_lshlrev_b32 v0, 2, v0
	v_cmp_lt_i32_e32 vcc_lo, v54, v51
	s_delay_alu instid0(VALU_DEP_2)
	v_lshlrev_b32_e32 v1, 2, v1
	ds_bpermute_b32 v0, v0, v80
	v_cndmask_b32_e32 v2, v3, v54, vcc_lo
	v_cmp_lt_i32_e32 vcc_lo, v53, v51
	s_wait_dscnt 0x0
	v_add_f32_e32 v0, v80, v0
	ds_bpermute_b32 v1, v1, v0
	s_wait_dscnt 0x0
	v_dual_lshlrev_b32 v2, 2, v2 :: v_dual_add_f32 v0, v0, v1
	ds_bpermute_b32 v1, v2, v0
	v_cndmask_b32_e32 v2, v3, v53, vcc_lo
	v_cmp_lt_i32_e32 vcc_lo, v52, v51
	s_wait_dscnt 0x0
	s_delay_alu instid0(VALU_DEP_2) | instskip(SKIP_4) | instid1(VALU_DEP_1)
	v_dual_lshlrev_b32 v2, 2, v2 :: v_dual_add_f32 v0, v0, v1
	ds_bpermute_b32 v1, v2, v0
	v_cndmask_b32_e32 v2, v3, v52, vcc_lo
	s_and_b32 vcc_lo, exec_lo, s3
	s_wait_dscnt 0x0
	v_dual_add_f32 v0, v0, v1 :: v_dual_lshlrev_b32 v2, 2, v2
	ds_bpermute_b32 v1, v2, v0
	s_wait_dscnt 0x0
	v_dual_add_f32 v45, v0, v1 :: v_dual_add_nc_u32 v2, s33, v8
	s_cbranch_vccz .LBB23_13
; %bb.12:
	global_load_b32 v1, v2, s[12:13] scale_offset
	s_wait_loadcnt 0x0
	v_dual_max_num_f32 v0, v44, v44 :: v_dual_max_num_f32 v3, v1, v1
	s_delay_alu instid0(VALU_DEP_1) | instskip(NEXT) | instid1(VALU_DEP_1)
	v_max_num_f32_e32 v0, v0, v3
	v_sub_f32_e32 v3, v44, v0
	s_delay_alu instid0(VALU_DEP_1) | instskip(NEXT) | instid1(VALU_DEP_1)
	v_mul_f32_e32 v4, 0x3fb8aa3b, v3
	v_fma_f32 v5, 0x3fb8aa3b, v3, -v4
	s_delay_alu instid0(VALU_DEP_1) | instskip(SKIP_2) | instid1(VALU_DEP_2)
	v_fmac_f32_e32 v5, 0x32a5705f, v3
	v_sub_f32_e32 v1, v1, v0
	v_cmp_ngt_f32_e32 vcc_lo, 0xc2ce8ed0, v3
	v_mul_f32_e32 v7, 0x3fb8aa3b, v1
	v_rndne_f32_e32 v6, v4
	s_delay_alu instid0(VALU_DEP_2) | instskip(NEXT) | instid1(VALU_DEP_2)
	v_rndne_f32_e32 v8, v7
	v_sub_f32_e32 v4, v4, v6
	v_cvt_i32_f32_e32 v6, v6
	s_delay_alu instid0(VALU_DEP_2) | instskip(SKIP_2) | instid1(VALU_DEP_3)
	v_add_f32_e32 v4, v4, v5
	v_fma_f32 v5, 0x3fb8aa3b, v1, -v7
	v_sub_f32_e32 v7, v7, v8
	v_exp_f32_e32 v4, v4
	s_delay_alu instid0(VALU_DEP_2) | instskip(NEXT) | instid1(TRANS32_DEP_1)
	v_fmac_f32_e32 v5, 0x32a5705f, v1
	v_ldexp_f32 v4, v4, v6
	s_delay_alu instid0(VALU_DEP_2) | instskip(SKIP_1) | instid1(VALU_DEP_3)
	v_add_f32_e32 v5, v7, v5
	v_cvt_i32_f32_e32 v6, v8
	v_cndmask_b32_e32 v4, 0, v4, vcc_lo
	s_delay_alu instid0(VALU_DEP_3) | instskip(SKIP_1) | instid1(VALU_DEP_2)
	v_exp_f32_e32 v5, v5
	v_cmp_nlt_f32_e32 vcc_lo, 0x42b17218, v3
	v_cndmask_b32_e32 v3, 0x7f800000, v4, vcc_lo
	s_delay_alu instid0(TRANS32_DEP_1) | instskip(SKIP_1) | instid1(VALU_DEP_3)
	v_ldexp_f32 v4, v5, v6
	v_cmp_ngt_f32_e32 vcc_lo, 0xc2ce8ed0, v1
	v_cvt_f16_f32_e32 v5, v3
	s_delay_alu instid0(VALU_DEP_3) | instskip(SKIP_1) | instid1(VALU_DEP_3)
	v_cndmask_b32_e32 v4, 0, v4, vcc_lo
	v_cmp_nlt_f32_e32 vcc_lo, 0x42b17218, v1
	v_and_b32_e32 v5, 0xffff, v5
	s_delay_alu instid0(VALU_DEP_3) | instskip(NEXT) | instid1(VALU_DEP_2)
	v_cndmask_b32_e32 v1, 0x7f800000, v4, vcc_lo
	v_mul_u32_u24_e32 v4, 0x10001, v5
	s_delay_alu instid0(VALU_DEP_2) | instskip(NEXT) | instid1(VALU_DEP_2)
	v_fmac_f32_e32 v1, v45, v3
	v_pk_mul_f16 v82, v82, v4
	v_pk_mul_f16 v81, v81, v4
	;; [unrolled: 1-line block ×3, first 2 shown]
	s_delay_alu instid0(VALU_DEP_4)
	v_mov_b64_e32 v[44:45], v[0:1]
	v_pk_mul_f16 v84, v84, v4
	s_branch .LBB23_14
.LBB23_13:
	s_delay_alu instid0(VALU_DEP_1)
	v_mov_b32_e32 v1, v45
.LBB23_14:
	s_delay_alu instid0(VALU_DEP_1) | instskip(SKIP_3) | instid1(VALU_DEP_3)
	v_div_scale_f32 v5, null, v1, v1, 1.0
	v_mad_u32 v0, s2, s22, v46
	s_load_b32 s1, s[0:1], 0xd4
	v_div_scale_f32 v8, vcc_lo, 1.0, v1, 1.0
	v_rcp_f32_e32 v7, v5
	v_dual_lshrrev_b32 v16, 16, v85 :: v_dual_lshrrev_b32 v17, 16, v84
	v_cvt_f32_f16_e32 v4, v82
	v_cvt_f32_f16_e32 v6, v81
	s_wait_xcnt 0x0
	v_cmp_eq_u32_e64 s0, 0, v47
	s_delay_alu instid0(TRANS32_DEP_1) | instskip(SKIP_1) | instid1(VALU_DEP_2)
	v_fma_f32 v3, -v5, v7, 1.0
	v_mad_u32 v0, v0, s23, v2
	v_dual_fmac_f32 v7, v3, v7 :: v_dual_mov_b32 v3, 0
	s_delay_alu instid0(VALU_DEP_1) | instskip(SKIP_2) | instid1(VALU_DEP_3)
	v_mul_f32_e32 v10, v8, v7
	s_wait_kmcnt 0x0
	s_cmp_lg_u32 s1, 1
	v_mad_u32 v0, s1, v0, s29
	s_cselect_b32 s1, -1, 0
	v_fma_f32 v2, -v5, v10, v8
	v_lshrrev_b32_e32 v11, 16, v82
	s_and_b32 s0, s0, s1
	s_delay_alu instid0(VALU_DEP_2) | instskip(NEXT) | instid1(VALU_DEP_1)
	v_dual_fmac_f32 v10, v2, v7 :: v_dual_lshrrev_b32 v15, 16, v81
	v_fma_f32 v2, -v5, v10, v8
	s_delay_alu instid0(VALU_DEP_3) | instskip(SKIP_2) | instid1(VALU_DEP_4)
	v_cvt_f32_f16_e32 v5, v11
	v_cvt_f32_f16_e32 v8, v85
	;; [unrolled: 1-line block ×3, first 2 shown]
	v_div_fmas_f32 v7, v2, v7, v10
	v_lshl_add_u32 v2, v0, 8, v9
	v_cvt_f32_f16_e32 v10, v84
	v_cvt_f32_f16_e32 v9, v16
	s_delay_alu instid0(VALU_DEP_4) | instskip(NEXT) | instid1(VALU_DEP_4)
	v_div_fixup_f32 v1, v7, v1, 1.0
	v_lshl_add_u64 v[12:13], v[2:3], 2, s[16:17]
	v_add_nc_u32_e32 v2, 0x80, v2
	v_cvt_f32_f16_e32 v7, v15
	s_delay_alu instid0(VALU_DEP_4) | instskip(NEXT) | instid1(VALU_DEP_3)
	v_cndmask_b32_e64 v14, v1, 1.0, s1
	v_lshl_add_u64 v[16:17], v[2:3], 2, s[16:17]
	s_delay_alu instid0(VALU_DEP_2) | instskip(NEXT) | instid1(VALU_DEP_4)
	v_pk_mul_f32 v[2:3], v[14:15], v[4:5] op_sel_hi:[0,1]
	v_pk_mul_f32 v[4:5], v[14:15], v[6:7] op_sel_hi:[0,1]
	;; [unrolled: 1-line block ×4, first 2 shown]
	s_clause 0x1
	global_store_b128 v[12:13], v[2:5], off
	global_store_b128 v[16:17], v[6:9], off
	s_wait_xcnt 0x0
	s_and_saveexec_b32 s1, s0
	s_cbranch_execz .LBB23_16
; %bb.15:
	global_store_b64 v0, v[44:45], s[18:19] scale_offset
.LBB23_16:
	s_sendmsg sendmsg(MSG_DEALLOC_VGPRS)
	s_endpgm
	.section	.rodata,"a",@progbits
	.p2align	6, 0x0
	.amdhsa_kernel _ZL15flash_attn_tileILi256ELi256ELi1ELi4ELb0EEvPKcS1_S1_S1_S1_PKiPfP15HIP_vector_typeIfLj2EEffffjfiS5_IjLj3EEiiiiiiiiiiiliiliiiiil
		.amdhsa_group_segment_fixed_size 19200
		.amdhsa_private_segment_fixed_size 0
		.amdhsa_kernarg_size 464
		.amdhsa_user_sgpr_count 2
		.amdhsa_user_sgpr_dispatch_ptr 0
		.amdhsa_user_sgpr_queue_ptr 0
		.amdhsa_user_sgpr_kernarg_segment_ptr 1
		.amdhsa_user_sgpr_dispatch_id 0
		.amdhsa_user_sgpr_kernarg_preload_length 0
		.amdhsa_user_sgpr_kernarg_preload_offset 0
		.amdhsa_user_sgpr_private_segment_size 0
		.amdhsa_wavefront_size32 1
		.amdhsa_uses_dynamic_stack 0
		.amdhsa_enable_private_segment 0
		.amdhsa_system_sgpr_workgroup_id_x 1
		.amdhsa_system_sgpr_workgroup_id_y 1
		.amdhsa_system_sgpr_workgroup_id_z 1
		.amdhsa_system_sgpr_workgroup_info 0
		.amdhsa_system_vgpr_workitem_id 1
		.amdhsa_next_free_vgpr 102
		.amdhsa_next_free_sgpr 43
		.amdhsa_named_barrier_count 0
		.amdhsa_reserve_vcc 1
		.amdhsa_float_round_mode_32 0
		.amdhsa_float_round_mode_16_64 0
		.amdhsa_float_denorm_mode_32 3
		.amdhsa_float_denorm_mode_16_64 3
		.amdhsa_fp16_overflow 0
		.amdhsa_memory_ordered 1
		.amdhsa_forward_progress 1
		.amdhsa_inst_pref_size 53
		.amdhsa_round_robin_scheduling 0
		.amdhsa_exception_fp_ieee_invalid_op 0
		.amdhsa_exception_fp_denorm_src 0
		.amdhsa_exception_fp_ieee_div_zero 0
		.amdhsa_exception_fp_ieee_overflow 0
		.amdhsa_exception_fp_ieee_underflow 0
		.amdhsa_exception_fp_ieee_inexact 0
		.amdhsa_exception_int_div_zero 0
	.end_amdhsa_kernel
	.section	.text._ZL15flash_attn_tileILi256ELi256ELi1ELi4ELb0EEvPKcS1_S1_S1_S1_PKiPfP15HIP_vector_typeIfLj2EEffffjfiS5_IjLj3EEiiiiiiiiiiiliiliiiiil,"axG",@progbits,_ZL15flash_attn_tileILi256ELi256ELi1ELi4ELb0EEvPKcS1_S1_S1_S1_PKiPfP15HIP_vector_typeIfLj2EEffffjfiS5_IjLj3EEiiiiiiiiiiiliiliiiiil,comdat
.Lfunc_end23:
	.size	_ZL15flash_attn_tileILi256ELi256ELi1ELi4ELb0EEvPKcS1_S1_S1_S1_PKiPfP15HIP_vector_typeIfLj2EEffffjfiS5_IjLj3EEiiiiiiiiiiiliiliiiiil, .Lfunc_end23-_ZL15flash_attn_tileILi256ELi256ELi1ELi4ELb0EEvPKcS1_S1_S1_S1_PKiPfP15HIP_vector_typeIfLj2EEffffjfiS5_IjLj3EEiiiiiiiiiiiliiliiiiil
                                        ; -- End function
	.set _ZL15flash_attn_tileILi256ELi256ELi1ELi4ELb0EEvPKcS1_S1_S1_S1_PKiPfP15HIP_vector_typeIfLj2EEffffjfiS5_IjLj3EEiiiiiiiiiiiliiliiiiil.num_vgpr, 102
	.set _ZL15flash_attn_tileILi256ELi256ELi1ELi4ELb0EEvPKcS1_S1_S1_S1_PKiPfP15HIP_vector_typeIfLj2EEffffjfiS5_IjLj3EEiiiiiiiiiiiliiliiiiil.num_agpr, 0
	.set _ZL15flash_attn_tileILi256ELi256ELi1ELi4ELb0EEvPKcS1_S1_S1_S1_PKiPfP15HIP_vector_typeIfLj2EEffffjfiS5_IjLj3EEiiiiiiiiiiiliiliiiiil.numbered_sgpr, 43
	.set _ZL15flash_attn_tileILi256ELi256ELi1ELi4ELb0EEvPKcS1_S1_S1_S1_PKiPfP15HIP_vector_typeIfLj2EEffffjfiS5_IjLj3EEiiiiiiiiiiiliiliiiiil.num_named_barrier, 0
	.set _ZL15flash_attn_tileILi256ELi256ELi1ELi4ELb0EEvPKcS1_S1_S1_S1_PKiPfP15HIP_vector_typeIfLj2EEffffjfiS5_IjLj3EEiiiiiiiiiiiliiliiiiil.private_seg_size, 0
	.set _ZL15flash_attn_tileILi256ELi256ELi1ELi4ELb0EEvPKcS1_S1_S1_S1_PKiPfP15HIP_vector_typeIfLj2EEffffjfiS5_IjLj3EEiiiiiiiiiiiliiliiiiil.uses_vcc, 1
	.set _ZL15flash_attn_tileILi256ELi256ELi1ELi4ELb0EEvPKcS1_S1_S1_S1_PKiPfP15HIP_vector_typeIfLj2EEffffjfiS5_IjLj3EEiiiiiiiiiiiliiliiiiil.uses_flat_scratch, 0
	.set _ZL15flash_attn_tileILi256ELi256ELi1ELi4ELb0EEvPKcS1_S1_S1_S1_PKiPfP15HIP_vector_typeIfLj2EEffffjfiS5_IjLj3EEiiiiiiiiiiiliiliiiiil.has_dyn_sized_stack, 0
	.set _ZL15flash_attn_tileILi256ELi256ELi1ELi4ELb0EEvPKcS1_S1_S1_S1_PKiPfP15HIP_vector_typeIfLj2EEffffjfiS5_IjLj3EEiiiiiiiiiiiliiliiiiil.has_recursion, 0
	.set _ZL15flash_attn_tileILi256ELi256ELi1ELi4ELb0EEvPKcS1_S1_S1_S1_PKiPfP15HIP_vector_typeIfLj2EEffffjfiS5_IjLj3EEiiiiiiiiiiiliiliiiiil.has_indirect_call, 0
	.section	.AMDGPU.csdata,"",@progbits
; Kernel info:
; codeLenInByte = 6732
; TotalNumSgprs: 45
; NumVgprs: 102
; ScratchSize: 0
; MemoryBound: 0
; FloatMode: 240
; IeeeMode: 1
; LDSByteSize: 19200 bytes/workgroup (compile time only)
; SGPRBlocks: 0
; VGPRBlocks: 6
; NumSGPRsForWavesPerEU: 45
; NumVGPRsForWavesPerEU: 102
; NamedBarCnt: 0
; Occupancy: 9
; WaveLimiterHint : 1
; COMPUTE_PGM_RSRC2:SCRATCH_EN: 0
; COMPUTE_PGM_RSRC2:USER_SGPR: 2
; COMPUTE_PGM_RSRC2:TRAP_HANDLER: 0
; COMPUTE_PGM_RSRC2:TGID_X_EN: 1
; COMPUTE_PGM_RSRC2:TGID_Y_EN: 1
; COMPUTE_PGM_RSRC2:TGID_Z_EN: 1
; COMPUTE_PGM_RSRC2:TIDIG_COMP_CNT: 1
	.section	.text._ZL33flash_attn_stream_k_fixup_uniformILi256ELi1ELi4EEvPfPK15HIP_vector_typeIfLj2EEiiiiiiS1_IjLj3EES5_S5_,"axG",@progbits,_ZL33flash_attn_stream_k_fixup_uniformILi256ELi1ELi4EEvPfPK15HIP_vector_typeIfLj2EEiiiiiiS1_IjLj3EES5_S5_,comdat
	.globl	_ZL33flash_attn_stream_k_fixup_uniformILi256ELi1ELi4EEvPfPK15HIP_vector_typeIfLj2EEiiiiiiS1_IjLj3EES5_S5_ ; -- Begin function _ZL33flash_attn_stream_k_fixup_uniformILi256ELi1ELi4EEvPfPK15HIP_vector_typeIfLj2EEiiiiiiS1_IjLj3EES5_S5_
	.p2align	8
	.type	_ZL33flash_attn_stream_k_fixup_uniformILi256ELi1ELi4EEvPfPK15HIP_vector_typeIfLj2EEiiiiiiS1_IjLj3EES5_S5_,@function
_ZL33flash_attn_stream_k_fixup_uniformILi256ELi1ELi4EEvPfPK15HIP_vector_typeIfLj2EEiiiiiiS1_IjLj3EES5_S5_: ; @_ZL33flash_attn_stream_k_fixup_uniformILi256ELi1ELi4EEvPfPK15HIP_vector_typeIfLj2EEiiiiiiS1_IjLj3EES5_S5_
; %bb.0:
	s_load_b256 s[4:11], s[0:1], 0x1c
	s_bfe_u32 s2, ttmp6, 0x40014
	s_lshr_b32 s3, ttmp7, 16
	s_add_co_i32 s2, s2, 1
	s_bfe_u32 s13, ttmp6, 0x40010
	s_mul_i32 s2, s3, s2
	s_bfe_u32 s12, ttmp6, 0x40008
	s_and_b32 s15, ttmp7, 0xffff
	s_add_co_i32 s13, s13, 1
	s_bfe_u32 s14, ttmp6, 0x4000c
	s_add_co_i32 s12, s12, s2
	s_mul_i32 s2, s15, s13
	s_bfe_u32 s13, ttmp6, 0x40004
	s_add_co_i32 s14, s14, 1
	s_add_co_i32 s13, s13, s2
	s_and_b32 s2, ttmp6, 15
	s_mul_i32 s14, ttmp9, s14
	s_getreg_b32 s20, hwreg(HW_REG_IB_STS2, 6, 4)
	s_add_co_i32 s2, s2, s14
	s_load_b128 s[16:19], s[0:1], 0x3c
	s_cmp_eq_u32 s20, 0
	s_cselect_b32 s14, ttmp9, s2
	s_cselect_b32 s13, s15, s13
	s_wait_kmcnt 0x0
	s_mul_hi_u32 s2, s7, s14
	s_cselect_b32 s12, s3, s12
	s_add_co_i32 s2, s14, s2
	s_delay_alu instid0(SALU_CYCLE_1) | instskip(NEXT) | instid1(SALU_CYCLE_1)
	s_lshr_b32 s7, s2, s8
	s_mul_i32 s2, s7, s9
	s_delay_alu instid0(SALU_CYCLE_1) | instskip(SKIP_2) | instid1(SALU_CYCLE_1)
	s_sub_co_i32 s8, s14, s2
	s_load_b64 s[2:3], s[0:1], 0x10
	s_mul_hi_u32 s9, s8, s10
	s_add_co_i32 s9, s8, s9
	s_delay_alu instid0(SALU_CYCLE_1) | instskip(NEXT) | instid1(SALU_CYCLE_1)
	s_lshr_b32 s15, s9, s11
	s_mul_i32 s9, s15, s16
	s_delay_alu instid0(SALU_CYCLE_1) | instskip(NEXT) | instid1(SALU_CYCLE_1)
	s_sub_co_i32 s8, s8, s9
	s_mul_hi_u32 s9, s8, s17
	s_delay_alu instid0(SALU_CYCLE_1) | instskip(NEXT) | instid1(SALU_CYCLE_1)
	s_add_co_i32 s9, s8, s9
	s_lshr_b32 s9, s9, s18
	s_delay_alu instid0(SALU_CYCLE_1) | instskip(SKIP_2) | instid1(SALU_CYCLE_1)
	s_mul_i32 s10, s9, s19
	s_lshl_b32 s17, s9, 2
	s_sub_co_i32 s16, s8, s10
	s_add_co_i32 s16, s16, s13
	s_wait_kmcnt 0x0
	s_cmp_lt_i32 s16, s2
	s_cselect_b32 s8, -1, 0
	s_add_co_i32 s17, s17, s12
	s_delay_alu instid0(SALU_CYCLE_1) | instskip(SKIP_1) | instid1(SALU_CYCLE_1)
	s_cmp_lt_i32 s17, s5
	s_cselect_b32 s9, -1, 0
	s_and_b32 s8, s8, s9
	s_delay_alu instid0(SALU_CYCLE_1)
	s_and_not1_b32 vcc_lo, exec_lo, s8
	s_cbranch_vccnz .LBB24_6
; %bb.1:
	s_load_b128 s[8:11], s[0:1], 0x0
	s_mul_i32 s7, s7, s2
	s_mul_i32 s15, s15, s5
	s_wait_xcnt 0x0
	s_add_co_i32 s0, s16, s7
	s_add_co_i32 s1, s17, s15
	s_mul_i32 s0, s0, s3
	s_mul_i32 s7, s6, s14
	s_add_co_i32 s1, s1, s0
	s_add_co_i32 s5, s7, s6
	v_lshl_or_b32 v4, s1, 8, v0
	s_add_co_i32 s0, s13, s5
	s_add_co_i32 s2, s5, -2
	s_lshl_b32 s0, s0, 2
	s_delay_alu instid0(SALU_CYCLE_1) | instskip(SKIP_2) | instid1(SALU_CYCLE_1)
	s_add_co_i32 s0, s0, s12
	v_ashrrev_i32_e32 v5, 31, v4
	s_add_co_i32 s0, s0, -4
	s_ashr_i32 s1, s0, 31
	s_delay_alu instid0(SALU_CYCLE_1)
	s_lshl_b64 s[0:1], s[0:1], 3
	s_wait_kmcnt 0x0
	global_load_b32 v3, v4, s[8:9] scale_offset
	s_add_nc_u64 s[0:1], s[10:11], s[0:1]
	s_cmp_lt_i32 s2, s7
	s_load_b32 s15, s[0:1], 0x4
	s_cbranch_scc1 .LBB24_4
; %bb.2:
	s_wait_xcnt 0x0
	s_load_b32 s0, s[0:1], 0x0
	s_add_co_i32 s14, s14, 1
	s_wait_xcnt 0x0
	s_lshl_b32 s1, s12, 8
	s_mul_i32 s3, s6, s14
	s_lshl_b32 s6, s13, 10
	s_lshl_b32 s14, s3, 10
	s_add_co_i32 s1, s1, s6
	s_lshl_b32 s2, s4, 4
	s_add_co_i32 s1, s1, s14
	s_add_co_i32 s4, s13, s4
	s_wait_kmcnt 0x0
	v_dual_mov_b32 v2, s15 :: v_dual_bitop2_b32 v0, s1, v0 bitop3:0x54
	s_add_co_i32 s4, s4, s5
	s_ashr_i32 s3, s2, 31
	s_lshl_b32 s1, s4, 2
	s_delay_alu instid0(VALU_DEP_1)
	v_add_nc_u32_e32 v0, 0xfffff800, v0
	s_lshl_b64 s[2:3], s[2:3], 2
	s_add_co_i32 s4, s12, s1
	s_add_nc_u64 s[2:3], s[10:11], s[2:3]
	s_add_co_i32 s1, s5, -1
	s_add_co_i32 s4, s4, -8
.LBB24_3:                               ; =>This Inner Loop Header: Depth=1
	global_load_b32 v7, v0, s[2:3] scale_offset
	s_ashr_i32 s5, s4, 31
	v_max_num_f32_e64 v1, s0, s0
	s_lshl_b64 s[12:13], s[4:5], 3
	s_delay_alu instid0(SALU_CYCLE_1) | instskip(SKIP_1) | instid1(VALU_DEP_1)
	s_add_nc_u64 s[12:13], s[10:11], s[12:13]
	s_load_b64 s[12:13], s[12:13], 0x0
	v_readfirstlane_b32 s5, v1
	v_add_nc_u32_e32 v0, 0xfffffc00, v0
	s_wait_kmcnt 0x0
	v_max_num_f32_e64 v1, s12, s12
	s_delay_alu instid0(VALU_DEP_1) | instskip(SKIP_1) | instid1(SALU_CYCLE_3)
	v_readfirstlane_b32 s6, v1
	s_max_num_f32 s5, s5, s6
	s_sub_f32 s0, s0, s5
	s_sub_f32 s6, s12, s5
	s_delay_alu instid0(SALU_CYCLE_2) | instskip(NEXT) | instid1(SALU_CYCLE_2)
	s_mul_f32 s12, s0, 0x3fb8aa3b
	s_mul_f32 s14, s6, 0x3fb8aa3b
	s_delay_alu instid0(SALU_CYCLE_2)
	s_xor_b32 s15, s12, 0x80000000
	s_rndne_f32 s16, s12
	s_fmamk_f32 s15, s0, 0x3fb8aa3b, s15
	s_cmp_nlt_f32 s0, 0xc2ce8ed0
	s_rndne_f32 s17, s14
	s_sub_f32 s12, s12, s16
	s_fmamk_f32 s15, s0, 0x32a5705f, s15
	s_cselect_b32 vcc_lo, -1, 0
	s_cmp_ngt_f32 s0, 0x42b17218
	s_delay_alu instid0(SALU_CYCLE_1) | instskip(SKIP_2) | instid1(SALU_CYCLE_1)
	s_add_f32 s12, s12, s15
	s_cvt_i32_f32 s15, s16
	s_sub_f32 s16, s14, s17
	v_s_exp_f32 s12, s12
	v_nop
	s_delay_alu instid0(TRANS32_DEP_1) | instskip(SKIP_1) | instid1(VALU_DEP_1)
	v_ldexp_f32 v1, s12, s15
	s_cvt_i32_f32 s12, s17
	v_cndmask_b32_e32 v1, 0, v1, vcc_lo
	s_cselect_b32 vcc_lo, -1, 0
	s_cmp_ge_f32 s0, 0xc1a00000
	s_delay_alu instid0(VALU_DEP_1)
	v_cndmask_b32_e32 v1, 0x7f800000, v1, vcc_lo
	s_cselect_b32 vcc_lo, -1, 0
	s_xor_b32 s0, s14, 0x80000000
	s_cmp_nlt_f32 s6, 0xc2ce8ed0
	s_fmamk_f32 s0, s6, 0x3fb8aa3b, s0
	v_cndmask_b32_e32 v10, 0, v1, vcc_lo
	s_delay_alu instid0(SALU_CYCLE_2) | instskip(NEXT) | instid1(SALU_CYCLE_3)
	s_fmamk_f32 s0, s6, 0x32a5705f, s0
	s_add_f32 s0, s16, s0
	s_delay_alu instid0(SALU_CYCLE_3) | instskip(SKIP_1) | instid1(TRANS32_DEP_1)
	v_s_exp_f32 s0, s0
	v_nop
	v_ldexp_f32 v6, s0, s12
	s_cselect_b32 s0, -1, 0
	s_cmp_ngt_f32 s6, 0x42b17218
	s_delay_alu instid0(VALU_DEP_1) | instskip(SKIP_2) | instid1(VALU_DEP_1)
	v_cndmask_b32_e64 v6, 0, v6, s0
	s_cselect_b32 s0, -1, 0
	s_cmp_ge_f32 s6, 0xc1a00000
	v_cndmask_b32_e64 v8, 0x7f800000, v6, s0
	s_cselect_b32 s0, -1, 0
	v_mov_b32_e32 v6, s13
	s_add_co_i32 s1, s1, -1
	s_add_co_i32 s4, s4, -4
	v_cndmask_b32_e64 v8, 0, v8, s0
	s_cmp_le_i32 s1, s7
	s_mov_b32 s0, s5
	s_wait_loadcnt 0x0
	s_delay_alu instid0(VALU_DEP_1) | instskip(NEXT) | instid1(VALU_DEP_1)
	v_pk_mul_f32 v[6:7], v[6:7], v[8:9] op_sel_hi:[1,0]
	v_pk_fma_f32 v[2:3], v[2:3], v[10:11], v[6:7] op_sel_hi:[1,0,1]
	s_cbranch_scc0 .LBB24_3
	s_branch .LBB24_5
.LBB24_4:
	s_wait_kmcnt 0x0
	v_mov_b32_e32 v2, s15
.LBB24_5:
	v_lshl_add_u64 v[0:1], v[4:5], 2, s[8:9]
	s_wait_loadcnt 0x0
	s_delay_alu instid0(VALU_DEP_2) | instskip(NEXT) | instid1(VALU_DEP_1)
	v_div_scale_f32 v4, null, v2, v2, v3
	v_rcp_f32_e32 v5, v4
	v_nop
	s_delay_alu instid0(TRANS32_DEP_1) | instskip(NEXT) | instid1(VALU_DEP_1)
	v_fma_f32 v6, -v4, v5, 1.0
	v_fmac_f32_e32 v5, v6, v5
	v_div_scale_f32 v6, vcc_lo, v3, v2, v3
	s_delay_alu instid0(VALU_DEP_1) | instskip(NEXT) | instid1(VALU_DEP_1)
	v_mul_f32_e32 v7, v6, v5
	v_fma_f32 v8, -v4, v7, v6
	s_delay_alu instid0(VALU_DEP_1) | instskip(NEXT) | instid1(VALU_DEP_1)
	v_fmac_f32_e32 v7, v8, v5
	v_fma_f32 v4, -v4, v7, v6
	s_delay_alu instid0(VALU_DEP_1) | instskip(NEXT) | instid1(VALU_DEP_1)
	v_div_fmas_f32 v4, v4, v5, v7
	v_div_fixup_f32 v2, v4, v2, v3
	global_store_b32 v[0:1], v2, off
.LBB24_6:
	s_endpgm
	.section	.rodata,"a",@progbits
	.p2align	6, 0x0
	.amdhsa_kernel _ZL33flash_attn_stream_k_fixup_uniformILi256ELi1ELi4EEvPfPK15HIP_vector_typeIfLj2EEiiiiiiS1_IjLj3EES5_S5_
		.amdhsa_group_segment_fixed_size 0
		.amdhsa_private_segment_fixed_size 0
		.amdhsa_kernarg_size 76
		.amdhsa_user_sgpr_count 2
		.amdhsa_user_sgpr_dispatch_ptr 0
		.amdhsa_user_sgpr_queue_ptr 0
		.amdhsa_user_sgpr_kernarg_segment_ptr 1
		.amdhsa_user_sgpr_dispatch_id 0
		.amdhsa_user_sgpr_kernarg_preload_length 0
		.amdhsa_user_sgpr_kernarg_preload_offset 0
		.amdhsa_user_sgpr_private_segment_size 0
		.amdhsa_wavefront_size32 1
		.amdhsa_uses_dynamic_stack 0
		.amdhsa_enable_private_segment 0
		.amdhsa_system_sgpr_workgroup_id_x 1
		.amdhsa_system_sgpr_workgroup_id_y 1
		.amdhsa_system_sgpr_workgroup_id_z 1
		.amdhsa_system_sgpr_workgroup_info 0
		.amdhsa_system_vgpr_workitem_id 0
		.amdhsa_next_free_vgpr 12
		.amdhsa_next_free_sgpr 21
		.amdhsa_named_barrier_count 0
		.amdhsa_reserve_vcc 1
		.amdhsa_float_round_mode_32 0
		.amdhsa_float_round_mode_16_64 0
		.amdhsa_float_denorm_mode_32 3
		.amdhsa_float_denorm_mode_16_64 3
		.amdhsa_fp16_overflow 0
		.amdhsa_memory_ordered 1
		.amdhsa_forward_progress 1
		.amdhsa_inst_pref_size 9
		.amdhsa_round_robin_scheduling 0
		.amdhsa_exception_fp_ieee_invalid_op 0
		.amdhsa_exception_fp_denorm_src 0
		.amdhsa_exception_fp_ieee_div_zero 0
		.amdhsa_exception_fp_ieee_overflow 0
		.amdhsa_exception_fp_ieee_underflow 0
		.amdhsa_exception_fp_ieee_inexact 0
		.amdhsa_exception_int_div_zero 0
	.end_amdhsa_kernel
	.section	.text._ZL33flash_attn_stream_k_fixup_uniformILi256ELi1ELi4EEvPfPK15HIP_vector_typeIfLj2EEiiiiiiS1_IjLj3EES5_S5_,"axG",@progbits,_ZL33flash_attn_stream_k_fixup_uniformILi256ELi1ELi4EEvPfPK15HIP_vector_typeIfLj2EEiiiiiiS1_IjLj3EES5_S5_,comdat
.Lfunc_end24:
	.size	_ZL33flash_attn_stream_k_fixup_uniformILi256ELi1ELi4EEvPfPK15HIP_vector_typeIfLj2EEiiiiiiS1_IjLj3EES5_S5_, .Lfunc_end24-_ZL33flash_attn_stream_k_fixup_uniformILi256ELi1ELi4EEvPfPK15HIP_vector_typeIfLj2EEiiiiiiS1_IjLj3EES5_S5_
                                        ; -- End function
	.set _ZL33flash_attn_stream_k_fixup_uniformILi256ELi1ELi4EEvPfPK15HIP_vector_typeIfLj2EEiiiiiiS1_IjLj3EES5_S5_.num_vgpr, 12
	.set _ZL33flash_attn_stream_k_fixup_uniformILi256ELi1ELi4EEvPfPK15HIP_vector_typeIfLj2EEiiiiiiS1_IjLj3EES5_S5_.num_agpr, 0
	.set _ZL33flash_attn_stream_k_fixup_uniformILi256ELi1ELi4EEvPfPK15HIP_vector_typeIfLj2EEiiiiiiS1_IjLj3EES5_S5_.numbered_sgpr, 21
	.set _ZL33flash_attn_stream_k_fixup_uniformILi256ELi1ELi4EEvPfPK15HIP_vector_typeIfLj2EEiiiiiiS1_IjLj3EES5_S5_.num_named_barrier, 0
	.set _ZL33flash_attn_stream_k_fixup_uniformILi256ELi1ELi4EEvPfPK15HIP_vector_typeIfLj2EEiiiiiiS1_IjLj3EES5_S5_.private_seg_size, 0
	.set _ZL33flash_attn_stream_k_fixup_uniformILi256ELi1ELi4EEvPfPK15HIP_vector_typeIfLj2EEiiiiiiS1_IjLj3EES5_S5_.uses_vcc, 1
	.set _ZL33flash_attn_stream_k_fixup_uniformILi256ELi1ELi4EEvPfPK15HIP_vector_typeIfLj2EEiiiiiiS1_IjLj3EES5_S5_.uses_flat_scratch, 0
	.set _ZL33flash_attn_stream_k_fixup_uniformILi256ELi1ELi4EEvPfPK15HIP_vector_typeIfLj2EEiiiiiiS1_IjLj3EES5_S5_.has_dyn_sized_stack, 0
	.set _ZL33flash_attn_stream_k_fixup_uniformILi256ELi1ELi4EEvPfPK15HIP_vector_typeIfLj2EEiiiiiiS1_IjLj3EES5_S5_.has_recursion, 0
	.set _ZL33flash_attn_stream_k_fixup_uniformILi256ELi1ELi4EEvPfPK15HIP_vector_typeIfLj2EEiiiiiiS1_IjLj3EES5_S5_.has_indirect_call, 0
	.section	.AMDGPU.csdata,"",@progbits
; Kernel info:
; codeLenInByte = 1072
; TotalNumSgprs: 23
; NumVgprs: 12
; ScratchSize: 0
; MemoryBound: 0
; FloatMode: 240
; IeeeMode: 1
; LDSByteSize: 0 bytes/workgroup (compile time only)
; SGPRBlocks: 0
; VGPRBlocks: 0
; NumSGPRsForWavesPerEU: 23
; NumVGPRsForWavesPerEU: 12
; NamedBarCnt: 0
; Occupancy: 16
; WaveLimiterHint : 0
; COMPUTE_PGM_RSRC2:SCRATCH_EN: 0
; COMPUTE_PGM_RSRC2:USER_SGPR: 2
; COMPUTE_PGM_RSRC2:TRAP_HANDLER: 0
; COMPUTE_PGM_RSRC2:TGID_X_EN: 1
; COMPUTE_PGM_RSRC2:TGID_Y_EN: 1
; COMPUTE_PGM_RSRC2:TGID_Z_EN: 1
; COMPUTE_PGM_RSRC2:TIDIG_COMP_CNT: 0
	.section	.text._ZL33flash_attn_stream_k_fixup_generalILi256ELi1ELi4EEvPfPK15HIP_vector_typeIfLj2EEiiiiS1_IjLj3EES5_S5_S5_,"axG",@progbits,_ZL33flash_attn_stream_k_fixup_generalILi256ELi1ELi4EEvPfPK15HIP_vector_typeIfLj2EEiiiiS1_IjLj3EES5_S5_S5_,comdat
	.globl	_ZL33flash_attn_stream_k_fixup_generalILi256ELi1ELi4EEvPfPK15HIP_vector_typeIfLj2EEiiiiS1_IjLj3EES5_S5_S5_ ; -- Begin function _ZL33flash_attn_stream_k_fixup_generalILi256ELi1ELi4EEvPfPK15HIP_vector_typeIfLj2EEiiiiS1_IjLj3EES5_S5_S5_
	.p2align	8
	.type	_ZL33flash_attn_stream_k_fixup_generalILi256ELi1ELi4EEvPfPK15HIP_vector_typeIfLj2EEiiiiS1_IjLj3EES5_S5_S5_,@function
_ZL33flash_attn_stream_k_fixup_generalILi256ELi1ELi4EEvPfPK15HIP_vector_typeIfLj2EEiiiiS1_IjLj3EES5_S5_S5_: ; @_ZL33flash_attn_stream_k_fixup_generalILi256ELi1ELi4EEvPfPK15HIP_vector_typeIfLj2EEiiiiS1_IjLj3EES5_S5_S5_
; %bb.0:
	s_clause 0x1
	s_load_b128 s[4:7], s[0:1], 0x10
	s_load_b32 s16, s[0:1], 0x50
	s_bfe_u32 s2, ttmp6, 0x4000c
	s_and_b32 s3, ttmp6, 15
	s_add_co_i32 s2, s2, 1
	s_getreg_b32 s15, hwreg(HW_REG_IB_STS2, 6, 4)
	s_mul_i32 s2, ttmp9, s2
	s_mov_b32 s17, 0
	s_add_co_i32 s3, s3, s2
	s_cmp_eq_u32 s15, 0
	s_cselect_b32 s2, ttmp9, s3
	s_delay_alu instid0(SALU_CYCLE_1) | instskip(SKIP_3) | instid1(SALU_CYCLE_1)
	s_ashr_i32 s3, s2, 31
	s_wait_kmcnt 0x0
	s_ashr_i32 s19, s7, 31
	s_mov_b32 s18, s7
	s_mul_u64 s[8:9], s[18:19], s[2:3]
	s_delay_alu instid0(SALU_CYCLE_1) | instskip(NEXT) | instid1(SALU_CYCLE_1)
	s_and_b64 s[10:11], s[8:9], 0xffffffff00000000
	s_cmp_lg_u64 s[10:11], 0
	s_cbranch_scc0 .LBB25_21
; %bb.1:
	s_add_nc_u64 s[10:11], s[16:17], 0
	s_mov_b32 s23, s17
	s_xor_b64 s[10:11], s[10:11], 0
	s_mov_b32 s27, s17
	s_cvt_f32_u32 s3, s10
	s_cvt_f32_u32 s7, s11
	s_sub_nc_u64 s[20:21], 0, s[10:11]
	s_delay_alu instid0(SALU_CYCLE_2) | instskip(NEXT) | instid1(SALU_CYCLE_3)
	s_fmamk_f32 s3, s7, 0x4f800000, s3
	v_s_rcp_f32 s3, s3
	s_delay_alu instid0(TRANS32_DEP_1) | instskip(NEXT) | instid1(SALU_CYCLE_3)
	s_mul_f32 s3, s3, 0x5f7ffffc
	s_mul_f32 s7, s3, 0x2f800000
	s_delay_alu instid0(SALU_CYCLE_3) | instskip(NEXT) | instid1(SALU_CYCLE_3)
	s_trunc_f32 s7, s7
	s_fmamk_f32 s3, s7, 0xcf800000, s3
	s_cvt_u32_f32 s13, s7
	s_delay_alu instid0(SALU_CYCLE_2) | instskip(NEXT) | instid1(SALU_CYCLE_3)
	s_cvt_u32_f32 s12, s3
	s_mul_u64 s[24:25], s[20:21], s[12:13]
	s_delay_alu instid0(SALU_CYCLE_1)
	s_mul_hi_u32 s29, s12, s25
	s_mul_i32 s28, s12, s25
	s_mul_hi_u32 s22, s12, s24
	s_mul_i32 s7, s13, s24
	s_add_nc_u64 s[22:23], s[22:23], s[28:29]
	s_mul_hi_u32 s3, s13, s24
	s_mul_hi_u32 s14, s13, s25
	s_add_co_u32 s7, s22, s7
	s_add_co_ci_u32 s26, s23, s3
	s_mul_i32 s24, s13, s25
	s_add_co_ci_u32 s25, s14, 0
	s_delay_alu instid0(SALU_CYCLE_1) | instskip(SKIP_3) | instid1(SALU_CYCLE_1)
	s_add_nc_u64 s[22:23], s[26:27], s[24:25]
	s_mov_b32 s25, s17
	s_add_co_u32 s12, s12, s22
	s_cselect_b32 s3, -1, 0
	s_cmp_lg_u32 s3, 0
	s_add_co_ci_u32 s13, s13, s23
	s_mov_b32 s23, s17
	s_mul_u64 s[20:21], s[20:21], s[12:13]
	s_delay_alu instid0(SALU_CYCLE_1)
	s_mul_hi_u32 s27, s12, s21
	s_mul_i32 s26, s12, s21
	s_mul_hi_u32 s22, s12, s20
	s_mul_i32 s7, s13, s20
	s_add_nc_u64 s[22:23], s[22:23], s[26:27]
	s_mul_hi_u32 s3, s13, s20
	s_mul_hi_u32 s14, s13, s21
	s_add_co_u32 s7, s22, s7
	s_add_co_ci_u32 s24, s23, s3
	s_mul_i32 s20, s13, s21
	s_add_co_ci_u32 s21, s14, 0
	s_mov_b32 s23, s17
	s_add_nc_u64 s[20:21], s[24:25], s[20:21]
	s_delay_alu instid0(SALU_CYCLE_1) | instskip(SKIP_1) | instid1(SALU_CYCLE_1)
	s_add_co_u32 s3, s12, s20
	s_cselect_b32 s7, -1, 0
	s_cmp_lg_u32 s7, 0
	s_add_co_ci_u32 s7, s13, s21
	s_ashr_i32 s12, s9, 31
	s_delay_alu instid0(SALU_CYCLE_1) | instskip(NEXT) | instid1(SALU_CYCLE_1)
	s_mov_b32 s13, s12
	s_add_nc_u64 s[20:21], s[8:9], s[12:13]
	s_delay_alu instid0(SALU_CYCLE_1) | instskip(NEXT) | instid1(SALU_CYCLE_1)
	s_xor_b64 s[20:21], s[20:21], s[12:13]
	s_mul_hi_u32 s27, s20, s7
	s_mul_i32 s26, s20, s7
	s_mul_hi_u32 s22, s20, s3
	s_mul_hi_u32 s14, s21, s3
	s_mul_i32 s3, s21, s3
	s_add_nc_u64 s[22:23], s[22:23], s[26:27]
	s_mul_hi_u32 s9, s21, s7
	s_add_co_u32 s3, s22, s3
	s_add_co_ci_u32 s24, s23, s14
	s_mul_i32 s26, s21, s7
	s_add_co_ci_u32 s27, s9, 0
	s_delay_alu instid0(SALU_CYCLE_1) | instskip(NEXT) | instid1(SALU_CYCLE_1)
	s_add_nc_u64 s[22:23], s[24:25], s[26:27]
	s_and_b64 s[24:25], s[22:23], 0xffffffff00000000
	s_delay_alu instid0(SALU_CYCLE_1) | instskip(NEXT) | instid1(SALU_CYCLE_1)
	s_or_b32 s24, s24, s22
	s_mul_u64 s[22:23], s[10:11], s[24:25]
	s_add_nc_u64 s[26:27], s[24:25], 1
	s_sub_co_u32 s3, s20, s22
	s_cselect_b32 s7, -1, 0
	s_sub_co_i32 s9, s21, s23
	s_cmp_lg_u32 s7, 0
	s_add_nc_u64 s[28:29], s[24:25], 2
	s_sub_co_ci_u32 s9, s9, s11
	s_sub_co_u32 s14, s3, s10
	s_cselect_b32 s20, -1, 0
	s_delay_alu instid0(SALU_CYCLE_1) | instskip(SKIP_1) | instid1(SALU_CYCLE_1)
	s_cmp_lg_u32 s20, 0
	s_sub_co_ci_u32 s9, s9, 0
	s_cmp_ge_u32 s9, s11
	s_cselect_b32 s20, -1, 0
	s_cmp_ge_u32 s14, s10
	s_cselect_b32 s14, -1, 0
	s_cmp_eq_u32 s9, s11
	s_cselect_b32 s9, s14, s20
	s_delay_alu instid0(SALU_CYCLE_1) | instskip(SKIP_4) | instid1(SALU_CYCLE_1)
	s_cmp_lg_u32 s9, 0
	s_cselect_b32 s9, s28, s26
	s_cselect_b32 s14, s29, s27
	s_cmp_lg_u32 s7, 0
	s_sub_co_ci_u32 s7, s21, s23
	s_cmp_ge_u32 s7, s11
	s_cselect_b32 s20, -1, 0
	s_cmp_ge_u32 s3, s10
	s_cselect_b32 s3, -1, 0
	s_cmp_eq_u32 s7, s11
	s_cselect_b32 s3, s3, s20
	s_delay_alu instid0(SALU_CYCLE_1) | instskip(SKIP_4) | instid1(SALU_CYCLE_1)
	s_cmp_lg_u32 s3, 0
	s_mov_b32 s3, s17
	s_cselect_b32 s11, s14, s25
	s_cselect_b32 s10, s9, s24
	s_xor_b64 s[12:13], s[12:13], 0
	s_xor_b64 s[10:11], s[10:11], s[12:13]
	s_delay_alu instid0(SALU_CYCLE_1)
	s_sub_nc_u64 s[20:21], s[10:11], s[12:13]
	s_and_not1_b32 vcc_lo, exec_lo, s3
	s_cbranch_vccnz .LBB25_3
.LBB25_2:
	v_cvt_f32_u32_e32 v1, s16
	s_sub_co_i32 s7, 0, s16
	s_mov_b32 s21, 0
	s_delay_alu instid0(VALU_DEP_1) | instskip(SKIP_1) | instid1(TRANS32_DEP_1)
	v_rcp_iflag_f32_e32 v1, v1
	v_nop
	v_mul_f32_e32 v1, 0x4f7ffffe, v1
	s_delay_alu instid0(VALU_DEP_1) | instskip(NEXT) | instid1(VALU_DEP_1)
	v_cvt_u32_f32_e32 v1, v1
	v_readfirstlane_b32 s3, v1
	s_mul_i32 s7, s7, s3
	s_delay_alu instid0(SALU_CYCLE_1) | instskip(NEXT) | instid1(SALU_CYCLE_1)
	s_mul_hi_u32 s7, s3, s7
	s_add_co_i32 s3, s3, s7
	s_delay_alu instid0(SALU_CYCLE_1) | instskip(NEXT) | instid1(SALU_CYCLE_1)
	s_mul_hi_u32 s3, s8, s3
	s_mul_i32 s7, s3, s16
	s_delay_alu instid0(SALU_CYCLE_1)
	s_sub_co_i32 s7, s8, s7
	s_add_co_i32 s8, s3, 1
	s_sub_co_i32 s9, s7, s16
	s_cmp_ge_u32 s7, s16
	s_cselect_b32 s3, s8, s3
	s_cselect_b32 s7, s9, s7
	s_add_co_i32 s8, s3, 1
	s_cmp_ge_u32 s7, s16
	s_cselect_b32 s20, s8, s3
.LBB25_3:
	s_add_co_i32 s8, s2, 1
	s_delay_alu instid0(SALU_CYCLE_1) | instskip(NEXT) | instid1(SALU_CYCLE_1)
	s_ashr_i32 s9, s8, 31
	s_mul_u64 s[8:9], s[18:19], s[8:9]
	s_delay_alu instid0(SALU_CYCLE_1) | instskip(NEXT) | instid1(SALU_CYCLE_1)
	s_and_b64 s[10:11], s[8:9], 0xffffffff00000000
	s_cmp_lg_u64 s[10:11], 0
	s_cbranch_scc0 .LBB25_22
; %bb.4:
	s_add_nc_u64 s[10:11], s[16:17], 0
	s_delay_alu instid0(SALU_CYCLE_1) | instskip(SKIP_4) | instid1(SALU_CYCLE_2)
	s_xor_b64 s[12:13], s[10:11], 0
	s_mov_b32 s11, 0
	s_cvt_f32_u32 s3, s12
	s_cvt_f32_u32 s7, s13
	s_sub_nc_u64 s[24:25], 0, s[12:13]
	s_fmamk_f32 s3, s7, 0x4f800000, s3
	s_delay_alu instid0(SALU_CYCLE_3) | instskip(NEXT) | instid1(TRANS32_DEP_1)
	v_s_rcp_f32 s3, s3
	s_mul_f32 s3, s3, 0x5f7ffffc
	s_delay_alu instid0(SALU_CYCLE_3) | instskip(NEXT) | instid1(SALU_CYCLE_3)
	s_mul_f32 s7, s3, 0x2f800000
	s_trunc_f32 s7, s7
	s_delay_alu instid0(SALU_CYCLE_3) | instskip(SKIP_1) | instid1(SALU_CYCLE_2)
	s_fmamk_f32 s3, s7, 0xcf800000, s3
	s_cvt_u32_f32 s23, s7
	s_cvt_u32_f32 s22, s3
	s_delay_alu instid0(SALU_CYCLE_3) | instskip(NEXT) | instid1(SALU_CYCLE_1)
	s_mul_u64 s[26:27], s[24:25], s[22:23]
	s_mul_hi_u32 s29, s22, s27
	s_mul_i32 s28, s22, s27
	s_mul_hi_u32 s10, s22, s26
	s_mul_i32 s7, s23, s26
	s_add_nc_u64 s[28:29], s[10:11], s[28:29]
	s_mul_hi_u32 s3, s23, s26
	s_mul_hi_u32 s14, s23, s27
	s_add_co_u32 s7, s28, s7
	s_add_co_ci_u32 s10, s29, s3
	s_mul_i32 s26, s23, s27
	s_add_co_ci_u32 s27, s14, 0
	s_delay_alu instid0(SALU_CYCLE_1) | instskip(NEXT) | instid1(SALU_CYCLE_1)
	s_add_nc_u64 s[26:27], s[10:11], s[26:27]
	s_add_co_u32 s22, s22, s26
	s_cselect_b32 s3, -1, 0
	s_delay_alu instid0(SALU_CYCLE_1) | instskip(SKIP_1) | instid1(SALU_CYCLE_1)
	s_cmp_lg_u32 s3, 0
	s_add_co_ci_u32 s23, s23, s27
	s_mul_u64 s[24:25], s[24:25], s[22:23]
	s_delay_alu instid0(SALU_CYCLE_1)
	s_mul_hi_u32 s27, s22, s25
	s_mul_i32 s26, s22, s25
	s_mul_hi_u32 s10, s22, s24
	s_mul_i32 s7, s23, s24
	s_add_nc_u64 s[26:27], s[10:11], s[26:27]
	s_mul_hi_u32 s3, s23, s24
	s_mul_hi_u32 s14, s23, s25
	s_add_co_u32 s7, s26, s7
	s_add_co_ci_u32 s10, s27, s3
	s_mul_i32 s24, s23, s25
	s_add_co_ci_u32 s25, s14, 0
	s_delay_alu instid0(SALU_CYCLE_1) | instskip(NEXT) | instid1(SALU_CYCLE_1)
	s_add_nc_u64 s[24:25], s[10:11], s[24:25]
	s_add_co_u32 s3, s22, s24
	s_cselect_b32 s7, -1, 0
	s_delay_alu instid0(SALU_CYCLE_1) | instskip(SKIP_2) | instid1(SALU_CYCLE_1)
	s_cmp_lg_u32 s7, 0
	s_add_co_ci_u32 s7, s23, s25
	s_ashr_i32 s22, s9, 31
	s_mov_b32 s23, s22
	s_delay_alu instid0(SALU_CYCLE_1) | instskip(NEXT) | instid1(SALU_CYCLE_1)
	s_add_nc_u64 s[24:25], s[8:9], s[22:23]
	s_xor_b64 s[24:25], s[24:25], s[22:23]
	s_delay_alu instid0(SALU_CYCLE_1)
	s_mul_hi_u32 s27, s24, s7
	s_mul_i32 s26, s24, s7
	s_mul_hi_u32 s10, s24, s3
	s_mul_hi_u32 s14, s25, s3
	s_mul_i32 s3, s25, s3
	s_add_nc_u64 s[26:27], s[10:11], s[26:27]
	s_mul_hi_u32 s9, s25, s7
	s_add_co_u32 s3, s26, s3
	s_add_co_ci_u32 s10, s27, s14
	s_mul_i32 s28, s25, s7
	s_add_co_ci_u32 s29, s9, 0
	s_delay_alu instid0(SALU_CYCLE_1) | instskip(NEXT) | instid1(SALU_CYCLE_1)
	s_add_nc_u64 s[26:27], s[10:11], s[28:29]
	s_and_b64 s[28:29], s[26:27], 0xffffffff00000000
	s_delay_alu instid0(SALU_CYCLE_1) | instskip(NEXT) | instid1(SALU_CYCLE_1)
	s_or_b32 s28, s28, s26
	s_mul_u64 s[26:27], s[12:13], s[28:29]
	s_add_nc_u64 s[30:31], s[28:29], 1
	s_sub_co_u32 s3, s24, s26
	s_cselect_b32 s7, -1, 0
	s_sub_co_i32 s9, s25, s27
	s_cmp_lg_u32 s7, 0
	s_add_nc_u64 s[34:35], s[28:29], 2
	s_sub_co_ci_u32 s9, s9, s13
	s_sub_co_u32 s10, s3, s12
	s_cselect_b32 s14, -1, 0
	s_delay_alu instid0(SALU_CYCLE_1) | instskip(SKIP_1) | instid1(SALU_CYCLE_1)
	s_cmp_lg_u32 s14, 0
	s_sub_co_ci_u32 s9, s9, 0
	s_cmp_ge_u32 s9, s13
	s_cselect_b32 s14, -1, 0
	s_cmp_ge_u32 s10, s12
	s_cselect_b32 s10, -1, 0
	s_cmp_eq_u32 s9, s13
	s_cselect_b32 s9, s10, s14
	s_delay_alu instid0(SALU_CYCLE_1) | instskip(SKIP_4) | instid1(SALU_CYCLE_1)
	s_cmp_lg_u32 s9, 0
	s_cselect_b32 s9, s34, s30
	s_cselect_b32 s10, s35, s31
	s_cmp_lg_u32 s7, 0
	s_sub_co_ci_u32 s7, s25, s27
	s_cmp_ge_u32 s7, s13
	s_cselect_b32 s14, -1, 0
	s_cmp_ge_u32 s3, s12
	s_cselect_b32 s3, -1, 0
	s_cmp_eq_u32 s7, s13
	s_cselect_b32 s3, s3, s14
	s_delay_alu instid0(SALU_CYCLE_1) | instskip(SKIP_3) | instid1(SALU_CYCLE_1)
	s_cmp_lg_u32 s3, 0
	s_cselect_b32 s13, s10, s29
	s_cselect_b32 s12, s9, s28
	s_xor_b64 s[22:23], s[22:23], 0
	s_xor_b64 s[12:13], s[12:13], s[22:23]
	s_delay_alu instid0(SALU_CYCLE_1)
	s_sub_nc_u64 s[24:25], s[12:13], s[22:23]
	s_load_b96 s[12:14], s[0:1], 0x44
	s_cbranch_execnz .LBB25_6
.LBB25_5:
	v_cvt_f32_u32_e32 v1, s16
	s_sub_co_i32 s7, 0, s16
	s_delay_alu instid0(VALU_DEP_1) | instskip(SKIP_1) | instid1(TRANS32_DEP_1)
	v_rcp_iflag_f32_e32 v1, v1
	v_nop
	v_mul_f32_e32 v1, 0x4f7ffffe, v1
	s_delay_alu instid0(VALU_DEP_1) | instskip(NEXT) | instid1(VALU_DEP_1)
	v_cvt_u32_f32_e32 v1, v1
	v_readfirstlane_b32 s3, v1
	s_mul_i32 s7, s7, s3
	s_delay_alu instid0(SALU_CYCLE_1) | instskip(NEXT) | instid1(SALU_CYCLE_1)
	s_mul_hi_u32 s7, s3, s7
	s_add_co_i32 s3, s3, s7
	s_delay_alu instid0(SALU_CYCLE_1) | instskip(NEXT) | instid1(SALU_CYCLE_1)
	s_mul_hi_u32 s3, s8, s3
	s_mul_i32 s7, s3, s16
	s_delay_alu instid0(SALU_CYCLE_1)
	s_sub_co_i32 s7, s8, s7
	s_add_co_i32 s8, s3, 1
	s_sub_co_i32 s9, s7, s16
	s_cmp_ge_u32 s7, s16
	s_cselect_b32 s3, s8, s3
	s_cselect_b32 s7, s9, s7
	s_add_co_i32 s8, s3, 1
	s_cmp_ge_u32 s7, s16
	s_cselect_b32 s24, s8, s3
.LBB25_6:
	s_delay_alu instid0(SALU_CYCLE_1)
	s_cmp_eq_u32 s20, s24
	s_mov_b64 s[8:9], 0xffffffff
	s_cselect_b32 s3, -1, 0
	s_and_b64 s[8:9], s[20:21], s[8:9]
	s_mov_b32 s23, 0
	s_wait_kmcnt 0x0
	s_mov_b32 s22, s12
	s_mov_b32 s25, s23
	s_mul_u64 s[10:11], s[8:9], s[22:23]
	s_delay_alu instid0(SALU_CYCLE_1) | instskip(SKIP_2) | instid1(SALU_CYCLE_1)
	s_add_co_i32 s7, s11, s20
	s_mul_u64 s[10:11], s[24:25], s[22:23]
	s_lshr_b32 s12, s7, s13
	s_mul_i32 s7, s12, s14
	s_delay_alu instid0(SALU_CYCLE_1) | instskip(SKIP_2) | instid1(SALU_CYCLE_1)
	s_cmp_eq_u32 s7, s20
	s_cselect_b32 s7, -1, 0
	s_add_co_i32 s10, s11, s24
	s_lshr_b32 s10, s10, s13
	s_delay_alu instid0(SALU_CYCLE_1)
	s_cmp_eq_u32 s12, s10
	s_mul_i32 s10, s10, s14
	s_cselect_b32 s11, -1, 0
	s_cmp_lg_u32 s10, s24
	s_cselect_b32 s10, -1, 0
	s_or_b32 s3, s3, s7
	s_and_b32 s10, s11, s10
	s_delay_alu instid0(SALU_CYCLE_1) | instskip(NEXT) | instid1(SALU_CYCLE_1)
	s_or_b32 s3, s3, s10
	s_and_b32 vcc_lo, exec_lo, s3
	s_cbranch_vccnz .LBB25_24
; %bb.7:
	s_load_b256 s[24:31], s[0:1], 0x20
	s_bfe_u32 s7, ttmp6, 0x40014
	s_bfe_u32 s33, ttmp6, 0x40010
	s_lshr_b32 s3, ttmp7, 16
	s_add_co_i32 s7, s7, 1
	s_and_b32 s21, ttmp7, 0xffff
	s_add_co_i32 s33, s33, 1
	s_bfe_u32 s10, ttmp6, 0x40008
	s_mul_i32 s7, s3, s7
	s_bfe_u32 s34, ttmp6, 0x40004
	s_mul_i32 s33, s21, s33
	s_mov_b32 s11, s23
	s_add_co_i32 s7, s10, s7
	s_add_co_i32 s34, s34, s33
	s_cmp_eq_u32 s15, 0
	s_cselect_b32 s15, s21, s34
	s_cselect_b32 s21, s3, s7
	s_wait_kmcnt 0x0
	s_mov_b32 s10, s24
	s_delay_alu instid0(SALU_CYCLE_1) | instskip(SKIP_2) | instid1(SALU_CYCLE_1)
	s_mul_u64 s[8:9], s[8:9], s[10:11]
	s_load_b32 s8, s[0:1], 0x40
	s_add_co_i32 s3, s9, s20
	s_lshr_b32 s3, s3, s25
	s_delay_alu instid0(SALU_CYCLE_1) | instskip(NEXT) | instid1(SALU_CYCLE_1)
	s_mul_i32 s7, s3, s26
	s_sub_co_i32 s9, s20, s7
	s_delay_alu instid0(SALU_CYCLE_1) | instskip(NEXT) | instid1(SALU_CYCLE_1)
	s_mul_hi_u32 s7, s9, s27
	s_add_co_i32 s7, s9, s7
	s_delay_alu instid0(SALU_CYCLE_1) | instskip(NEXT) | instid1(SALU_CYCLE_1)
	s_lshr_b32 s7, s7, s28
	s_mul_i32 s10, s7, s29
	s_delay_alu instid0(SALU_CYCLE_1) | instskip(NEXT) | instid1(SALU_CYCLE_1)
	s_sub_co_i32 s10, s9, s10
	s_mul_hi_u32 s9, s10, s30
	s_delay_alu instid0(SALU_CYCLE_1) | instskip(NEXT) | instid1(SALU_CYCLE_1)
	s_add_co_i32 s9, s10, s9
	s_lshr_b32 s25, s9, s31
	s_mov_b32 s9, s23
	s_wait_kmcnt 0x0
	s_mul_i32 s8, s25, s8
	s_lshl_b32 s25, s25, 2
	s_sub_co_i32 s8, s10, s8
	s_delay_alu instid0(SALU_CYCLE_1) | instskip(NEXT) | instid1(SALU_CYCLE_1)
	s_mul_u64 s[10:11], s[8:9], s[22:23]
	s_add_co_i32 s8, s8, s11
	s_delay_alu instid0(SALU_CYCLE_1) | instskip(NEXT) | instid1(SALU_CYCLE_1)
	s_lshr_b32 s24, s8, s13
	s_add_co_i32 s24, s24, s15
	s_delay_alu instid0(SALU_CYCLE_1) | instskip(SKIP_2) | instid1(SALU_CYCLE_1)
	s_cmp_lt_i32 s24, s4
	s_cselect_b32 s8, -1, 0
	s_add_co_i32 s25, s25, s21
	s_cmp_lt_i32 s25, s6
	s_cselect_b32 s9, -1, 0
	s_delay_alu instid0(SALU_CYCLE_1) | instskip(NEXT) | instid1(SALU_CYCLE_1)
	s_and_b32 s8, s8, s9
	s_and_not1_b32 vcc_lo, exec_lo, s8
	s_cbranch_vccnz .LBB25_24
; %bb.8:
	s_load_b128 s[8:11], s[0:1], 0x0
	s_mul_i32 s3, s3, s4
	s_mul_i32 s7, s7, s6
	s_wait_xcnt 0x0
	s_add_co_i32 s0, s24, s3
	s_add_co_i32 s1, s25, s7
	s_mul_i32 s0, s0, s5
	s_add_co_i32 s3, s15, s2
	s_add_co_i32 s1, s1, s0
	v_cvt_f32_u32_e32 v4, s16
	v_lshl_or_b32 v2, s1, 8, v0
	s_add_nc_u64 s[0:1], s[16:17], 0
	s_lshl_b32 s24, s16, 4
	s_xor_b64 s[6:7], s[0:1], 0
	s_lshl_b32 s0, s3, 2
	s_cvt_f32_u32 s3, s6
	s_cvt_f32_u32 s4, s7
	s_add_co_i32 s0, s0, s21
	v_rcp_iflag_f32_e32 v4, v4
	s_ashr_i32 s1, s0, 31
	s_fmamk_f32 s3, s4, 0x4f800000, s3
	s_wait_kmcnt 0x0
	global_load_b32 v1, v2, s[8:9] scale_offset
	s_lshl_b64 s[0:1], s[0:1], 3
	s_mov_b32 s25, 0
	v_s_rcp_f32 s3, s3
	s_add_nc_u64 s[0:1], s[10:11], s[0:1]
	v_dual_mul_f32 v4, 0x4f7ffffe, v4 :: v_dual_ashrrev_i32 v3, 31, v2
	s_load_b64 s[28:29], s[0:1], 0x0
	s_wait_xcnt 0x0
	s_lshl_b64 s[0:1], s[24:25], 2
	v_lshl_or_b32 v6, s21, 8, v0
	s_add_nc_u64 s[26:27], s[10:11], s[0:1]
	s_mul_f32 s3, s3, 0x5f7ffffc
	v_lshl_add_u64 v[2:3], v[2:3], 2, s[8:9]
	v_cvt_u32_f32_e32 v7, v4
	s_mov_b64 s[8:9], 0xffffffff
	s_mul_f32 s4, s3, 0x2f800000
	s_add_co_i32 s36, s2, -1
	s_sub_nc_u64 s[34:35], 0, s[6:7]
	s_delay_alu instid0(SALU_CYCLE_1) | instskip(NEXT) | instid1(SALU_CYCLE_3)
	s_trunc_f32 s4, s4
	s_fmamk_f32 s0, s4, 0xcf800000, s3
	s_cvt_u32_f32 s31, s4
	s_wait_kmcnt 0x0
	v_mov_b32_e32 v0, s29
	s_cvt_u32_f32 s30, s0
.LBB25_9:                               ; =>This Inner Loop Header: Depth=1
	s_ashr_i32 s37, s36, 31
                                        ; implicit-def: $sgpr40_sgpr41
	s_delay_alu instid0(SALU_CYCLE_1) | instskip(NEXT) | instid1(SALU_CYCLE_1)
	s_mul_u64 s[0:1], s[36:37], s[18:19]
	s_and_b64 s[2:3], s[0:1], 0xffffffff00000000
	s_delay_alu instid0(SALU_CYCLE_1)
	s_cmp_lg_u64 s[2:3], 0
	s_mov_b32 s2, -1
	s_cbranch_scc0 .LBB25_11
; %bb.10:                               ;   in Loop: Header=BB25_9 Depth=1
	s_mul_u64 s[2:3], s[34:35], s[30:31]
	s_delay_alu instid0(SALU_CYCLE_1)
	s_mul_hi_u32 s5, s30, s3
	s_mul_i32 s4, s30, s3
	s_mul_hi_u32 s24, s30, s2
	s_mul_hi_u32 s17, s31, s2
	s_add_nc_u64 s[4:5], s[24:25], s[4:5]
	s_mul_i32 s2, s31, s2
	s_mul_hi_u32 s29, s31, s3
	s_add_co_u32 s2, s4, s2
	s_add_co_ci_u32 s24, s5, s17
	s_add_co_ci_u32 s5, s29, 0
	s_mul_i32 s4, s31, s3
	s_delay_alu instid0(SALU_CYCLE_1) | instskip(NEXT) | instid1(SALU_CYCLE_1)
	s_add_nc_u64 s[2:3], s[24:25], s[4:5]
	s_add_co_u32 s2, s30, s2
	s_cselect_b32 s4, -1, 0
	s_delay_alu instid0(SALU_CYCLE_1) | instskip(SKIP_1) | instid1(SALU_CYCLE_1)
	s_cmp_lg_u32 s4, 0
	s_add_co_ci_u32 s3, s31, s3
	s_mul_u64 s[4:5], s[34:35], s[2:3]
	s_delay_alu instid0(SALU_CYCLE_1)
	s_mul_hi_u32 s39, s2, s5
	s_mul_i32 s38, s2, s5
	s_mul_hi_u32 s24, s2, s4
	s_mul_hi_u32 s17, s3, s4
	s_mul_i32 s4, s3, s4
	s_add_nc_u64 s[38:39], s[24:25], s[38:39]
	s_mul_hi_u32 s29, s3, s5
	s_add_co_u32 s4, s38, s4
	s_add_co_ci_u32 s24, s39, s17
	s_mul_i32 s4, s3, s5
	s_add_co_ci_u32 s5, s29, 0
	s_delay_alu instid0(SALU_CYCLE_1) | instskip(NEXT) | instid1(SALU_CYCLE_1)
	s_add_nc_u64 s[4:5], s[24:25], s[4:5]
	s_add_co_u32 s17, s2, s4
	s_cselect_b32 s2, -1, 0
	s_delay_alu instid0(SALU_CYCLE_1) | instskip(SKIP_2) | instid1(SALU_CYCLE_1)
	s_cmp_lg_u32 s2, 0
	s_add_co_ci_u32 s29, s3, s5
	s_ashr_i32 s2, s1, 31
	s_mov_b32 s3, s2
	s_delay_alu instid0(SALU_CYCLE_1) | instskip(NEXT) | instid1(SALU_CYCLE_1)
	s_add_nc_u64 s[4:5], s[0:1], s[2:3]
	s_xor_b64 s[4:5], s[4:5], s[2:3]
	s_delay_alu instid0(SALU_CYCLE_1)
	s_mul_hi_u32 s39, s4, s29
	s_mul_i32 s38, s4, s29
	s_mul_hi_u32 s24, s4, s17
	s_mul_hi_u32 s33, s5, s17
	s_mul_i32 s17, s5, s17
	s_add_nc_u64 s[38:39], s[24:25], s[38:39]
	s_mul_hi_u32 s1, s5, s29
	s_add_co_u32 s17, s38, s17
	s_add_co_ci_u32 s24, s39, s33
	s_mul_i32 s40, s5, s29
	s_add_co_ci_u32 s41, s1, 0
	s_delay_alu instid0(SALU_CYCLE_1) | instskip(NEXT) | instid1(SALU_CYCLE_1)
	s_add_nc_u64 s[38:39], s[24:25], s[40:41]
	s_and_b64 s[40:41], s[38:39], 0xffffffff00000000
	s_delay_alu instid0(SALU_CYCLE_1) | instskip(NEXT) | instid1(SALU_CYCLE_1)
	s_or_b32 s40, s40, s38
	s_mul_u64 s[38:39], s[6:7], s[40:41]
	s_add_nc_u64 s[42:43], s[40:41], 1
	s_sub_co_u32 s1, s4, s38
	s_cselect_b32 s4, -1, 0
	s_sub_co_i32 s17, s5, s39
	s_cmp_lg_u32 s4, 0
	s_add_nc_u64 s[44:45], s[40:41], 2
	s_sub_co_ci_u32 s17, s17, s7
	s_sub_co_u32 s24, s1, s6
	s_cselect_b32 s29, -1, 0
	s_delay_alu instid0(SALU_CYCLE_1) | instskip(SKIP_1) | instid1(SALU_CYCLE_1)
	s_cmp_lg_u32 s29, 0
	s_sub_co_ci_u32 s17, s17, 0
	s_cmp_ge_u32 s17, s7
	s_cselect_b32 s29, -1, 0
	s_cmp_ge_u32 s24, s6
	s_cselect_b32 s24, -1, 0
	s_cmp_eq_u32 s17, s7
	s_cselect_b32 s17, s24, s29
	s_delay_alu instid0(SALU_CYCLE_1) | instskip(SKIP_4) | instid1(SALU_CYCLE_1)
	s_cmp_lg_u32 s17, 0
	s_cselect_b32 s17, s44, s42
	s_cselect_b32 s24, s45, s43
	s_cmp_lg_u32 s4, 0
	s_sub_co_ci_u32 s4, s5, s39
	s_cmp_ge_u32 s4, s7
	s_cselect_b32 s5, -1, 0
	s_cmp_ge_u32 s1, s6
	s_cselect_b32 s1, -1, 0
	s_cmp_eq_u32 s4, s7
	s_cselect_b32 s1, s1, s5
	s_delay_alu instid0(SALU_CYCLE_1) | instskip(SKIP_3) | instid1(SALU_CYCLE_1)
	s_cmp_lg_u32 s1, 0
	s_cselect_b32 s5, s24, s41
	s_cselect_b32 s4, s17, s40
	s_xor_b64 s[2:3], s[2:3], 0
	s_xor_b64 s[4:5], s[4:5], s[2:3]
	s_delay_alu instid0(SALU_CYCLE_1)
	s_sub_nc_u64 s[40:41], s[4:5], s[2:3]
	s_mov_b32 s2, 0
.LBB25_11:                              ;   in Loop: Header=BB25_9 Depth=1
	s_delay_alu instid0(SALU_CYCLE_1)
	s_and_not1_b32 vcc_lo, exec_lo, s2
	s_cbranch_vccnz .LBB25_13
; %bb.12:                               ;   in Loop: Header=BB25_9 Depth=1
	v_readfirstlane_b32 s1, v7
	s_sub_co_i32 s2, 0, s16
	s_delay_alu instid0(SALU_CYCLE_1) | instskip(NEXT) | instid1(SALU_CYCLE_1)
	s_mul_i32 s2, s2, s1
	s_mul_hi_u32 s2, s1, s2
	s_delay_alu instid0(SALU_CYCLE_1) | instskip(NEXT) | instid1(SALU_CYCLE_1)
	s_add_co_i32 s1, s1, s2
	s_mul_hi_u32 s1, s0, s1
	s_delay_alu instid0(SALU_CYCLE_1) | instskip(NEXT) | instid1(SALU_CYCLE_1)
	s_mul_i32 s2, s1, s16
	s_sub_co_i32 s0, s0, s2
	s_add_co_i32 s2, s1, 1
	s_sub_co_i32 s3, s0, s16
	s_cmp_ge_u32 s0, s16
	s_cselect_b32 s1, s2, s1
	s_cselect_b32 s0, s3, s0
	s_add_co_i32 s2, s1, 1
	s_cmp_ge_u32 s0, s16
	s_cselect_b32 s24, s2, s1
	s_delay_alu instid0(SALU_CYCLE_1)
	s_mov_b64 s[40:41], s[24:25]
.LBB25_13:                              ;   in Loop: Header=BB25_9 Depth=1
	s_delay_alu instid0(SALU_CYCLE_1)
	s_cmp_lg_u32 s20, s40
	s_mov_b32 s0, -1
                                        ; implicit-def: $vgpr4_vgpr5
                                        ; implicit-def: $sgpr29
                                        ; implicit-def: $sgpr17
                                        ; implicit-def: $sgpr24
                                        ; implicit-def: $sgpr33
	s_cbranch_scc0 .LBB25_18
; %bb.14:                               ;   in Loop: Header=BB25_9 Depth=1
	s_add_co_i32 s42, s36, s15
	v_max_num_f32_e64 v4, s28, s28
	s_add_co_i32 s0, s42, s16
	s_mov_b32 s33, s20
	s_lshl_b32 s0, s0, 2
	s_delay_alu instid0(SALU_CYCLE_1)
	s_add_co_i32 s0, s0, s21
	s_load_b64 s[38:39], s[10:11], s0 offset:0x0 scale_offset
	s_wait_xcnt 0x0
	v_readfirstlane_b32 s0, v4
	s_wait_kmcnt 0x0
	v_max_num_f32_e64 v5, s38, s38
	s_delay_alu instid0(VALU_DEP_1) | instskip(SKIP_1) | instid1(SALU_CYCLE_3)
	v_readfirstlane_b32 s1, v5
	s_max_num_f32 s17, s0, s1
	s_sub_f32 s37, s28, s17
	s_sub_f32 s38, s38, s17
	s_delay_alu instid0(SALU_CYCLE_2)
	s_cmp_nlt_f32 s37, 0xc2ce8ed0
	s_cselect_b32 s1, -1, 0
	s_cmp_ngt_f32 s37, 0x42b17218
	s_cselect_b32 s2, -1, 0
	s_cmp_ge_f32 s37, 0xc1a00000
	s_cselect_b32 s0, -1, 0
	s_cmp_nlt_f32 s38, 0xc2ce8ed0
	s_cselect_b32 s3, -1, 0
	s_cmp_ngt_f32 s38, 0x42b17218
	s_cselect_b32 s4, -1, 0
	s_cmp_ge_f32 s38, 0xc1a00000
	s_cselect_b32 s5, -1, 0
	s_and_b64 s[44:45], s[40:41], s[8:9]
	s_delay_alu instid0(SALU_CYCLE_1) | instskip(NEXT) | instid1(SALU_CYCLE_1)
	s_mul_u64 s[44:45], s[44:45], s[22:23]
	s_add_co_i32 s24, s45, s40
	s_delay_alu instid0(SALU_CYCLE_1) | instskip(NEXT) | instid1(SALU_CYCLE_1)
	s_lshr_b32 s24, s24, s13
	s_mul_i32 s29, s24, s14
	s_delay_alu instid0(SALU_CYCLE_1) | instskip(SKIP_3) | instid1(SALU_CYCLE_1)
	s_cmp_eq_u32 s29, s40
	s_cselect_b32 s29, -1, 0
	s_cmp_lt_u32 s24, s12
	s_cselect_b32 s24, -1, 0
	s_or_b32 s24, s24, s29
	s_mov_b32 s29, -1
	s_and_b32 vcc_lo, exec_lo, s24
	s_mov_b32 s24, s36
	s_cbranch_vccnz .LBB25_16
; %bb.15:                               ;   in Loop: Header=BB25_9 Depth=1
	s_add_co_i32 s24, s36, -1
	s_mov_b32 s29, 0
	s_mov_b32 s33, s40
.LBB25_16:                              ;   in Loop: Header=BB25_9 Depth=1
	v_lshl_add_u32 v4, s42, 10, v6
	s_mul_f32 s41, s37, 0x3fb8aa3b
	s_mul_f32 s40, s38, 0x3fb8aa3b
	s_delay_alu instid0(SALU_CYCLE_2)
	s_xor_b32 s43, s41, 0x80000000
	global_load_b32 v5, v4, s[26:27] scale_offset
	s_fmamk_f32 s43, s37, 0x3fb8aa3b, s43
	s_rndne_f32 s45, s41
	s_xor_b32 s42, s40, 0x80000000
	s_rndne_f32 s44, s40
	s_fmamk_f32 s37, s37, 0x32a5705f, s43
	s_sub_f32 s41, s41, s45
	s_fmamk_f32 s42, s38, 0x3fb8aa3b, s42
	s_sub_f32 s40, s40, s44
	s_delay_alu instid0(SALU_CYCLE_1) | instskip(NEXT) | instid1(SALU_CYCLE_1)
	s_add_f32 s37, s41, s37
	s_fmamk_f32 s38, s38, 0x32a5705f, s42
	s_cvt_i32_f32 s41, s45
	s_delay_alu instid0(SALU_CYCLE_1) | instskip(NEXT) | instid1(SALU_CYCLE_1)
	v_s_exp_f32 s37, s37
	s_add_f32 s38, s40, s38
	s_cvt_i32_f32 s40, s44
	s_delay_alu instid0(SALU_CYCLE_2) | instskip(NEXT) | instid1(TRANS32_DEP_2)
	v_s_exp_f32 s38, s38
	v_ldexp_f32 v8, s37, s41
	s_wait_xcnt 0x0
	s_delay_alu instid0(TRANS32_DEP_1) | instskip(NEXT) | instid1(VALU_DEP_2)
	v_ldexp_f32 v4, s38, s40
	v_cndmask_b32_e64 v8, 0, v8, s1
	s_delay_alu instid0(VALU_DEP_1) | instskip(NEXT) | instid1(VALU_DEP_1)
	v_cndmask_b32_e64 v9, 0x7f800000, v8, s2
	v_dual_cndmask_b32 v4, 0, v4, s3 :: v_dual_cndmask_b32 v10, 0, v9, s0
	s_delay_alu instid0(VALU_DEP_1) | instskip(NEXT) | instid1(VALU_DEP_1)
	v_cndmask_b32_e64 v4, 0x7f800000, v4, s4
	v_dual_cndmask_b32 v8, 0, v4, s5 :: v_dual_mov_b32 v4, s39
	s_wait_loadcnt 0x0
	s_delay_alu instid0(VALU_DEP_1) | instskip(NEXT) | instid1(VALU_DEP_1)
	v_pk_mul_f32 v[4:5], v[4:5], v[8:9] op_sel_hi:[1,0]
	v_pk_fma_f32 v[4:5], v[0:1], v[10:11], v[4:5] op_sel_hi:[1,0,1]
	s_cbranch_execz .LBB25_19
.LBB25_17:                              ;   in Loop: Header=BB25_9 Depth=1
	s_and_not1_b32 vcc_lo, exec_lo, s29
	s_cbranch_vccnz .LBB25_20
	s_branch .LBB25_23
.LBB25_18:                              ;   in Loop: Header=BB25_9 Depth=1
	s_and_not1_b32 vcc_lo, exec_lo, s0
	s_cbranch_vccnz .LBB25_17
.LBB25_19:                              ;   in Loop: Header=BB25_9 Depth=1
	s_wait_loadcnt 0x0
	v_mov_b64_e32 v[4:5], v[0:1]
	s_add_co_i32 s24, s36, -1
	s_mov_b32 s33, s20
	s_mov_b32 s17, s28
	s_cbranch_execz .LBB25_23
.LBB25_20:                              ;   in Loop: Header=BB25_9 Depth=1
	s_wait_loadcnt 0x0
	s_delay_alu instid0(VALU_DEP_1)
	v_mov_b64_e32 v[0:1], v[4:5]
	s_mov_b32 s20, s33
	s_mov_b32 s36, s24
	s_mov_b32 s28, s17
	s_branch .LBB25_9
.LBB25_21:
                                        ; implicit-def: $sgpr20_sgpr21
	s_branch .LBB25_2
.LBB25_22:
                                        ; implicit-def: $sgpr24_sgpr25
	s_load_b96 s[12:14], s[0:1], 0x44
	s_branch .LBB25_5
.LBB25_23:
	s_delay_alu instid0(VALU_DEP_1) | instskip(SKIP_1) | instid1(VALU_DEP_1)
	v_div_scale_f32 v0, null, v4, v4, v5
	s_wait_loadcnt 0x0
	v_rcp_f32_e32 v1, v0
	v_nop
	s_delay_alu instid0(TRANS32_DEP_1) | instskip(NEXT) | instid1(VALU_DEP_1)
	v_fma_f32 v6, -v0, v1, 1.0
	v_fmac_f32_e32 v1, v6, v1
	v_div_scale_f32 v6, vcc_lo, v5, v4, v5
	s_delay_alu instid0(VALU_DEP_1) | instskip(NEXT) | instid1(VALU_DEP_1)
	v_mul_f32_e32 v7, v6, v1
	v_fma_f32 v8, -v0, v7, v6
	s_delay_alu instid0(VALU_DEP_1) | instskip(NEXT) | instid1(VALU_DEP_1)
	v_fmac_f32_e32 v7, v8, v1
	v_fma_f32 v0, -v0, v7, v6
	s_delay_alu instid0(VALU_DEP_1) | instskip(NEXT) | instid1(VALU_DEP_1)
	v_div_fmas_f32 v0, v0, v1, v7
	v_div_fixup_f32 v0, v0, v4, v5
	global_store_b32 v[2:3], v0, off
.LBB25_24:
	s_endpgm
	.section	.rodata,"a",@progbits
	.p2align	6, 0x0
	.amdhsa_kernel _ZL33flash_attn_stream_k_fixup_generalILi256ELi1ELi4EEvPfPK15HIP_vector_typeIfLj2EEiiiiS1_IjLj3EES5_S5_S5_
		.amdhsa_group_segment_fixed_size 0
		.amdhsa_private_segment_fixed_size 0
		.amdhsa_kernarg_size 336
		.amdhsa_user_sgpr_count 2
		.amdhsa_user_sgpr_dispatch_ptr 0
		.amdhsa_user_sgpr_queue_ptr 0
		.amdhsa_user_sgpr_kernarg_segment_ptr 1
		.amdhsa_user_sgpr_dispatch_id 0
		.amdhsa_user_sgpr_kernarg_preload_length 0
		.amdhsa_user_sgpr_kernarg_preload_offset 0
		.amdhsa_user_sgpr_private_segment_size 0
		.amdhsa_wavefront_size32 1
		.amdhsa_uses_dynamic_stack 0
		.amdhsa_enable_private_segment 0
		.amdhsa_system_sgpr_workgroup_id_x 1
		.amdhsa_system_sgpr_workgroup_id_y 1
		.amdhsa_system_sgpr_workgroup_id_z 1
		.amdhsa_system_sgpr_workgroup_info 0
		.amdhsa_system_vgpr_workitem_id 0
		.amdhsa_next_free_vgpr 12
		.amdhsa_next_free_sgpr 46
		.amdhsa_named_barrier_count 0
		.amdhsa_reserve_vcc 1
		.amdhsa_float_round_mode_32 0
		.amdhsa_float_round_mode_16_64 0
		.amdhsa_float_denorm_mode_32 3
		.amdhsa_float_denorm_mode_16_64 3
		.amdhsa_fp16_overflow 0
		.amdhsa_memory_ordered 1
		.amdhsa_forward_progress 1
		.amdhsa_inst_pref_size 26
		.amdhsa_round_robin_scheduling 0
		.amdhsa_exception_fp_ieee_invalid_op 0
		.amdhsa_exception_fp_denorm_src 0
		.amdhsa_exception_fp_ieee_div_zero 0
		.amdhsa_exception_fp_ieee_overflow 0
		.amdhsa_exception_fp_ieee_underflow 0
		.amdhsa_exception_fp_ieee_inexact 0
		.amdhsa_exception_int_div_zero 0
	.end_amdhsa_kernel
	.section	.text._ZL33flash_attn_stream_k_fixup_generalILi256ELi1ELi4EEvPfPK15HIP_vector_typeIfLj2EEiiiiS1_IjLj3EES5_S5_S5_,"axG",@progbits,_ZL33flash_attn_stream_k_fixup_generalILi256ELi1ELi4EEvPfPK15HIP_vector_typeIfLj2EEiiiiS1_IjLj3EES5_S5_S5_,comdat
.Lfunc_end25:
	.size	_ZL33flash_attn_stream_k_fixup_generalILi256ELi1ELi4EEvPfPK15HIP_vector_typeIfLj2EEiiiiS1_IjLj3EES5_S5_S5_, .Lfunc_end25-_ZL33flash_attn_stream_k_fixup_generalILi256ELi1ELi4EEvPfPK15HIP_vector_typeIfLj2EEiiiiS1_IjLj3EES5_S5_S5_
                                        ; -- End function
	.set _ZL33flash_attn_stream_k_fixup_generalILi256ELi1ELi4EEvPfPK15HIP_vector_typeIfLj2EEiiiiS1_IjLj3EES5_S5_S5_.num_vgpr, 12
	.set _ZL33flash_attn_stream_k_fixup_generalILi256ELi1ELi4EEvPfPK15HIP_vector_typeIfLj2EEiiiiS1_IjLj3EES5_S5_S5_.num_agpr, 0
	.set _ZL33flash_attn_stream_k_fixup_generalILi256ELi1ELi4EEvPfPK15HIP_vector_typeIfLj2EEiiiiS1_IjLj3EES5_S5_S5_.numbered_sgpr, 46
	.set _ZL33flash_attn_stream_k_fixup_generalILi256ELi1ELi4EEvPfPK15HIP_vector_typeIfLj2EEiiiiS1_IjLj3EES5_S5_S5_.num_named_barrier, 0
	.set _ZL33flash_attn_stream_k_fixup_generalILi256ELi1ELi4EEvPfPK15HIP_vector_typeIfLj2EEiiiiS1_IjLj3EES5_S5_S5_.private_seg_size, 0
	.set _ZL33flash_attn_stream_k_fixup_generalILi256ELi1ELi4EEvPfPK15HIP_vector_typeIfLj2EEiiiiS1_IjLj3EES5_S5_S5_.uses_vcc, 1
	.set _ZL33flash_attn_stream_k_fixup_generalILi256ELi1ELi4EEvPfPK15HIP_vector_typeIfLj2EEiiiiS1_IjLj3EES5_S5_S5_.uses_flat_scratch, 0
	.set _ZL33flash_attn_stream_k_fixup_generalILi256ELi1ELi4EEvPfPK15HIP_vector_typeIfLj2EEiiiiS1_IjLj3EES5_S5_S5_.has_dyn_sized_stack, 0
	.set _ZL33flash_attn_stream_k_fixup_generalILi256ELi1ELi4EEvPfPK15HIP_vector_typeIfLj2EEiiiiS1_IjLj3EES5_S5_S5_.has_recursion, 0
	.set _ZL33flash_attn_stream_k_fixup_generalILi256ELi1ELi4EEvPfPK15HIP_vector_typeIfLj2EEiiiiS1_IjLj3EES5_S5_S5_.has_indirect_call, 0
	.section	.AMDGPU.csdata,"",@progbits
; Kernel info:
; codeLenInByte = 3328
; TotalNumSgprs: 48
; NumVgprs: 12
; ScratchSize: 0
; MemoryBound: 0
; FloatMode: 240
; IeeeMode: 1
; LDSByteSize: 0 bytes/workgroup (compile time only)
; SGPRBlocks: 0
; VGPRBlocks: 0
; NumSGPRsForWavesPerEU: 48
; NumVGPRsForWavesPerEU: 12
; NamedBarCnt: 0
; Occupancy: 16
; WaveLimiterHint : 0
; COMPUTE_PGM_RSRC2:SCRATCH_EN: 0
; COMPUTE_PGM_RSRC2:USER_SGPR: 2
; COMPUTE_PGM_RSRC2:TRAP_HANDLER: 0
; COMPUTE_PGM_RSRC2:TGID_X_EN: 1
; COMPUTE_PGM_RSRC2:TGID_Y_EN: 1
; COMPUTE_PGM_RSRC2:TGID_Z_EN: 1
; COMPUTE_PGM_RSRC2:TIDIG_COMP_CNT: 0
	.section	.text._ZL15flash_attn_tileILi256ELi256ELi16ELi2ELb0EEvPKcS1_S1_S1_S1_PKiPfP15HIP_vector_typeIfLj2EEffffjfiS5_IjLj3EEiiiiiiiiiiiliiliiiiil,"axG",@progbits,_ZL15flash_attn_tileILi256ELi256ELi16ELi2ELb0EEvPKcS1_S1_S1_S1_PKiPfP15HIP_vector_typeIfLj2EEffffjfiS5_IjLj3EEiiiiiiiiiiiliiliiiiil,comdat
	.globl	_ZL15flash_attn_tileILi256ELi256ELi16ELi2ELb0EEvPKcS1_S1_S1_S1_PKiPfP15HIP_vector_typeIfLj2EEffffjfiS5_IjLj3EEiiiiiiiiiiiliiliiiiil ; -- Begin function _ZL15flash_attn_tileILi256ELi256ELi16ELi2ELb0EEvPKcS1_S1_S1_S1_PKiPfP15HIP_vector_typeIfLj2EEffffjfiS5_IjLj3EEiiiiiiiiiiiliiliiiiil
	.p2align	8
	.type	_ZL15flash_attn_tileILi256ELi256ELi16ELi2ELb0EEvPKcS1_S1_S1_S1_PKiPfP15HIP_vector_typeIfLj2EEffffjfiS5_IjLj3EEiiiiiiiiiiiliiliiiiil,@function
_ZL15flash_attn_tileILi256ELi256ELi16ELi2ELb0EEvPKcS1_S1_S1_S1_PKiPfP15HIP_vector_typeIfLj2EEffffjfiS5_IjLj3EEiiiiiiiiiiiliiliiiiil: ; @_ZL15flash_attn_tileILi256ELi256ELi16ELi2ELb0EEvPKcS1_S1_S1_S1_PKiPfP15HIP_vector_typeIfLj2EEffffjfiS5_IjLj3EEiiiiiiiiiiiliiliiiiil
; %bb.0:
	s_clause 0x1
	s_load_b128 s[24:27], s[0:1], 0x5c
	s_load_b64 s[34:35], s[0:1], 0x80
	s_bfe_u32 s6, ttmp6, 0x40014
	s_lshr_b32 s5, ttmp7, 16
	s_add_co_i32 s6, s6, 1
	s_bfe_u32 s7, ttmp6, 0x40008
	s_mul_i32 s6, s5, s6
	s_getreg_b32 s4, hwreg(HW_REG_IB_STS2, 6, 4)
	s_add_co_i32 s7, s7, s6
	s_load_b64 s[38:39], s[0:1], 0xb8
	s_mov_b64 s[36:37], 0
	s_wait_kmcnt 0x0
	s_lshr_b32 s2, s27, 31
	s_delay_alu instid0(SALU_CYCLE_1) | instskip(NEXT) | instid1(SALU_CYCLE_1)
	s_add_co_i32 s2, s27, s2
	s_ashr_i32 s2, s2, 1
	s_delay_alu instid0(SALU_CYCLE_1) | instskip(SKIP_1) | instid1(SALU_CYCLE_2)
	s_cvt_f32_u32 s3, s2
	s_sub_co_i32 s8, 0, s2
	v_rcp_iflag_f32_e32 v1, s3
	v_nop
	s_delay_alu instid0(TRANS32_DEP_1) | instskip(SKIP_1) | instid1(SALU_CYCLE_3)
	v_readfirstlane_b32 s3, v1
	s_mul_f32 s3, s3, 0x4f7ffffe
	s_cvt_u32_f32 s3, s3
	s_delay_alu instid0(SALU_CYCLE_3) | instskip(NEXT) | instid1(SALU_CYCLE_1)
	s_mul_i32 s8, s8, s3
	s_mul_hi_u32 s8, s3, s8
	s_delay_alu instid0(SALU_CYCLE_1) | instskip(SKIP_2) | instid1(SALU_CYCLE_1)
	s_add_co_i32 s3, s3, s8
	s_cmp_eq_u32 s4, 0
	s_cselect_b32 s5, s5, s7
	s_mul_hi_u32 s3, s5, s3
	s_delay_alu instid0(SALU_CYCLE_1) | instskip(SKIP_2) | instid1(SALU_CYCLE_1)
	s_mul_i32 s6, s3, s2
	s_add_co_i32 s7, s3, 1
	s_sub_co_i32 s6, s5, s6
	s_sub_co_i32 s8, s6, s2
	s_cmp_ge_u32 s6, s2
	s_cselect_b32 s3, s7, s3
	s_cselect_b32 s6, s8, s6
	s_add_co_i32 s7, s3, 1
	s_cmp_ge_u32 s6, s2
	s_cselect_b32 s30, s7, s3
	s_abs_i32 s2, s35
	s_abs_i32 s8, s27
	s_cvt_f32_u32 s3, s2
	s_sub_co_i32 s6, 0, s2
	s_lshl_b32 s5, s5, 1
	s_mul_i32 s7, s30, s27
	v_rcp_iflag_f32_e32 v1, s3
	s_sub_co_i32 s28, s5, s7
	s_xor_b32 s5, s27, s35
	s_delay_alu instid0(SALU_CYCLE_1) | instskip(SKIP_1) | instid1(TRANS32_DEP_1)
	s_ashr_i32 s5, s5, 31
	v_nop
	v_readfirstlane_b32 s3, v1
	s_mul_f32 s3, s3, 0x4f7ffffe
	s_delay_alu instid0(SALU_CYCLE_3) | instskip(NEXT) | instid1(SALU_CYCLE_3)
	s_cvt_u32_f32 s3, s3
	s_mul_i32 s6, s6, s3
	s_delay_alu instid0(SALU_CYCLE_1) | instskip(NEXT) | instid1(SALU_CYCLE_1)
	s_mul_hi_u32 s6, s3, s6
	s_add_co_i32 s3, s3, s6
	s_delay_alu instid0(SALU_CYCLE_1) | instskip(NEXT) | instid1(SALU_CYCLE_1)
	s_mul_hi_u32 s3, s8, s3
	s_mul_i32 s6, s3, s2
	s_add_co_i32 s7, s3, 1
	s_sub_co_i32 s6, s8, s6
	s_delay_alu instid0(SALU_CYCLE_1)
	s_sub_co_i32 s8, s6, s2
	s_cmp_ge_u32 s6, s2
	s_cselect_b32 s3, s7, s3
	s_cselect_b32 s6, s8, s6
	s_add_co_i32 s7, s3, 1
	s_cmp_ge_u32 s6, s2
	s_load_b512 s[8:23], s[0:1], 0x0
	s_cselect_b32 s2, s7, s3
	s_mov_b32 s3, 0
	s_xor_b32 s2, s2, s5
	s_delay_alu instid0(SALU_CYCLE_1) | instskip(NEXT) | instid1(SALU_CYCLE_1)
	s_sub_co_i32 s31, s2, s5
	s_abs_i32 s29, s31
	s_delay_alu instid0(SALU_CYCLE_1) | instskip(NEXT) | instid1(SALU_CYCLE_3)
	s_cvt_f32_u32 s2, s29
	v_rcp_iflag_f32_e32 v1, s2
	s_wait_kmcnt 0x0
	s_cmp_eq_u64 s[14:15], 0
	v_nop
	s_delay_alu instid0(TRANS32_DEP_1)
	v_readfirstlane_b32 s2, v1
	s_cbranch_scc1 .LBB26_2
; %bb.1:
	s_abs_i32 s5, s38
	s_abs_i32 s33, s30
	s_cvt_f32_u32 s6, s5
	s_sub_co_i32 s7, 0, s5
	s_delay_alu instid0(SALU_CYCLE_2) | instskip(SKIP_1) | instid1(TRANS32_DEP_1)
	v_rcp_iflag_f32_e32 v1, s6
	v_nop
	v_readfirstlane_b32 s6, v1
	s_mul_f32 s6, s6, 0x4f7ffffe
	s_delay_alu instid0(SALU_CYCLE_3) | instskip(NEXT) | instid1(SALU_CYCLE_3)
	s_cvt_u32_f32 s6, s6
	s_mul_i32 s7, s7, s6
	s_delay_alu instid0(SALU_CYCLE_1) | instskip(NEXT) | instid1(SALU_CYCLE_1)
	s_mul_hi_u32 s7, s6, s7
	s_add_co_i32 s6, s6, s7
	s_delay_alu instid0(SALU_CYCLE_1) | instskip(SKIP_2) | instid1(SALU_CYCLE_1)
	s_mul_hi_u32 s35, s33, s6
	s_load_b64 s[6:7], s[0:1], 0xc8
	s_mul_i32 s35, s35, s5
	s_sub_co_i32 s33, s33, s35
	s_ashr_i32 s35, s30, 31
	s_sub_co_i32 s36, s33, s5
	s_cmp_ge_u32 s33, s5
	s_cselect_b32 s33, s36, s33
	s_delay_alu instid0(SALU_CYCLE_1) | instskip(SKIP_2) | instid1(SALU_CYCLE_1)
	s_sub_co_i32 s36, s33, s5
	s_cmp_ge_u32 s33, s5
	s_cselect_b32 s5, s36, s33
	s_xor_b32 s5, s5, s35
	s_delay_alu instid0(SALU_CYCLE_1) | instskip(NEXT) | instid1(SALU_CYCLE_1)
	s_sub_co_i32 s36, s5, s35
	s_ashr_i32 s37, s36, 31
	s_wait_kmcnt 0x0
	s_mul_u64 s[6:7], s[6:7], s[36:37]
	s_delay_alu instid0(SALU_CYCLE_1)
	s_add_nc_u64 s[36:37], s[14:15], s[6:7]
.LBB26_2:
	v_bfe_u32 v1, v0, 10, 10
	s_bfe_u32 s5, ttmp6, 0x4000c
	s_and_b32 s6, ttmp6, 15
	s_add_co_i32 s5, s5, 1
	s_load_b96 s[40:42], s[0:1], 0x70
	v_lshlrev_b32_e32 v2, 2, v1
	s_mul_i32 s5, ttmp9, s5
	v_and_b32_e32 v78, 0x3ff, v0
	s_add_co_i32 s6, s6, s5
	s_cmp_eq_u32 s4, 0
	v_dual_lshlrev_b32 v77, 1, v1 :: v_dual_bitop2_b32 v40, 2, v2 bitop3:0x54
	s_cselect_b32 s5, ttmp9, s6
	v_lshlrev_b32_e32 v0, 11, v1
	s_lshl_b32 s35, s5, 4
	s_delay_alu instid0(VALU_DEP_2) | instskip(SKIP_1) | instid1(VALU_DEP_2)
	v_dual_lshrrev_b32 v74, 1, v40 :: v_dual_bitop2_b32 v41, 3, v2 bitop3:0x54
	v_dual_add_nc_u32 v79, s35, v77 :: v_dual_lshlrev_b32 v80, 3, v78
	v_dual_add_nc_u32 v75, s35, v74 :: v_dual_lshrrev_b32 v72, 1, v41
	s_delay_alu instid0(VALU_DEP_2) | instskip(SKIP_2) | instid1(VALU_DEP_2)
	v_mul_hi_u32 v3, v79, s24
	s_wait_kmcnt 0x0
	s_mul_i32 s6, s28, s41
	v_mul_hi_u32 v2, v75, s24
	v_add_nc_u32_e32 v73, s35, v72
	s_ashr_i32 s15, s41, 31
	s_mov_b32 s14, s41
	s_ashr_i32 s41, s40, 31
	s_ashr_i32 s7, s6, 31
	s_lshr_b64 s[40:41], s[40:41], 2
	s_delay_alu instid0(VALU_DEP_3) | instskip(SKIP_1) | instid1(VALU_DEP_4)
	v_dual_add_nc_u32 v5, v79, v3 :: v_dual_mov_b32 v3, 0
	v_lshlrev_b32_e32 v24, 4, v78
	v_add_nc_u32_e32 v2, v75, v2
	v_mul_hi_u32 v4, v73, s24
	s_delay_alu instid0(VALU_DEP_4) | instskip(NEXT) | instid1(VALU_DEP_3)
	v_dual_mov_b32 v7, v3 :: v_dual_mov_b32 v25, v3
	v_lshrrev_b32_e32 v2, s25, v2
	s_delay_alu instid0(VALU_DEP_1) | instskip(NEXT) | instid1(VALU_DEP_4)
	v_mul_lo_u32 v2, v2, s26
	v_dual_add_nc_u32 v4, v73, v4 :: v_dual_lshrrev_b32 v6, s25, v5
	s_delay_alu instid0(VALU_DEP_1) | instskip(NEXT) | instid1(VALU_DEP_2)
	v_dual_mov_b32 v5, v3 :: v_dual_lshrrev_b32 v4, s25, v4
	v_mul_lo_u32 v6, v6, s26
	s_delay_alu instid0(VALU_DEP_2) | instskip(SKIP_1) | instid1(VALU_DEP_2)
	v_mul_lo_u32 v8, v4, s26
	v_sub_nc_u32_e32 v4, v75, v2
	v_dual_sub_nc_u32 v2, v79, v6 :: v_dual_sub_nc_u32 v6, v73, v8
	s_delay_alu instid0(VALU_DEP_1) | instskip(NEXT) | instid1(VALU_DEP_3)
	v_mul_u64_e32 v[8:9], s[40:41], v[2:3]
	v_mul_u64_e32 v[4:5], s[40:41], v[4:5]
	v_add_nc_u32_e32 v3, 0x4400, v80
	s_delay_alu instid0(VALU_DEP_4) | instskip(SKIP_1) | instid1(SALU_CYCLE_1)
	v_mul_u64_e32 v[6:7], s[40:41], v[6:7]
	s_mul_i32 s40, s30, s42
	s_ashr_i32 s41, s40, 31
	s_delay_alu instid0(SALU_CYCLE_1) | instskip(NEXT) | instid1(SALU_CYCLE_1)
	s_add_nc_u64 s[8:9], s[8:9], s[40:41]
	s_add_nc_u64 s[6:7], s[8:9], s[6:7]
	s_and_b64 s[8:9], s[14:15], -4
	s_cmp_eq_u64 s[18:19], 0
	s_add_nc_u64 s[8:9], s[6:7], s[8:9]
	s_delay_alu instid0(VALU_DEP_4) | instskip(NEXT) | instid1(VALU_DEP_4)
	v_lshlrev_b64_e32 v[18:19], 2, v[8:9]
	v_lshl_add_u64 v[4:5], v[4:5], 2, s[6:7]
	s_delay_alu instid0(VALU_DEP_3) | instskip(NEXT) | instid1(VALU_DEP_2)
	v_lshl_add_u64 v[8:9], v[6:7], 2, s[8:9]
	v_add_nc_u64_e32 v[16:17], v[4:5], v[24:25]
	s_delay_alu instid0(VALU_DEP_4) | instskip(SKIP_1) | instid1(VALU_DEP_4)
	v_add_nc_u64_e32 v[20:21], s[6:7], v[18:19]
	v_add_nc_u64_e32 v[28:29], s[8:9], v[18:19]
	v_add_nc_u64_e32 v[26:27], v[8:9], v[24:25]
	s_load_b32 s6, s[0:1], 0x40
	global_load_b128 v[4:7], v[16:17], off
	v_add_nc_u64_e32 v[36:37], v[20:21], v[24:25]
	v_add_nc_u64_e32 v[38:39], v[28:29], v[24:25]
	s_clause 0x6
	global_load_b128 v[8:11], v[16:17], off offset:512
	global_load_b128 v[12:15], v[26:27], off
	global_load_b128 v[16:19], v[26:27], off offset:512
	global_load_b128 v[20:23], v[36:37], off
	;; [unrolled: 2-line block ×3, first 2 shown]
	global_load_b128 v[32:35], v[38:39], off offset:512
	s_wait_xcnt 0x2
	v_lshl_add_u32 v37, v40, 9, v3
	v_add_nc_u32_e32 v36, v3, v0
	v_lshl_add_u32 v3, v41, 9, v3
	s_wait_loadcnt 0x7
	s_wait_kmcnt 0x0
	v_fma_mixlo_f16 v4, s6, v4, 0
	v_fma_mixlo_f16 v5, s6, v5, 0
	;; [unrolled: 1-line block ×4, first 2 shown]
	s_wait_loadcnt 0x6
	v_fma_mixlo_f16 v8, s6, v8, 0
	v_fma_mixlo_f16 v9, s6, v9, 0
	v_fma_mixlo_f16 v10, s6, v10, 0
	v_fma_mixlo_f16 v11, s6, v11, 0
	s_wait_loadcnt 0x5
	v_fma_mixlo_f16 v12, s6, v12, 0
	v_fma_mixlo_f16 v13, s6, v13, 0
	s_wait_loadcnt 0x4
	v_fma_mixlo_f16 v16, s6, v16, 0
	v_fma_mixlo_f16 v17, s6, v17, 0
	v_fma_mixlo_f16 v14, s6, v14, 0
	v_fma_mixlo_f16 v15, s6, v15, 0
	s_wait_loadcnt 0x3
	v_fma_mixlo_f16 v20, s6, v20, 0
	v_fma_mixlo_f16 v21, s6, v21, 0
	;; [unrolled: 8-line block ×3, first 2 shown]
	s_wait_loadcnt 0x0
	v_fma_mixlo_f16 v32, s6, v32, 0
	v_fma_mixlo_f16 v33, s6, v33, 0
	v_dual_lshlrev_b32 v5, 16, v5 :: v_dual_lshlrev_b32 v7, 16, v7
	v_and_b32_e32 v4, 0xffff, v4
	v_and_b32_e32 v6, 0xffff, v6
	v_dual_lshlrev_b32 v9, 16, v9 :: v_dual_lshlrev_b32 v11, 16, v11
	v_and_b32_e32 v8, 0xffff, v8
	v_and_b32_e32 v10, 0xffff, v10
	v_dual_lshlrev_b32 v13, 16, v13 :: v_dual_lshlrev_b32 v15, 16, v15
	v_and_b32_e32 v12, 0xffff, v12
	v_dual_lshlrev_b32 v17, 16, v17 :: v_dual_lshlrev_b32 v19, 16, v19
	v_and_b32_e32 v16, 0xffff, v16
	v_fma_mixlo_f16 v22, s6, v22, 0
	v_fma_mixlo_f16 v23, s6, v23, 0
	;; [unrolled: 1-line block ×4, first 2 shown]
	v_and_b32_e32 v14, 0xffff, v14
	s_delay_alu instid0(VALU_DEP_4) | instskip(SKIP_1) | instid1(VALU_DEP_4)
	v_dual_lshlrev_b32 v21, 16, v21 :: v_dual_lshlrev_b32 v23, 16, v23
	v_and_b32_e32 v20, 0xffff, v20
	v_dual_lshlrev_b32 v25, 16, v25 :: v_dual_lshlrev_b32 v27, 16, v27
	v_and_b32_e32 v24, 0xffff, v24
	v_fma_mixlo_f16 v30, s6, v30, 0
	v_fma_mixlo_f16 v31, s6, v31, 0
	;; [unrolled: 1-line block ×4, first 2 shown]
	v_and_b32_e32 v18, 0xffff, v18
	s_delay_alu instid0(VALU_DEP_4) | instskip(SKIP_1) | instid1(VALU_DEP_4)
	v_dual_lshlrev_b32 v29, 16, v29 :: v_dual_lshlrev_b32 v31, 16, v31
	v_and_b32_e32 v28, 0xffff, v28
	v_dual_lshlrev_b32 v33, 16, v33 :: v_dual_lshlrev_b32 v35, 16, v35
	v_and_b32_e32 v32, 0xffff, v32
	v_or_b32_e32 v4, v5, v4
	v_or3_b32 v5, v7, v6, 0
	v_or_b32_e32 v6, v9, v8
	v_or3_b32 v7, v11, v10, 0
	v_or_b32_e32 v8, v13, v12
	v_or_b32_e32 v10, v17, v16
	v_and_b32_e32 v22, 0xffff, v22
	v_and_b32_e32 v26, 0xffff, v26
	v_or3_b32 v9, v15, v14, 0
	v_or_b32_e32 v12, v21, v20
	v_or_b32_e32 v14, v25, v24
	v_and_b32_e32 v30, 0xffff, v30
	v_and_b32_e32 v34, 0xffff, v34
	v_or3_b32 v11, v19, v18, 0
	v_or_b32_e32 v16, v29, v28
	v_or_b32_e32 v18, v33, v32
	v_or3_b32 v4, 0, 0, v4
	v_or3_b32 v6, 0, 0, v6
	;; [unrolled: 1-line block ×12, first 2 shown]
	ds_store_2addr_b64 v37, v[4:5], v[6:7] offset1:32
	ds_store_2addr_b64 v3, v[8:9], v[10:11] offset1:32
	;; [unrolled: 1-line block ×3, first 2 shown]
	ds_store_2addr_b64 v36, v[16:17], v[18:19] offset0:64 offset1:96
	s_wait_dscnt 0x0
	s_barrier_signal -1
	s_barrier_wait -1
	s_cbranch_scc1 .LBB26_4
; %bb.3:
	s_load_b32 s6, s[0:1], 0xd0
	s_wait_kmcnt 0x0
	s_mul_i32 s6, s6, s30
	s_delay_alu instid0(SALU_CYCLE_1)
	s_add_co_i32 s6, s6, s5
	s_load_b32 s34, s[18:19], s6 offset:0x0 scale_offset
.LBB26_4:
	s_bfe_u32 s5, ttmp6, 0x40010
	s_wait_xcnt 0x0
	s_and_b32 s6, ttmp7, 0xffff
	s_add_co_i32 s5, s5, 1
	s_bfe_u32 s7, ttmp6, 0x40004
	s_mul_i32 s5, s6, s5
	v_lshlrev_b32_e32 v76, 2, v78
	s_add_co_i32 s7, s7, s5
	s_cmp_eq_u32 s4, 0
	v_mbcnt_lo_u32_b32 v81, -1, 0
	s_cselect_b32 s33, s6, s7
	s_mov_b32 s4, 0
	s_lshl_b32 s14, s33, 6
	s_wait_kmcnt 0x0
	s_cmp_lt_i32 s14, s34
	s_cbranch_scc1 .LBB26_7
; %bb.5:
	v_mbcnt_lo_u32_b32 v5, -1, 0
	s_delay_alu instid0(VALU_DEP_1)
	v_dual_mov_b32 v4, 32 :: v_dual_bitop2_b32 v86, 16, v5 bitop3:0x14
	v_xor_b32_e32 v85, 8, v5
	v_xor_b32_e32 v84, 4, v5
	v_xor_b32_e32 v83, 2, v5
	v_xor_b32_e32 v82, 1, v5
	s_and_not1_b32 vcc_lo, exec_lo, s4
	s_cbranch_vccz .LBB26_8
; %bb.6:
	v_dual_mov_b32 v120, 0 :: v_dual_mov_b32 v47, 0
	v_dual_mov_b32 v3, 0xfeffffff :: v_dual_mov_b32 v2, 0xfeffffff
	;; [unrolled: 1-line block ×3, first 2 shown]
	s_delay_alu instid0(VALU_DEP_3)
	v_dual_mov_b32 v46, v47 :: v_dual_mov_b32 v49, v47
	v_dual_mov_b32 v48, v47 :: v_dual_mov_b32 v123, 0
	;; [unrolled: 1-line block ×9, first 2 shown]
	s_branch .LBB26_11
.LBB26_7:
                                        ; implicit-def: $vgpr5
                                        ; implicit-def: $vgpr4
                                        ; implicit-def: $vgpr86
                                        ; implicit-def: $vgpr85
                                        ; implicit-def: $vgpr84
                                        ; implicit-def: $vgpr83
                                        ; implicit-def: $vgpr82
.LBB26_8:
	v_dual_mov_b32 v45, 0 :: v_dual_lshrrev_b32 v3, 4, v78
	v_add3_u32 v44, s35, v77, 1
	s_mov_b32 s40, s24
	s_mov_b32 s41, s3
	s_clause 0x1
	s_load_b128 s[4:7], s[0:1], 0x98
	s_load_b64 s[8:9], s[0:1], 0x8c
	s_mul_f32 s15, s2, 0x4f7ffffe
	v_mul_u64_e32 v[4:5], s[40:41], v[44:45]
	s_sub_co_i32 s18, 0, s29
	s_abs_i32 s2, s28
	s_cvt_u32_f32 s15, s15
	s_mov_b32 s19, s3
	s_ashr_i32 s38, s28, 31
	s_ashr_i32 s44, s31, 31
	s_mul_i32 s18, s18, s15
	v_dual_add_nc_u32 v3, v3, v77 :: v_dual_bitop2_b32 v4, 60, v76 bitop3:0x40
	s_mul_hi_u32 s18, s15, s18
	s_ashr_i32 s31, s30, 31
	s_add_co_i32 s18, s15, s18
	s_ashr_i32 s15, s39, 1
	s_mul_u64 s[18:19], s[2:3], s[18:19]
	v_dual_mov_b32 v48, v45 :: v_dual_add_nc_u32 v91, 0x4400, v0
	s_mul_i32 s3, s19, s29
	s_wait_kmcnt 0x0
	s_ashr_i32 s18, s6, 2
	s_sub_co_i32 s2, s2, s3
	s_ashr_i32 s24, s8, 2
	s_xor_b32 s6, s38, s44
	s_add_co_i32 s3, s19, 1
	s_sub_co_i32 s8, s2, s29
	s_cmp_ge_u32 s2, s29
	v_mul_lo_u32 v50, s24, v3
	s_cselect_b32 s3, s3, s19
	s_cselect_b32 s2, s8, s2
	s_add_co_i32 s8, s3, 1
	s_cmp_ge_u32 s2, s29
	v_lshlrev_b32_e32 v6, 2, v4
	s_cselect_b32 s2, s8, s3
	v_add_nc_u32_e32 v5, v44, v5
	s_xor_b32 s8, s2, s6
	s_mul_u64 s[2:3], s[4:5], s[30:31]
	v_mad_u32_u24 v87, 0x110, v3, v6
	s_add_nc_u64 s[2:3], s[10:11], s[2:3]
	s_lshl_b32 s10, s24, 4
	s_delay_alu instid0(SALU_CYCLE_1)
	v_dual_lshrrev_b32 v5, s25, v5 :: v_dual_add_nc_u32 v52, s10, v50
	v_mul_lo_u32 v6, s18, v1
	s_sub_co_i32 s6, s8, s6
	s_load_b64 s[42:43], s[0:1], 0xa8
	s_mul_i32 s4, s6, s9
	v_mul_lo_u32 v3, v5, s26
	s_ashr_i32 s5, s4, 31
	v_mul_lo_u32 v93, v2, s15
	s_add_nc_u64 s[38:39], s[2:3], s[4:5]
	s_lshl_b32 s2, s18, 3
	v_dual_lshlrev_b32 v0, 9, v1 :: v_dual_add_nc_u32 v54, s10, v52
	v_ashrrev_i32_e32 v51, 31, v50
	v_dual_add_nc_u32 v8, s2, v6 :: v_dual_ashrrev_i32 v7, 31, v6
	s_delay_alu instid0(VALU_DEP_3) | instskip(NEXT) | instid1(VALU_DEP_4)
	v_lshl_add_u32 v94, v76, 2, v0
	v_dual_sub_nc_u32 v1, v44, v3 :: v_dual_add_nc_u32 v56, s10, v54
	v_ashrrev_i32_e32 v53, 31, v52
	s_delay_alu instid0(VALU_DEP_4) | instskip(NEXT) | instid1(VALU_DEP_3)
	v_dual_add_nc_u32 v2, s2, v8 :: v_dual_ashrrev_i32 v9, 31, v8
	v_mul_lo_u32 v95, v1, s15
	v_dual_mov_b32 v47, v45 :: v_dual_add_nc_u32 v96, 0x8400, v0
	s_delay_alu instid0(VALU_DEP_3) | instskip(SKIP_3) | instid1(VALU_DEP_4)
	v_dual_add_nc_u32 v10, s2, v2 :: v_dual_ashrrev_i32 v3, 31, v2
	v_mov_b32_e32 v0, 0xfeffffff
	v_lshlrev_b64_e32 v[58:59], 2, v[6:7]
	v_lshlrev_b64_e32 v[62:63], 2, v[8:9]
	v_ashrrev_i32_e32 v11, 31, v10
	v_lshlrev_b64_e32 v[64:65], 2, v[2:3]
	s_wait_kmcnt 0x0
	s_mul_u64 s[8:9], s[42:43], s[30:31]
	s_mul_i32 s6, s6, s7
	v_dual_mov_b32 v61, v45 :: v_dual_add_nc_u32 v88, 0x1100, v87
	v_lshlrev_b64_e32 v[66:67], 2, v[10:11]
	v_dual_mov_b32 v108, v45 :: v_dual_add_nc_u32 v89, 0x2200, v87
	v_dual_ashrrev_i32 v55, 31, v54 :: v_dual_ashrrev_i32 v57, 31, v56
	v_dual_mov_b32 v49, v45 :: v_dual_add_nc_u32 v90, 0x3300, v87
	v_mul_u32_u24_e32 v92, 0x110, v78
	v_dual_mov_b32 v46, v45 :: v_dual_add_nc_u32 v97, 0x1000, v94
	v_dual_mov_b32 v109, v45 :: v_dual_add_nc_u32 v98, 0x2000, v94
	;; [unrolled: 1-line block ×3, first 2 shown]
	v_dual_lshlrev_b32 v44, 2, v4 :: v_dual_bitop2_b32 v86, 16, v81 bitop3:0x14
	v_dual_add_nc_u32 v100, v96, v80 :: v_dual_bitop2_b32 v85, 8, v81 bitop3:0x14
	v_dual_lshlrev_b32 v60, 2, v76 :: v_dual_bitop2_b32 v84, 4, v81 bitop3:0x14
	v_dual_mov_b32 v111, v45 :: v_dual_bitop2_b32 v83, 2, v81 bitop3:0x14
	v_dual_mov_b32 v112, v45 :: v_dual_bitop2_b32 v82, 1, v81 bitop3:0x14
	v_dual_mov_b32 v114, v45 :: v_dual_add_nc_u32 v101, 0x800, v80
	v_dual_mov_b32 v115, v45 :: v_dual_add_nc_u32 v102, 0x1000, v80
	;; [unrolled: 1-line block ×7, first 2 shown]
	v_dual_mov_b32 v1, 0xfeffffff :: v_dual_mov_b32 v2, 0xfeffffff
	v_dual_mov_b32 v3, 0xfeffffff :: v_dual_mov_b32 v120, v45
	;; [unrolled: 1-line block ×3, first 2 shown]
	v_mov_b32_e32 v123, v45
	s_add_nc_u64 s[8:9], s[12:13], s[8:9]
	s_ashr_i32 s7, s6, 31
	s_ashr_i32 s25, s24, 31
	s_add_nc_u64 s[40:41], s[8:9], s[6:7]
	s_ashr_i32 s19, s18, 31
	s_add_nc_u64 s[42:43], s[0:1], 0xd0
.LBB26_9:                               ; =>This Inner Loop Header: Depth=1
	v_cmp_gt_i32_e32 vcc_lo, 32, v86
	v_dual_add_nc_u32 v4, s14, v78 :: v_dual_mov_b32 v40, v0
	v_dual_mov_b32 v43, v3 :: v_dual_mov_b32 v41, v1
	v_dual_mov_b32 v42, v2 :: v_dual_cndmask_b32 v0, v81, v86, vcc_lo
	v_cmp_gt_i32_e32 vcc_lo, 32, v85
	s_ashr_i32 s15, s14, 31
	v_dual_add_nc_u32 v125, v4, v93 :: v_dual_add_nc_u32 v126, v4, v95
	s_mul_u64 s[4:5], s[14:15], s[24:25]
	v_cndmask_b32_e32 v1, v81, v85, vcc_lo
	v_cmp_gt_i32_e32 vcc_lo, 32, v84
	s_lshl_b64 s[4:5], s[4:5], 2
	v_dual_mov_b32 v127, 0 :: v_dual_mov_b32 v128, 0
	s_add_nc_u64 s[10:11], s[38:39], s[4:5]
	v_cndmask_b32_e32 v2, v81, v84, vcc_lo
	v_cmp_gt_i32_e32 vcc_lo, 32, v83
	v_dual_lshlrev_b32 v124, 2, v0 :: v_dual_lshlrev_b32 v71, 2, v1
	v_lshl_add_u64 v[0:1], v[50:51], 2, s[10:11]
	v_lshl_add_u64 v[6:7], v[56:57], 2, s[10:11]
	v_cndmask_b32_e32 v3, v81, v83, vcc_lo
	v_cmp_gt_i32_e32 vcc_lo, 32, v82
	v_dual_mov_b32 v129, 0 :: v_dual_mov_b32 v130, 0
	v_add_nc_u64_e32 v[16:17], v[0:1], v[44:45]
	v_add_nc_u64_e32 v[34:35], v[6:7], v[44:45]
	v_cndmask_b32_e32 v5, v81, v82, vcc_lo
	v_dual_lshlrev_b32 v70, 2, v2 :: v_dual_lshlrev_b32 v69, 2, v3
	v_lshl_add_u64 v[2:3], v[52:53], 2, s[10:11]
	v_dual_mov_b32 v131, 0 :: v_dual_mov_b32 v132, 0
	s_delay_alu instid0(VALU_DEP_4) | instskip(SKIP_1) | instid1(VALU_DEP_4)
	v_lshlrev_b32_e32 v68, 2, v5
	v_lshl_add_u64 v[4:5], v[54:55], 2, s[10:11]
	v_add_nc_u64_e32 v[18:19], v[2:3], v[44:45]
	v_dual_mov_b32 v133, 0 :: v_dual_mov_b32 v134, 0
	s_or_b32 s2, s14, 32
	s_delay_alu instid0(VALU_DEP_3)
	v_add_nc_u64_e32 v[32:33], v[4:5], v[44:45]
	s_clause 0x3
	global_load_b128 v[0:3], v[16:17], off
	global_load_b128 v[4:7], v[18:19], off
	;; [unrolled: 1-line block ×4, first 2 shown]
	s_mul_u64 s[6:7], s[14:15], s[18:19]
	s_ashr_i32 s3, s2, 31
	s_lshl_b64 s[6:7], s[6:7], 2
	s_mul_u64 s[8:9], s[2:3], s[18:19]
	s_add_nc_u64 s[2:3], s[40:41], s[6:7]
	s_lshl_b64 s[4:5], s[8:9], 2
	v_add_nc_u64_e32 v[20:21], s[2:3], v[58:59]
	v_add_nc_u64_e32 v[22:23], s[2:3], v[62:63]
	s_wait_loadcnt 0x3
	ds_store_b128 v87, v[0:3]
	s_wait_loadcnt 0x2
	ds_store_b128 v88, v[4:7]
	;; [unrolled: 2-line block ×4, first 2 shown]
	s_wait_dscnt 0x0
	s_barrier_signal -1
	s_barrier_wait -1
	ds_load_b128 v[0:3], v92
	ds_load_b128 v[4:7], v91
	ds_load_b128 v[8:11], v91 offset:512
	ds_load_b128 v[12:15], v91 offset:1024
	;; [unrolled: 1-line block ×4, first 2 shown]
	v_add_nc_u64_e32 v[20:21], v[20:21], v[60:61]
	v_add_nc_u64_e32 v[22:23], v[22:23], v[60:61]
	s_wait_dscnt 0x4
	;;#ASMSTART
	v_dot2_f32_f16 v127, v0, v4, v127
	;;#ASMEND
	;;#ASMSTART
	v_dot2_f32_f16 v127, v1, v5, v127
	;;#ASMEND
	;;#ASMSTART
	v_dot2_f32_f16 v127, v2, v6, v127
	;;#ASMEND
	;;#ASMSTART
	v_dot2_f32_f16 v127, v3, v7, v127
	;;#ASMEND
	s_wait_dscnt 0x3
	;;#ASMSTART
	v_dot2_f32_f16 v128, v0, v8, v128
	;;#ASMEND
	;;#ASMSTART
	v_dot2_f32_f16 v128, v1, v9, v128
	;;#ASMEND
	;;#ASMSTART
	v_dot2_f32_f16 v128, v2, v10, v128
	;;#ASMEND
	;;#ASMSTART
	v_dot2_f32_f16 v128, v3, v11, v128
	;;#ASMEND
	;; [unrolled: 13-line block ×5, first 2 shown]
	;;#ASMSTART
	v_dot2_f32_f16 v132, v28, v8, v132
	;;#ASMEND
	;;#ASMSTART
	v_dot2_f32_f16 v132, v29, v9, v132
	;;#ASMEND
	;; [unrolled: 3-line block ×12, first 2 shown]
	ds_load_b128 v[0:3], v92 offset:16
	ds_load_b128 v[4:7], v91 offset:16
	;; [unrolled: 1-line block ×6, first 2 shown]
	s_wait_dscnt 0x4
	;;#ASMSTART
	v_dot2_f32_f16 v127, v0, v4, v127
	;;#ASMEND
	;;#ASMSTART
	v_dot2_f32_f16 v127, v1, v5, v127
	;;#ASMEND
	;;#ASMSTART
	v_dot2_f32_f16 v127, v2, v6, v127
	;;#ASMEND
	;;#ASMSTART
	v_dot2_f32_f16 v127, v3, v7, v127
	;;#ASMEND
	s_wait_dscnt 0x3
	;;#ASMSTART
	v_dot2_f32_f16 v128, v0, v8, v128
	;;#ASMEND
	;;#ASMSTART
	v_dot2_f32_f16 v128, v1, v9, v128
	;;#ASMEND
	;;#ASMSTART
	v_dot2_f32_f16 v128, v2, v10, v128
	;;#ASMEND
	;;#ASMSTART
	v_dot2_f32_f16 v128, v3, v11, v128
	;;#ASMEND
	s_wait_dscnt 0x2
	;;#ASMSTART
	v_dot2_f32_f16 v129, v0, v12, v129
	;;#ASMEND
	;;#ASMSTART
	v_dot2_f32_f16 v129, v1, v13, v129
	;;#ASMEND
	;;#ASMSTART
	v_dot2_f32_f16 v129, v2, v14, v129
	;;#ASMEND
	;;#ASMSTART
	v_dot2_f32_f16 v129, v3, v15, v129
	;;#ASMEND
	s_wait_dscnt 0x1
	;;#ASMSTART
	v_dot2_f32_f16 v130, v0, v24, v130
	;;#ASMEND
	;;#ASMSTART
	v_dot2_f32_f16 v130, v1, v25, v130
	;;#ASMEND
	;;#ASMSTART
	v_dot2_f32_f16 v130, v2, v26, v130
	;;#ASMEND
	;;#ASMSTART
	v_dot2_f32_f16 v130, v3, v27, v130
	;;#ASMEND
	s_wait_dscnt 0x0
	;;#ASMSTART
	v_dot2_f32_f16 v131, v28, v4, v131
	;;#ASMEND
	;;#ASMSTART
	v_dot2_f32_f16 v131, v29, v5, v131
	;;#ASMEND
	;;#ASMSTART
	v_dot2_f32_f16 v131, v30, v6, v131
	;;#ASMEND
	;;#ASMSTART
	v_dot2_f32_f16 v131, v31, v7, v131
	;;#ASMEND
	;;#ASMSTART
	v_dot2_f32_f16 v132, v28, v8, v132
	;;#ASMEND
	;;#ASMSTART
	v_dot2_f32_f16 v132, v29, v9, v132
	;;#ASMEND
	;; [unrolled: 3-line block ×12, first 2 shown]
	ds_load_b128 v[0:3], v92 offset:32
	ds_load_b128 v[4:7], v91 offset:32
	;; [unrolled: 1-line block ×6, first 2 shown]
	s_wait_dscnt 0x4
	;;#ASMSTART
	v_dot2_f32_f16 v127, v0, v4, v127
	;;#ASMEND
	;;#ASMSTART
	v_dot2_f32_f16 v127, v1, v5, v127
	;;#ASMEND
	;;#ASMSTART
	v_dot2_f32_f16 v127, v2, v6, v127
	;;#ASMEND
	;;#ASMSTART
	v_dot2_f32_f16 v127, v3, v7, v127
	;;#ASMEND
	s_wait_dscnt 0x3
	;;#ASMSTART
	v_dot2_f32_f16 v128, v0, v8, v128
	;;#ASMEND
	;;#ASMSTART
	v_dot2_f32_f16 v128, v1, v9, v128
	;;#ASMEND
	;;#ASMSTART
	v_dot2_f32_f16 v128, v2, v10, v128
	;;#ASMEND
	;;#ASMSTART
	v_dot2_f32_f16 v128, v3, v11, v128
	;;#ASMEND
	;; [unrolled: 13-line block ×5, first 2 shown]
	;;#ASMSTART
	v_dot2_f32_f16 v132, v28, v8, v132
	;;#ASMEND
	;;#ASMSTART
	v_dot2_f32_f16 v132, v29, v9, v132
	;;#ASMEND
	;; [unrolled: 3-line block ×12, first 2 shown]
	ds_load_b128 v[0:3], v92 offset:48
	ds_load_b128 v[4:7], v91 offset:48
	;; [unrolled: 1-line block ×6, first 2 shown]
	s_wait_dscnt 0x4
	;;#ASMSTART
	v_dot2_f32_f16 v127, v0, v4, v127
	;;#ASMEND
	;;#ASMSTART
	v_dot2_f32_f16 v127, v1, v5, v127
	;;#ASMEND
	;;#ASMSTART
	v_dot2_f32_f16 v127, v2, v6, v127
	;;#ASMEND
	;;#ASMSTART
	v_dot2_f32_f16 v127, v3, v7, v127
	;;#ASMEND
	s_wait_dscnt 0x3
	;;#ASMSTART
	v_dot2_f32_f16 v128, v0, v8, v128
	;;#ASMEND
	;;#ASMSTART
	v_dot2_f32_f16 v128, v1, v9, v128
	;;#ASMEND
	;;#ASMSTART
	v_dot2_f32_f16 v128, v2, v10, v128
	;;#ASMEND
	;;#ASMSTART
	v_dot2_f32_f16 v128, v3, v11, v128
	;;#ASMEND
	;; [unrolled: 13-line block ×5, first 2 shown]
	;;#ASMSTART
	v_dot2_f32_f16 v132, v28, v8, v132
	;;#ASMEND
	;;#ASMSTART
	v_dot2_f32_f16 v132, v29, v9, v132
	;;#ASMEND
	;; [unrolled: 3-line block ×12, first 2 shown]
	ds_load_b128 v[0:3], v92 offset:64
	ds_load_b128 v[4:7], v91 offset:64
	;; [unrolled: 1-line block ×6, first 2 shown]
	s_wait_dscnt 0x4
	;;#ASMSTART
	v_dot2_f32_f16 v127, v0, v4, v127
	;;#ASMEND
	;;#ASMSTART
	v_dot2_f32_f16 v127, v1, v5, v127
	;;#ASMEND
	;;#ASMSTART
	v_dot2_f32_f16 v127, v2, v6, v127
	;;#ASMEND
	;;#ASMSTART
	v_dot2_f32_f16 v127, v3, v7, v127
	;;#ASMEND
	s_wait_dscnt 0x3
	;;#ASMSTART
	v_dot2_f32_f16 v128, v0, v8, v128
	;;#ASMEND
	;;#ASMSTART
	v_dot2_f32_f16 v128, v1, v9, v128
	;;#ASMEND
	;;#ASMSTART
	v_dot2_f32_f16 v128, v2, v10, v128
	;;#ASMEND
	;;#ASMSTART
	v_dot2_f32_f16 v128, v3, v11, v128
	;;#ASMEND
	;; [unrolled: 13-line block ×5, first 2 shown]
	;;#ASMSTART
	v_dot2_f32_f16 v132, v28, v8, v132
	;;#ASMEND
	;;#ASMSTART
	v_dot2_f32_f16 v132, v29, v9, v132
	;;#ASMEND
	;; [unrolled: 3-line block ×12, first 2 shown]
	ds_load_b128 v[0:3], v92 offset:80
	ds_load_b128 v[4:7], v91 offset:80
	ds_load_b128 v[8:11], v91 offset:592
	ds_load_b128 v[12:15], v91 offset:1104
	ds_load_b128 v[24:27], v91 offset:1616
	ds_load_b128 v[28:31], v92 offset:8784
	s_wait_dscnt 0x4
	;;#ASMSTART
	v_dot2_f32_f16 v127, v0, v4, v127
	;;#ASMEND
	;;#ASMSTART
	v_dot2_f32_f16 v127, v1, v5, v127
	;;#ASMEND
	;;#ASMSTART
	v_dot2_f32_f16 v127, v2, v6, v127
	;;#ASMEND
	;;#ASMSTART
	v_dot2_f32_f16 v127, v3, v7, v127
	;;#ASMEND
	s_wait_dscnt 0x3
	;;#ASMSTART
	v_dot2_f32_f16 v128, v0, v8, v128
	;;#ASMEND
	;;#ASMSTART
	v_dot2_f32_f16 v128, v1, v9, v128
	;;#ASMEND
	;;#ASMSTART
	v_dot2_f32_f16 v128, v2, v10, v128
	;;#ASMEND
	;;#ASMSTART
	v_dot2_f32_f16 v128, v3, v11, v128
	;;#ASMEND
	;; [unrolled: 13-line block ×5, first 2 shown]
	;;#ASMSTART
	v_dot2_f32_f16 v132, v28, v8, v132
	;;#ASMEND
	;;#ASMSTART
	v_dot2_f32_f16 v132, v29, v9, v132
	;;#ASMEND
	;; [unrolled: 3-line block ×12, first 2 shown]
	ds_load_b128 v[0:3], v92 offset:96
	ds_load_b128 v[4:7], v91 offset:96
	ds_load_b128 v[8:11], v91 offset:608
	ds_load_b128 v[12:15], v91 offset:1120
	ds_load_b128 v[24:27], v91 offset:1632
	ds_load_b128 v[28:31], v92 offset:8800
	s_wait_dscnt 0x4
	;;#ASMSTART
	v_dot2_f32_f16 v127, v0, v4, v127
	;;#ASMEND
	;;#ASMSTART
	v_dot2_f32_f16 v127, v1, v5, v127
	;;#ASMEND
	;;#ASMSTART
	v_dot2_f32_f16 v127, v2, v6, v127
	;;#ASMEND
	;;#ASMSTART
	v_dot2_f32_f16 v127, v3, v7, v127
	;;#ASMEND
	s_wait_dscnt 0x3
	;;#ASMSTART
	v_dot2_f32_f16 v128, v0, v8, v128
	;;#ASMEND
	;;#ASMSTART
	v_dot2_f32_f16 v128, v1, v9, v128
	;;#ASMEND
	;;#ASMSTART
	v_dot2_f32_f16 v128, v2, v10, v128
	;;#ASMEND
	;;#ASMSTART
	v_dot2_f32_f16 v128, v3, v11, v128
	;;#ASMEND
	;; [unrolled: 13-line block ×5, first 2 shown]
	;;#ASMSTART
	v_dot2_f32_f16 v132, v28, v8, v132
	;;#ASMEND
	;;#ASMSTART
	v_dot2_f32_f16 v132, v29, v9, v132
	;;#ASMEND
	;; [unrolled: 3-line block ×12, first 2 shown]
	ds_load_b128 v[0:3], v92 offset:112
	ds_load_b128 v[4:7], v91 offset:112
	;; [unrolled: 1-line block ×6, first 2 shown]
	s_wait_dscnt 0x4
	;;#ASMSTART
	v_dot2_f32_f16 v127, v0, v4, v127
	;;#ASMEND
	;;#ASMSTART
	v_dot2_f32_f16 v127, v1, v5, v127
	;;#ASMEND
	;;#ASMSTART
	v_dot2_f32_f16 v127, v2, v6, v127
	;;#ASMEND
	;;#ASMSTART
	v_dot2_f32_f16 v127, v3, v7, v127
	;;#ASMEND
	s_wait_dscnt 0x3
	;;#ASMSTART
	v_dot2_f32_f16 v128, v0, v8, v128
	;;#ASMEND
	;;#ASMSTART
	v_dot2_f32_f16 v128, v1, v9, v128
	;;#ASMEND
	;;#ASMSTART
	v_dot2_f32_f16 v128, v2, v10, v128
	;;#ASMEND
	;;#ASMSTART
	v_dot2_f32_f16 v128, v3, v11, v128
	;;#ASMEND
	;; [unrolled: 13-line block ×5, first 2 shown]
	;;#ASMSTART
	v_dot2_f32_f16 v132, v28, v8, v132
	;;#ASMEND
	;;#ASMSTART
	v_dot2_f32_f16 v132, v29, v9, v132
	;;#ASMEND
	;; [unrolled: 3-line block ×12, first 2 shown]
	ds_load_b128 v[0:3], v92 offset:128
	ds_load_b128 v[4:7], v91 offset:128
	;; [unrolled: 1-line block ×6, first 2 shown]
	s_wait_dscnt 0x4
	;;#ASMSTART
	v_dot2_f32_f16 v127, v0, v4, v127
	;;#ASMEND
	;;#ASMSTART
	v_dot2_f32_f16 v127, v1, v5, v127
	;;#ASMEND
	;;#ASMSTART
	v_dot2_f32_f16 v127, v2, v6, v127
	;;#ASMEND
	;;#ASMSTART
	v_dot2_f32_f16 v127, v3, v7, v127
	;;#ASMEND
	s_wait_dscnt 0x3
	;;#ASMSTART
	v_dot2_f32_f16 v128, v0, v8, v128
	;;#ASMEND
	;;#ASMSTART
	v_dot2_f32_f16 v128, v1, v9, v128
	;;#ASMEND
	;;#ASMSTART
	v_dot2_f32_f16 v128, v2, v10, v128
	;;#ASMEND
	;;#ASMSTART
	v_dot2_f32_f16 v128, v3, v11, v128
	;;#ASMEND
	;; [unrolled: 13-line block ×5, first 2 shown]
	;;#ASMSTART
	v_dot2_f32_f16 v132, v28, v8, v132
	;;#ASMEND
	;;#ASMSTART
	v_dot2_f32_f16 v132, v29, v9, v132
	;;#ASMEND
	;; [unrolled: 3-line block ×12, first 2 shown]
	ds_load_b128 v[0:3], v92 offset:144
	ds_load_b128 v[4:7], v91 offset:144
	ds_load_b128 v[8:11], v91 offset:656
	ds_load_b128 v[12:15], v91 offset:1168
	ds_load_b128 v[24:27], v91 offset:1680
	ds_load_b128 v[28:31], v92 offset:8848
	s_wait_dscnt 0x4
	;;#ASMSTART
	v_dot2_f32_f16 v127, v0, v4, v127
	;;#ASMEND
	;;#ASMSTART
	v_dot2_f32_f16 v127, v1, v5, v127
	;;#ASMEND
	;;#ASMSTART
	v_dot2_f32_f16 v127, v2, v6, v127
	;;#ASMEND
	;;#ASMSTART
	v_dot2_f32_f16 v127, v3, v7, v127
	;;#ASMEND
	s_wait_dscnt 0x3
	;;#ASMSTART
	v_dot2_f32_f16 v128, v0, v8, v128
	;;#ASMEND
	;;#ASMSTART
	v_dot2_f32_f16 v128, v1, v9, v128
	;;#ASMEND
	;;#ASMSTART
	v_dot2_f32_f16 v128, v2, v10, v128
	;;#ASMEND
	;;#ASMSTART
	v_dot2_f32_f16 v128, v3, v11, v128
	;;#ASMEND
	;; [unrolled: 13-line block ×5, first 2 shown]
	;;#ASMSTART
	v_dot2_f32_f16 v132, v28, v8, v132
	;;#ASMEND
	;;#ASMSTART
	v_dot2_f32_f16 v132, v29, v9, v132
	;;#ASMEND
	;; [unrolled: 3-line block ×12, first 2 shown]
	ds_load_b128 v[0:3], v92 offset:160
	ds_load_b128 v[4:7], v91 offset:160
	;; [unrolled: 1-line block ×6, first 2 shown]
	s_wait_dscnt 0x4
	;;#ASMSTART
	v_dot2_f32_f16 v127, v0, v4, v127
	;;#ASMEND
	;;#ASMSTART
	v_dot2_f32_f16 v127, v1, v5, v127
	;;#ASMEND
	;;#ASMSTART
	v_dot2_f32_f16 v127, v2, v6, v127
	;;#ASMEND
	;;#ASMSTART
	v_dot2_f32_f16 v127, v3, v7, v127
	;;#ASMEND
	s_wait_dscnt 0x3
	;;#ASMSTART
	v_dot2_f32_f16 v128, v0, v8, v128
	;;#ASMEND
	;;#ASMSTART
	v_dot2_f32_f16 v128, v1, v9, v128
	;;#ASMEND
	;;#ASMSTART
	v_dot2_f32_f16 v128, v2, v10, v128
	;;#ASMEND
	;;#ASMSTART
	v_dot2_f32_f16 v128, v3, v11, v128
	;;#ASMEND
	s_wait_dscnt 0x2
	;;#ASMSTART
	v_dot2_f32_f16 v129, v0, v12, v129
	;;#ASMEND
	;;#ASMSTART
	v_dot2_f32_f16 v129, v1, v13, v129
	;;#ASMEND
	;;#ASMSTART
	v_dot2_f32_f16 v129, v2, v14, v129
	;;#ASMEND
	;;#ASMSTART
	v_dot2_f32_f16 v129, v3, v15, v129
	;;#ASMEND
	s_wait_dscnt 0x1
	;;#ASMSTART
	v_dot2_f32_f16 v130, v0, v24, v130
	;;#ASMEND
	;;#ASMSTART
	v_dot2_f32_f16 v130, v1, v25, v130
	;;#ASMEND
	;;#ASMSTART
	v_dot2_f32_f16 v130, v2, v26, v130
	;;#ASMEND
	;;#ASMSTART
	v_dot2_f32_f16 v130, v3, v27, v130
	;;#ASMEND
	s_wait_dscnt 0x0
	;;#ASMSTART
	v_dot2_f32_f16 v131, v28, v4, v131
	;;#ASMEND
	;;#ASMSTART
	v_dot2_f32_f16 v131, v29, v5, v131
	;;#ASMEND
	;;#ASMSTART
	v_dot2_f32_f16 v131, v30, v6, v131
	;;#ASMEND
	;;#ASMSTART
	v_dot2_f32_f16 v131, v31, v7, v131
	;;#ASMEND
	;;#ASMSTART
	v_dot2_f32_f16 v132, v28, v8, v132
	;;#ASMEND
	;;#ASMSTART
	v_dot2_f32_f16 v132, v29, v9, v132
	;;#ASMEND
	;; [unrolled: 3-line block ×12, first 2 shown]
	ds_load_b128 v[0:3], v92 offset:176
	ds_load_b128 v[4:7], v91 offset:176
	;; [unrolled: 1-line block ×6, first 2 shown]
	s_wait_dscnt 0x4
	;;#ASMSTART
	v_dot2_f32_f16 v127, v0, v4, v127
	;;#ASMEND
	;;#ASMSTART
	v_dot2_f32_f16 v127, v1, v5, v127
	;;#ASMEND
	;;#ASMSTART
	v_dot2_f32_f16 v127, v2, v6, v127
	;;#ASMEND
	;;#ASMSTART
	v_dot2_f32_f16 v127, v3, v7, v127
	;;#ASMEND
	s_wait_dscnt 0x3
	;;#ASMSTART
	v_dot2_f32_f16 v128, v0, v8, v128
	;;#ASMEND
	;;#ASMSTART
	v_dot2_f32_f16 v128, v1, v9, v128
	;;#ASMEND
	;;#ASMSTART
	v_dot2_f32_f16 v128, v2, v10, v128
	;;#ASMEND
	;;#ASMSTART
	v_dot2_f32_f16 v128, v3, v11, v128
	;;#ASMEND
	;; [unrolled: 13-line block ×5, first 2 shown]
	;;#ASMSTART
	v_dot2_f32_f16 v132, v28, v8, v132
	;;#ASMEND
	;;#ASMSTART
	v_dot2_f32_f16 v132, v29, v9, v132
	;;#ASMEND
	;; [unrolled: 3-line block ×12, first 2 shown]
	ds_load_b128 v[0:3], v92 offset:192
	ds_load_b128 v[4:7], v91 offset:192
	;; [unrolled: 1-line block ×6, first 2 shown]
	s_wait_dscnt 0x4
	;;#ASMSTART
	v_dot2_f32_f16 v127, v0, v4, v127
	;;#ASMEND
	;;#ASMSTART
	v_dot2_f32_f16 v127, v1, v5, v127
	;;#ASMEND
	;;#ASMSTART
	v_dot2_f32_f16 v127, v2, v6, v127
	;;#ASMEND
	;;#ASMSTART
	v_dot2_f32_f16 v127, v3, v7, v127
	;;#ASMEND
	s_wait_dscnt 0x3
	;;#ASMSTART
	v_dot2_f32_f16 v128, v0, v8, v128
	;;#ASMEND
	;;#ASMSTART
	v_dot2_f32_f16 v128, v1, v9, v128
	;;#ASMEND
	;;#ASMSTART
	v_dot2_f32_f16 v128, v2, v10, v128
	;;#ASMEND
	;;#ASMSTART
	v_dot2_f32_f16 v128, v3, v11, v128
	;;#ASMEND
	;; [unrolled: 13-line block ×5, first 2 shown]
	;;#ASMSTART
	v_dot2_f32_f16 v132, v28, v8, v132
	;;#ASMEND
	;;#ASMSTART
	v_dot2_f32_f16 v132, v29, v9, v132
	;;#ASMEND
	;; [unrolled: 3-line block ×12, first 2 shown]
	ds_load_b128 v[0:3], v92 offset:208
	ds_load_b128 v[4:7], v91 offset:208
	;; [unrolled: 1-line block ×6, first 2 shown]
	s_wait_dscnt 0x4
	;;#ASMSTART
	v_dot2_f32_f16 v127, v0, v4, v127
	;;#ASMEND
	;;#ASMSTART
	v_dot2_f32_f16 v127, v1, v5, v127
	;;#ASMEND
	;;#ASMSTART
	v_dot2_f32_f16 v127, v2, v6, v127
	;;#ASMEND
	;;#ASMSTART
	v_dot2_f32_f16 v127, v3, v7, v127
	;;#ASMEND
	s_wait_dscnt 0x3
	;;#ASMSTART
	v_dot2_f32_f16 v128, v0, v8, v128
	;;#ASMEND
	;;#ASMSTART
	v_dot2_f32_f16 v128, v1, v9, v128
	;;#ASMEND
	;;#ASMSTART
	v_dot2_f32_f16 v128, v2, v10, v128
	;;#ASMEND
	;;#ASMSTART
	v_dot2_f32_f16 v128, v3, v11, v128
	;;#ASMEND
	s_wait_dscnt 0x2
	;;#ASMSTART
	v_dot2_f32_f16 v129, v0, v12, v129
	;;#ASMEND
	;;#ASMSTART
	v_dot2_f32_f16 v129, v1, v13, v129
	;;#ASMEND
	;;#ASMSTART
	v_dot2_f32_f16 v129, v2, v14, v129
	;;#ASMEND
	;;#ASMSTART
	v_dot2_f32_f16 v129, v3, v15, v129
	;;#ASMEND
	s_wait_dscnt 0x1
	;;#ASMSTART
	v_dot2_f32_f16 v130, v0, v24, v130
	;;#ASMEND
	;;#ASMSTART
	v_dot2_f32_f16 v130, v1, v25, v130
	;;#ASMEND
	;;#ASMSTART
	v_dot2_f32_f16 v130, v2, v26, v130
	;;#ASMEND
	;;#ASMSTART
	v_dot2_f32_f16 v130, v3, v27, v130
	;;#ASMEND
	s_wait_dscnt 0x0
	;;#ASMSTART
	v_dot2_f32_f16 v131, v28, v4, v131
	;;#ASMEND
	;;#ASMSTART
	v_dot2_f32_f16 v131, v29, v5, v131
	;;#ASMEND
	;;#ASMSTART
	v_dot2_f32_f16 v131, v30, v6, v131
	;;#ASMEND
	;;#ASMSTART
	v_dot2_f32_f16 v131, v31, v7, v131
	;;#ASMEND
	;;#ASMSTART
	v_dot2_f32_f16 v132, v28, v8, v132
	;;#ASMEND
	;;#ASMSTART
	v_dot2_f32_f16 v132, v29, v9, v132
	;;#ASMEND
	;; [unrolled: 3-line block ×12, first 2 shown]
	ds_load_b128 v[0:3], v92 offset:224
	ds_load_b128 v[4:7], v91 offset:224
	;; [unrolled: 1-line block ×6, first 2 shown]
	s_wait_dscnt 0x4
	;;#ASMSTART
	v_dot2_f32_f16 v127, v0, v4, v127
	;;#ASMEND
	;;#ASMSTART
	v_dot2_f32_f16 v127, v1, v5, v127
	;;#ASMEND
	;;#ASMSTART
	v_dot2_f32_f16 v127, v2, v6, v127
	;;#ASMEND
	;;#ASMSTART
	v_dot2_f32_f16 v127, v3, v7, v127
	;;#ASMEND
	s_wait_dscnt 0x3
	;;#ASMSTART
	v_dot2_f32_f16 v128, v0, v8, v128
	;;#ASMEND
	;;#ASMSTART
	v_dot2_f32_f16 v128, v1, v9, v128
	;;#ASMEND
	;;#ASMSTART
	v_dot2_f32_f16 v128, v2, v10, v128
	;;#ASMEND
	;;#ASMSTART
	v_dot2_f32_f16 v128, v3, v11, v128
	;;#ASMEND
	;; [unrolled: 13-line block ×5, first 2 shown]
	;;#ASMSTART
	v_dot2_f32_f16 v132, v28, v8, v132
	;;#ASMEND
	;;#ASMSTART
	v_dot2_f32_f16 v132, v29, v9, v132
	;;#ASMEND
	;; [unrolled: 3-line block ×12, first 2 shown]
	ds_load_b128 v[24:27], v92 offset:240
	ds_load_b128 v[28:31], v91 offset:240
	;; [unrolled: 1-line block ×6, first 2 shown]
	s_wait_dscnt 0x4
	;;#ASMSTART
	v_dot2_f32_f16 v127, v24, v28, v127
	;;#ASMEND
	;;#ASMSTART
	v_dot2_f32_f16 v127, v25, v29, v127
	;;#ASMEND
	;;#ASMSTART
	v_dot2_f32_f16 v127, v26, v30, v127
	;;#ASMEND
	;;#ASMSTART
	v_dot2_f32_f16 v127, v27, v31, v127
	;;#ASMEND
	s_wait_dscnt 0x3
	;;#ASMSTART
	v_dot2_f32_f16 v128, v24, v12, v128
	;;#ASMEND
	;;#ASMSTART
	v_dot2_f32_f16 v128, v25, v13, v128
	;;#ASMEND
	;;#ASMSTART
	v_dot2_f32_f16 v128, v26, v14, v128
	;;#ASMEND
	;;#ASMSTART
	v_dot2_f32_f16 v128, v27, v15, v128
	;;#ASMEND
	s_wait_dscnt 0x2
	;;#ASMSTART
	v_dot2_f32_f16 v129, v24, v8, v129
	;;#ASMEND
	;;#ASMSTART
	v_dot2_f32_f16 v129, v25, v9, v129
	;;#ASMEND
	;;#ASMSTART
	v_dot2_f32_f16 v129, v26, v10, v129
	;;#ASMEND
	;;#ASMSTART
	v_dot2_f32_f16 v129, v27, v11, v129
	;;#ASMEND
	s_wait_dscnt 0x1
	;;#ASMSTART
	v_dot2_f32_f16 v130, v24, v0, v130
	;;#ASMEND
	;;#ASMSTART
	v_dot2_f32_f16 v130, v25, v1, v130
	;;#ASMEND
	;;#ASMSTART
	v_dot2_f32_f16 v130, v26, v2, v130
	;;#ASMEND
	;;#ASMSTART
	v_dot2_f32_f16 v130, v27, v3, v130
	;;#ASMEND
	s_wait_dscnt 0x0
	;;#ASMSTART
	v_dot2_f32_f16 v131, v4, v28, v131
	;;#ASMEND
	;;#ASMSTART
	v_dot2_f32_f16 v131, v5, v29, v131
	;;#ASMEND
	;;#ASMSTART
	v_dot2_f32_f16 v131, v6, v30, v131
	;;#ASMEND
	;;#ASMSTART
	v_dot2_f32_f16 v131, v7, v31, v131
	;;#ASMEND
	;;#ASMSTART
	v_dot2_f32_f16 v132, v4, v12, v132
	;;#ASMEND
	;;#ASMSTART
	v_dot2_f32_f16 v132, v5, v13, v132
	;;#ASMEND
	;; [unrolled: 3-line block ×12, first 2 shown]
	s_barrier_signal -1
	s_barrier_wait -1
	s_clause 0x3
	global_load_b128 v[0:3], v[16:17], off offset:256
	global_load_b128 v[4:7], v[18:19], off offset:256
	;; [unrolled: 1-line block ×4, first 2 shown]
	v_add_nc_u64_e32 v[24:25], s[2:3], v[64:65]
	v_add_nc_u64_e32 v[26:27], s[2:3], v[66:67]
	s_add_nc_u64 s[2:3], s[40:41], s[4:5]
	s_wait_loadcnt 0x3
	ds_store_b128 v87, v[0:3]
	s_wait_loadcnt 0x2
	ds_store_b128 v88, v[4:7]
	;; [unrolled: 2-line block ×4, first 2 shown]
	s_wait_dscnt 0x0
	s_barrier_signal -1
	s_barrier_wait -1
	ds_load_b128 v[0:3], v92
	ds_load_b128 v[4:7], v91 offset:256
	ds_load_b128 v[8:11], v91 offset:768
	;; [unrolled: 1-line block ×5, first 2 shown]
	s_wait_dscnt 0x4
	;;#ASMSTART
	v_dot2_f32_f16 v127, v0, v4, v127
	;;#ASMEND
	;;#ASMSTART
	v_dot2_f32_f16 v127, v1, v5, v127
	;;#ASMEND
	;;#ASMSTART
	v_dot2_f32_f16 v127, v2, v6, v127
	;;#ASMEND
	;;#ASMSTART
	v_dot2_f32_f16 v127, v3, v7, v127
	;;#ASMEND
	s_wait_dscnt 0x3
	;;#ASMSTART
	v_dot2_f32_f16 v128, v0, v8, v128
	;;#ASMEND
	;;#ASMSTART
	v_dot2_f32_f16 v128, v1, v9, v128
	;;#ASMEND
	;;#ASMSTART
	v_dot2_f32_f16 v128, v2, v10, v128
	;;#ASMEND
	;;#ASMSTART
	v_dot2_f32_f16 v128, v3, v11, v128
	;;#ASMEND
	s_wait_dscnt 0x2
	;;#ASMSTART
	v_dot2_f32_f16 v129, v0, v12, v129
	;;#ASMEND
	;;#ASMSTART
	v_dot2_f32_f16 v129, v1, v13, v129
	;;#ASMEND
	;;#ASMSTART
	v_dot2_f32_f16 v129, v2, v14, v129
	;;#ASMEND
	;;#ASMSTART
	v_dot2_f32_f16 v129, v3, v15, v129
	;;#ASMEND
	s_wait_dscnt 0x1
	;;#ASMSTART
	v_dot2_f32_f16 v130, v0, v16, v130
	;;#ASMEND
	;;#ASMSTART
	v_dot2_f32_f16 v130, v1, v17, v130
	;;#ASMEND
	;;#ASMSTART
	v_dot2_f32_f16 v130, v2, v18, v130
	;;#ASMEND
	;;#ASMSTART
	v_dot2_f32_f16 v130, v3, v19, v130
	;;#ASMEND
	s_wait_dscnt 0x0
	;;#ASMSTART
	v_dot2_f32_f16 v131, v32, v4, v131
	;;#ASMEND
	;;#ASMSTART
	v_dot2_f32_f16 v131, v33, v5, v131
	;;#ASMEND
	;;#ASMSTART
	v_dot2_f32_f16 v131, v34, v6, v131
	;;#ASMEND
	;;#ASMSTART
	v_dot2_f32_f16 v131, v35, v7, v131
	;;#ASMEND
	;;#ASMSTART
	v_dot2_f32_f16 v132, v32, v8, v132
	;;#ASMEND
	;;#ASMSTART
	v_dot2_f32_f16 v132, v33, v9, v132
	;;#ASMEND
	;; [unrolled: 3-line block ×12, first 2 shown]
	ds_load_b128 v[0:3], v92 offset:16
	ds_load_b128 v[4:7], v91 offset:272
	ds_load_b128 v[8:11], v91 offset:784
	ds_load_b128 v[12:15], v91 offset:1296
	ds_load_b128 v[16:19], v91 offset:1808
	ds_load_b128 v[32:35], v92 offset:8720
	s_wait_dscnt 0x4
	;;#ASMSTART
	v_dot2_f32_f16 v127, v0, v4, v127
	;;#ASMEND
	;;#ASMSTART
	v_dot2_f32_f16 v127, v1, v5, v127
	;;#ASMEND
	;;#ASMSTART
	v_dot2_f32_f16 v127, v2, v6, v127
	;;#ASMEND
	;;#ASMSTART
	v_dot2_f32_f16 v127, v3, v7, v127
	;;#ASMEND
	s_wait_dscnt 0x3
	;;#ASMSTART
	v_dot2_f32_f16 v128, v0, v8, v128
	;;#ASMEND
	;;#ASMSTART
	v_dot2_f32_f16 v128, v1, v9, v128
	;;#ASMEND
	;;#ASMSTART
	v_dot2_f32_f16 v128, v2, v10, v128
	;;#ASMEND
	;;#ASMSTART
	v_dot2_f32_f16 v128, v3, v11, v128
	;;#ASMEND
	;; [unrolled: 13-line block ×5, first 2 shown]
	;;#ASMSTART
	v_dot2_f32_f16 v132, v32, v8, v132
	;;#ASMEND
	;;#ASMSTART
	v_dot2_f32_f16 v132, v33, v9, v132
	;;#ASMEND
	;; [unrolled: 3-line block ×12, first 2 shown]
	ds_load_b128 v[0:3], v92 offset:32
	ds_load_b128 v[4:7], v91 offset:288
	;; [unrolled: 1-line block ×6, first 2 shown]
	s_wait_dscnt 0x4
	;;#ASMSTART
	v_dot2_f32_f16 v127, v0, v4, v127
	;;#ASMEND
	;;#ASMSTART
	v_dot2_f32_f16 v127, v1, v5, v127
	;;#ASMEND
	;;#ASMSTART
	v_dot2_f32_f16 v127, v2, v6, v127
	;;#ASMEND
	;;#ASMSTART
	v_dot2_f32_f16 v127, v3, v7, v127
	;;#ASMEND
	s_wait_dscnt 0x3
	;;#ASMSTART
	v_dot2_f32_f16 v128, v0, v8, v128
	;;#ASMEND
	;;#ASMSTART
	v_dot2_f32_f16 v128, v1, v9, v128
	;;#ASMEND
	;;#ASMSTART
	v_dot2_f32_f16 v128, v2, v10, v128
	;;#ASMEND
	;;#ASMSTART
	v_dot2_f32_f16 v128, v3, v11, v128
	;;#ASMEND
	;; [unrolled: 13-line block ×5, first 2 shown]
	;;#ASMSTART
	v_dot2_f32_f16 v132, v32, v8, v132
	;;#ASMEND
	;;#ASMSTART
	v_dot2_f32_f16 v132, v33, v9, v132
	;;#ASMEND
	;; [unrolled: 3-line block ×12, first 2 shown]
	ds_load_b128 v[0:3], v92 offset:48
	ds_load_b128 v[4:7], v91 offset:304
	;; [unrolled: 1-line block ×6, first 2 shown]
	s_wait_dscnt 0x4
	;;#ASMSTART
	v_dot2_f32_f16 v127, v0, v4, v127
	;;#ASMEND
	;;#ASMSTART
	v_dot2_f32_f16 v127, v1, v5, v127
	;;#ASMEND
	;;#ASMSTART
	v_dot2_f32_f16 v127, v2, v6, v127
	;;#ASMEND
	;;#ASMSTART
	v_dot2_f32_f16 v127, v3, v7, v127
	;;#ASMEND
	s_wait_dscnt 0x3
	;;#ASMSTART
	v_dot2_f32_f16 v128, v0, v8, v128
	;;#ASMEND
	;;#ASMSTART
	v_dot2_f32_f16 v128, v1, v9, v128
	;;#ASMEND
	;;#ASMSTART
	v_dot2_f32_f16 v128, v2, v10, v128
	;;#ASMEND
	;;#ASMSTART
	v_dot2_f32_f16 v128, v3, v11, v128
	;;#ASMEND
	;; [unrolled: 13-line block ×5, first 2 shown]
	;;#ASMSTART
	v_dot2_f32_f16 v132, v32, v8, v132
	;;#ASMEND
	;;#ASMSTART
	v_dot2_f32_f16 v132, v33, v9, v132
	;;#ASMEND
	;; [unrolled: 3-line block ×12, first 2 shown]
	ds_load_b128 v[0:3], v92 offset:64
	ds_load_b128 v[4:7], v91 offset:320
	;; [unrolled: 1-line block ×6, first 2 shown]
	s_wait_dscnt 0x4
	;;#ASMSTART
	v_dot2_f32_f16 v127, v0, v4, v127
	;;#ASMEND
	;;#ASMSTART
	v_dot2_f32_f16 v127, v1, v5, v127
	;;#ASMEND
	;;#ASMSTART
	v_dot2_f32_f16 v127, v2, v6, v127
	;;#ASMEND
	;;#ASMSTART
	v_dot2_f32_f16 v127, v3, v7, v127
	;;#ASMEND
	s_wait_dscnt 0x3
	;;#ASMSTART
	v_dot2_f32_f16 v128, v0, v8, v128
	;;#ASMEND
	;;#ASMSTART
	v_dot2_f32_f16 v128, v1, v9, v128
	;;#ASMEND
	;;#ASMSTART
	v_dot2_f32_f16 v128, v2, v10, v128
	;;#ASMEND
	;;#ASMSTART
	v_dot2_f32_f16 v128, v3, v11, v128
	;;#ASMEND
	;; [unrolled: 13-line block ×5, first 2 shown]
	;;#ASMSTART
	v_dot2_f32_f16 v132, v32, v8, v132
	;;#ASMEND
	;;#ASMSTART
	v_dot2_f32_f16 v132, v33, v9, v132
	;;#ASMEND
	;; [unrolled: 3-line block ×12, first 2 shown]
	ds_load_b128 v[0:3], v92 offset:80
	ds_load_b128 v[4:7], v91 offset:336
	;; [unrolled: 1-line block ×6, first 2 shown]
	s_wait_dscnt 0x4
	;;#ASMSTART
	v_dot2_f32_f16 v127, v0, v4, v127
	;;#ASMEND
	;;#ASMSTART
	v_dot2_f32_f16 v127, v1, v5, v127
	;;#ASMEND
	;;#ASMSTART
	v_dot2_f32_f16 v127, v2, v6, v127
	;;#ASMEND
	;;#ASMSTART
	v_dot2_f32_f16 v127, v3, v7, v127
	;;#ASMEND
	s_wait_dscnt 0x3
	;;#ASMSTART
	v_dot2_f32_f16 v128, v0, v8, v128
	;;#ASMEND
	;;#ASMSTART
	v_dot2_f32_f16 v128, v1, v9, v128
	;;#ASMEND
	;;#ASMSTART
	v_dot2_f32_f16 v128, v2, v10, v128
	;;#ASMEND
	;;#ASMSTART
	v_dot2_f32_f16 v128, v3, v11, v128
	;;#ASMEND
	;; [unrolled: 13-line block ×5, first 2 shown]
	;;#ASMSTART
	v_dot2_f32_f16 v132, v32, v8, v132
	;;#ASMEND
	;;#ASMSTART
	v_dot2_f32_f16 v132, v33, v9, v132
	;;#ASMEND
	;; [unrolled: 3-line block ×12, first 2 shown]
	ds_load_b128 v[0:3], v92 offset:96
	ds_load_b128 v[4:7], v91 offset:352
	;; [unrolled: 1-line block ×6, first 2 shown]
	s_wait_dscnt 0x4
	;;#ASMSTART
	v_dot2_f32_f16 v127, v0, v4, v127
	;;#ASMEND
	;;#ASMSTART
	v_dot2_f32_f16 v127, v1, v5, v127
	;;#ASMEND
	;;#ASMSTART
	v_dot2_f32_f16 v127, v2, v6, v127
	;;#ASMEND
	;;#ASMSTART
	v_dot2_f32_f16 v127, v3, v7, v127
	;;#ASMEND
	s_wait_dscnt 0x3
	;;#ASMSTART
	v_dot2_f32_f16 v128, v0, v8, v128
	;;#ASMEND
	;;#ASMSTART
	v_dot2_f32_f16 v128, v1, v9, v128
	;;#ASMEND
	;;#ASMSTART
	v_dot2_f32_f16 v128, v2, v10, v128
	;;#ASMEND
	;;#ASMSTART
	v_dot2_f32_f16 v128, v3, v11, v128
	;;#ASMEND
	;; [unrolled: 13-line block ×5, first 2 shown]
	;;#ASMSTART
	v_dot2_f32_f16 v132, v32, v8, v132
	;;#ASMEND
	;;#ASMSTART
	v_dot2_f32_f16 v132, v33, v9, v132
	;;#ASMEND
	;; [unrolled: 3-line block ×12, first 2 shown]
	ds_load_b128 v[0:3], v92 offset:112
	ds_load_b128 v[4:7], v91 offset:368
	;; [unrolled: 1-line block ×6, first 2 shown]
	s_wait_dscnt 0x4
	;;#ASMSTART
	v_dot2_f32_f16 v127, v0, v4, v127
	;;#ASMEND
	;;#ASMSTART
	v_dot2_f32_f16 v127, v1, v5, v127
	;;#ASMEND
	;;#ASMSTART
	v_dot2_f32_f16 v127, v2, v6, v127
	;;#ASMEND
	;;#ASMSTART
	v_dot2_f32_f16 v127, v3, v7, v127
	;;#ASMEND
	s_wait_dscnt 0x3
	;;#ASMSTART
	v_dot2_f32_f16 v128, v0, v8, v128
	;;#ASMEND
	;;#ASMSTART
	v_dot2_f32_f16 v128, v1, v9, v128
	;;#ASMEND
	;;#ASMSTART
	v_dot2_f32_f16 v128, v2, v10, v128
	;;#ASMEND
	;;#ASMSTART
	v_dot2_f32_f16 v128, v3, v11, v128
	;;#ASMEND
	;; [unrolled: 13-line block ×5, first 2 shown]
	;;#ASMSTART
	v_dot2_f32_f16 v132, v32, v8, v132
	;;#ASMEND
	;;#ASMSTART
	v_dot2_f32_f16 v132, v33, v9, v132
	;;#ASMEND
	;; [unrolled: 3-line block ×12, first 2 shown]
	ds_load_b128 v[0:3], v92 offset:128
	ds_load_b128 v[4:7], v91 offset:384
	;; [unrolled: 1-line block ×6, first 2 shown]
	s_wait_dscnt 0x4
	;;#ASMSTART
	v_dot2_f32_f16 v127, v0, v4, v127
	;;#ASMEND
	;;#ASMSTART
	v_dot2_f32_f16 v127, v1, v5, v127
	;;#ASMEND
	;;#ASMSTART
	v_dot2_f32_f16 v127, v2, v6, v127
	;;#ASMEND
	;;#ASMSTART
	v_dot2_f32_f16 v127, v3, v7, v127
	;;#ASMEND
	s_wait_dscnt 0x3
	;;#ASMSTART
	v_dot2_f32_f16 v128, v0, v8, v128
	;;#ASMEND
	;;#ASMSTART
	v_dot2_f32_f16 v128, v1, v9, v128
	;;#ASMEND
	;;#ASMSTART
	v_dot2_f32_f16 v128, v2, v10, v128
	;;#ASMEND
	;;#ASMSTART
	v_dot2_f32_f16 v128, v3, v11, v128
	;;#ASMEND
	;; [unrolled: 13-line block ×5, first 2 shown]
	;;#ASMSTART
	v_dot2_f32_f16 v132, v32, v8, v132
	;;#ASMEND
	;;#ASMSTART
	v_dot2_f32_f16 v132, v33, v9, v132
	;;#ASMEND
	;; [unrolled: 3-line block ×12, first 2 shown]
	ds_load_b128 v[0:3], v92 offset:144
	ds_load_b128 v[4:7], v91 offset:400
	;; [unrolled: 1-line block ×6, first 2 shown]
	s_wait_dscnt 0x4
	;;#ASMSTART
	v_dot2_f32_f16 v127, v0, v4, v127
	;;#ASMEND
	;;#ASMSTART
	v_dot2_f32_f16 v127, v1, v5, v127
	;;#ASMEND
	;;#ASMSTART
	v_dot2_f32_f16 v127, v2, v6, v127
	;;#ASMEND
	;;#ASMSTART
	v_dot2_f32_f16 v127, v3, v7, v127
	;;#ASMEND
	s_wait_dscnt 0x3
	;;#ASMSTART
	v_dot2_f32_f16 v128, v0, v8, v128
	;;#ASMEND
	;;#ASMSTART
	v_dot2_f32_f16 v128, v1, v9, v128
	;;#ASMEND
	;;#ASMSTART
	v_dot2_f32_f16 v128, v2, v10, v128
	;;#ASMEND
	;;#ASMSTART
	v_dot2_f32_f16 v128, v3, v11, v128
	;;#ASMEND
	;; [unrolled: 13-line block ×5, first 2 shown]
	;;#ASMSTART
	v_dot2_f32_f16 v132, v32, v8, v132
	;;#ASMEND
	;;#ASMSTART
	v_dot2_f32_f16 v132, v33, v9, v132
	;;#ASMEND
	;; [unrolled: 3-line block ×12, first 2 shown]
	ds_load_b128 v[0:3], v92 offset:160
	ds_load_b128 v[4:7], v91 offset:416
	;; [unrolled: 1-line block ×6, first 2 shown]
	s_wait_dscnt 0x4
	;;#ASMSTART
	v_dot2_f32_f16 v127, v0, v4, v127
	;;#ASMEND
	;;#ASMSTART
	v_dot2_f32_f16 v127, v1, v5, v127
	;;#ASMEND
	;;#ASMSTART
	v_dot2_f32_f16 v127, v2, v6, v127
	;;#ASMEND
	;;#ASMSTART
	v_dot2_f32_f16 v127, v3, v7, v127
	;;#ASMEND
	s_wait_dscnt 0x3
	;;#ASMSTART
	v_dot2_f32_f16 v128, v0, v8, v128
	;;#ASMEND
	;;#ASMSTART
	v_dot2_f32_f16 v128, v1, v9, v128
	;;#ASMEND
	;;#ASMSTART
	v_dot2_f32_f16 v128, v2, v10, v128
	;;#ASMEND
	;;#ASMSTART
	v_dot2_f32_f16 v128, v3, v11, v128
	;;#ASMEND
	;; [unrolled: 13-line block ×5, first 2 shown]
	;;#ASMSTART
	v_dot2_f32_f16 v132, v32, v8, v132
	;;#ASMEND
	;;#ASMSTART
	v_dot2_f32_f16 v132, v33, v9, v132
	;;#ASMEND
	;; [unrolled: 3-line block ×12, first 2 shown]
	ds_load_b128 v[0:3], v92 offset:176
	ds_load_b128 v[4:7], v91 offset:432
	;; [unrolled: 1-line block ×6, first 2 shown]
	s_wait_dscnt 0x4
	;;#ASMSTART
	v_dot2_f32_f16 v127, v0, v4, v127
	;;#ASMEND
	;;#ASMSTART
	v_dot2_f32_f16 v127, v1, v5, v127
	;;#ASMEND
	;;#ASMSTART
	v_dot2_f32_f16 v127, v2, v6, v127
	;;#ASMEND
	;;#ASMSTART
	v_dot2_f32_f16 v127, v3, v7, v127
	;;#ASMEND
	s_wait_dscnt 0x3
	;;#ASMSTART
	v_dot2_f32_f16 v128, v0, v8, v128
	;;#ASMEND
	;;#ASMSTART
	v_dot2_f32_f16 v128, v1, v9, v128
	;;#ASMEND
	;;#ASMSTART
	v_dot2_f32_f16 v128, v2, v10, v128
	;;#ASMEND
	;;#ASMSTART
	v_dot2_f32_f16 v128, v3, v11, v128
	;;#ASMEND
	;; [unrolled: 13-line block ×5, first 2 shown]
	;;#ASMSTART
	v_dot2_f32_f16 v132, v32, v8, v132
	;;#ASMEND
	;;#ASMSTART
	v_dot2_f32_f16 v132, v33, v9, v132
	;;#ASMEND
	;; [unrolled: 3-line block ×12, first 2 shown]
	ds_load_b128 v[0:3], v92 offset:192
	ds_load_b128 v[4:7], v91 offset:448
	;; [unrolled: 1-line block ×6, first 2 shown]
	s_wait_dscnt 0x4
	;;#ASMSTART
	v_dot2_f32_f16 v127, v0, v4, v127
	;;#ASMEND
	;;#ASMSTART
	v_dot2_f32_f16 v127, v1, v5, v127
	;;#ASMEND
	;;#ASMSTART
	v_dot2_f32_f16 v127, v2, v6, v127
	;;#ASMEND
	;;#ASMSTART
	v_dot2_f32_f16 v127, v3, v7, v127
	;;#ASMEND
	s_wait_dscnt 0x3
	;;#ASMSTART
	v_dot2_f32_f16 v128, v0, v8, v128
	;;#ASMEND
	;;#ASMSTART
	v_dot2_f32_f16 v128, v1, v9, v128
	;;#ASMEND
	;;#ASMSTART
	v_dot2_f32_f16 v128, v2, v10, v128
	;;#ASMEND
	;;#ASMSTART
	v_dot2_f32_f16 v128, v3, v11, v128
	;;#ASMEND
	;; [unrolled: 13-line block ×5, first 2 shown]
	;;#ASMSTART
	v_dot2_f32_f16 v132, v32, v8, v132
	;;#ASMEND
	;;#ASMSTART
	v_dot2_f32_f16 v132, v33, v9, v132
	;;#ASMEND
	;; [unrolled: 3-line block ×12, first 2 shown]
	ds_load_b128 v[0:3], v92 offset:208
	ds_load_b128 v[4:7], v91 offset:464
	;; [unrolled: 1-line block ×6, first 2 shown]
	s_wait_dscnt 0x4
	;;#ASMSTART
	v_dot2_f32_f16 v127, v0, v4, v127
	;;#ASMEND
	;;#ASMSTART
	v_dot2_f32_f16 v127, v1, v5, v127
	;;#ASMEND
	;;#ASMSTART
	v_dot2_f32_f16 v127, v2, v6, v127
	;;#ASMEND
	;;#ASMSTART
	v_dot2_f32_f16 v127, v3, v7, v127
	;;#ASMEND
	s_wait_dscnt 0x3
	;;#ASMSTART
	v_dot2_f32_f16 v128, v0, v8, v128
	;;#ASMEND
	;;#ASMSTART
	v_dot2_f32_f16 v128, v1, v9, v128
	;;#ASMEND
	;;#ASMSTART
	v_dot2_f32_f16 v128, v2, v10, v128
	;;#ASMEND
	;;#ASMSTART
	v_dot2_f32_f16 v128, v3, v11, v128
	;;#ASMEND
	;; [unrolled: 13-line block ×5, first 2 shown]
	;;#ASMSTART
	v_dot2_f32_f16 v132, v32, v8, v132
	;;#ASMEND
	;;#ASMSTART
	v_dot2_f32_f16 v132, v33, v9, v132
	;;#ASMEND
	;; [unrolled: 3-line block ×12, first 2 shown]
	ds_load_b128 v[0:3], v92 offset:224
	ds_load_b128 v[4:7], v91 offset:480
	;; [unrolled: 1-line block ×6, first 2 shown]
	s_wait_dscnt 0x4
	;;#ASMSTART
	v_dot2_f32_f16 v127, v0, v4, v127
	;;#ASMEND
	;;#ASMSTART
	v_dot2_f32_f16 v127, v1, v5, v127
	;;#ASMEND
	;;#ASMSTART
	v_dot2_f32_f16 v127, v2, v6, v127
	;;#ASMEND
	;;#ASMSTART
	v_dot2_f32_f16 v127, v3, v7, v127
	;;#ASMEND
	s_wait_dscnt 0x3
	;;#ASMSTART
	v_dot2_f32_f16 v128, v0, v8, v128
	;;#ASMEND
	;;#ASMSTART
	v_dot2_f32_f16 v128, v1, v9, v128
	;;#ASMEND
	;;#ASMSTART
	v_dot2_f32_f16 v128, v2, v10, v128
	;;#ASMEND
	;;#ASMSTART
	v_dot2_f32_f16 v128, v3, v11, v128
	;;#ASMEND
	;; [unrolled: 13-line block ×5, first 2 shown]
	;;#ASMSTART
	v_dot2_f32_f16 v132, v32, v8, v132
	;;#ASMEND
	;;#ASMSTART
	v_dot2_f32_f16 v132, v33, v9, v132
	;;#ASMEND
	;; [unrolled: 3-line block ×12, first 2 shown]
	ds_load_b128 v[32:35], v92 offset:240
	ds_load_b128 v[16:19], v91 offset:496
	;; [unrolled: 1-line block ×6, first 2 shown]
	s_wait_dscnt 0x4
	;;#ASMSTART
	v_dot2_f32_f16 v127, v32, v16, v127
	;;#ASMEND
	;;#ASMSTART
	v_dot2_f32_f16 v127, v33, v17, v127
	;;#ASMEND
	;;#ASMSTART
	v_dot2_f32_f16 v127, v34, v18, v127
	;;#ASMEND
	;;#ASMSTART
	v_dot2_f32_f16 v127, v35, v19, v127
	;;#ASMEND
	s_wait_dscnt 0x3
	;;#ASMSTART
	v_dot2_f32_f16 v128, v32, v12, v128
	;;#ASMEND
	;;#ASMSTART
	v_dot2_f32_f16 v128, v33, v13, v128
	;;#ASMEND
	;;#ASMSTART
	v_dot2_f32_f16 v128, v34, v14, v128
	;;#ASMEND
	;;#ASMSTART
	v_dot2_f32_f16 v128, v35, v15, v128
	;;#ASMEND
	;; [unrolled: 13-line block ×5, first 2 shown]
	;;#ASMSTART
	v_dot2_f32_f16 v132, v4, v12, v132
	;;#ASMEND
	;;#ASMSTART
	v_dot2_f32_f16 v132, v5, v13, v132
	;;#ASMEND
	;; [unrolled: 3-line block ×5, first 2 shown]
	v_add_nc_u64_e32 v[24:25], v[24:25], v[60:61]
	;;#ASMSTART
	v_dot2_f32_f16 v133, v5, v9, v133
	;;#ASMEND
	v_add_nc_u64_e32 v[26:27], v[26:27], v[60:61]
	;;#ASMSTART
	v_dot2_f32_f16 v133, v6, v10, v133
	;;#ASMEND
	;;#ASMSTART
	v_dot2_f32_f16 v133, v7, v11, v133
	;;#ASMEND
	;; [unrolled: 3-line block ×6, first 2 shown]
	s_clause 0x3
	global_load_u16 v16, v125, s[36:37] scale_offset
	global_load_u16 v17, v125, s[36:37] offset:64 scale_offset
	global_load_u16 v18, v126, s[36:37] scale_offset
	global_load_u16 v19, v126, s[36:37] offset:64 scale_offset
	s_wait_loadcnt 0x0
	s_barrier_signal -1
	s_barrier_wait -1
	s_clause 0x3
	global_load_b128 v[0:3], v[20:21], off
	global_load_b128 v[4:7], v[22:23], off
	;; [unrolled: 1-line block ×4, first 2 shown]
	v_add_nc_u64_e32 v[28:29], s[2:3], v[58:59]
	v_add_nc_u64_e32 v[30:31], s[2:3], v[62:63]
	;; [unrolled: 1-line block ×4, first 2 shown]
	s_wait_loadcnt 0x3
	ds_store_b128 v94, v[0:3]
	s_wait_loadcnt 0x2
	ds_store_b128 v97, v[4:7]
	;; [unrolled: 2-line block ×3, first 2 shown]
	v_cvt_f32_f16_e32 v0, v16
	v_cvt_f32_f16_e32 v1, v17
	v_cvt_f32_f16_e32 v2, v18
	v_cvt_f32_f16_e32 v3, v19
	s_wait_loadcnt 0x0
	ds_store_b128 v99, v[12:15]
	v_add_f32_e32 v4, v127, v0
	v_dual_add_f32 v5, v131, v1 :: v_dual_add_f32 v6, v128, v0
	v_dual_add_f32 v7, v132, v1 :: v_dual_add_f32 v8, v129, v2
	;; [unrolled: 1-line block ×3, first 2 shown]
	s_delay_alu instid0(VALU_DEP_4) | instskip(NEXT) | instid1(VALU_DEP_4)
	v_dual_add_f32 v11, v134, v3 :: v_dual_add_f32 v0, 0x40051340, v4
	v_dual_add_f32 v1, 0x40051340, v5 :: v_dual_add_f32 v2, 0x40051340, v6
	s_delay_alu instid0(VALU_DEP_4) | instskip(NEXT) | instid1(VALU_DEP_4)
	v_dual_add_f32 v3, 0x40051340, v7 :: v_dual_add_f32 v12, 0x40051340, v8
	v_dual_add_f32 v13, 0x40051340, v9 :: v_dual_add_f32 v14, 0x40051340, v10
	s_delay_alu instid0(VALU_DEP_3) | instskip(NEXT) | instid1(VALU_DEP_3)
	v_max3_num_f32 v0, v40, v0, v1
	v_max3_num_f32 v1, v41, v2, v3
	v_add_nc_u64_e32 v[38:39], v[28:29], v[60:61]
	s_delay_alu instid0(VALU_DEP_4)
	v_max3_num_f32 v2, v42, v12, v13
	v_add_nc_u64_e32 v[36:37], v[30:31], v[60:61]
	ds_bpermute_b32 v12, v124, v0
	v_add_f32_e32 v15, 0x40051340, v11
	ds_bpermute_b32 v13, v124, v1
	v_add_nc_u64_e32 v[34:35], v[32:33], v[60:61]
	v_add_nc_u64_e32 v[32:33], v[136:137], v[60:61]
	s_wait_dscnt 0x1
	v_max_num_f32_e32 v12, v12, v12
	v_max3_num_f32 v3, v43, v14, v15
	ds_bpermute_b32 v14, v124, v2
	s_wait_dscnt 0x1
	v_dual_max_num_f32 v13, v13, v13 :: v_dual_max_num_f32 v0, v0, v12
	ds_bpermute_b32 v15, v124, v3
	ds_bpermute_b32 v12, v71, v0
	s_wait_dscnt 0x2
	v_dual_max_num_f32 v14, v14, v14 :: v_dual_max_num_f32 v1, v1, v13
	s_wait_dscnt 0x1
	s_delay_alu instid0(VALU_DEP_1)
	v_dual_max_num_f32 v15, v15, v15 :: v_dual_max_num_f32 v2, v2, v14
	ds_bpermute_b32 v13, v71, v1
	s_wait_dscnt 0x1
	v_dual_max_num_f32 v12, v12, v12 :: v_dual_max_num_f32 v3, v3, v15
	ds_bpermute_b32 v14, v71, v2
	v_max_num_f32_e32 v0, v0, v12
	ds_bpermute_b32 v15, v71, v3
	ds_bpermute_b32 v12, v70, v0
	s_wait_dscnt 0x2
	v_dual_max_num_f32 v13, v13, v13 :: v_dual_max_num_f32 v14, v14, v14
	s_wait_dscnt 0x1
	s_delay_alu instid0(VALU_DEP_1) | instskip(NEXT) | instid1(VALU_DEP_2)
	v_dual_max_num_f32 v1, v1, v13 :: v_dual_max_num_f32 v15, v15, v15
	v_max_num_f32_e32 v2, v2, v14
	ds_bpermute_b32 v13, v70, v1
	s_wait_dscnt 0x1
	v_dual_max_num_f32 v12, v12, v12 :: v_dual_max_num_f32 v3, v3, v15
	ds_bpermute_b32 v14, v70, v2
	v_max_num_f32_e32 v0, v0, v12
	ds_bpermute_b32 v15, v70, v3
	ds_bpermute_b32 v12, v69, v0
	s_wait_dscnt 0x2
	v_dual_max_num_f32 v13, v13, v13 :: v_dual_max_num_f32 v14, v14, v14
	s_wait_dscnt 0x1
	s_delay_alu instid0(VALU_DEP_1) | instskip(NEXT) | instid1(VALU_DEP_2)
	v_dual_max_num_f32 v1, v1, v13 :: v_dual_max_num_f32 v15, v15, v15
	v_max_num_f32_e32 v2, v2, v14
	;; [unrolled: 13-line block ×3, first 2 shown]
	ds_bpermute_b32 v13, v68, v1
	s_wait_dscnt 0x1
	v_dual_max_num_f32 v12, v12, v12 :: v_dual_max_num_f32 v3, v3, v15
	ds_bpermute_b32 v14, v68, v2
	v_max_num_f32_e32 v0, v0, v12
	ds_bpermute_b32 v15, v68, v3
	v_sub_f32_e32 v4, v4, v0
	v_sub_f32_e32 v12, v40, v0
	s_delay_alu instid0(VALU_DEP_2) | instskip(NEXT) | instid1(VALU_DEP_2)
	v_mul_f32_e32 v16, 0x3fb8aa3b, v4
	v_mul_f32_e32 v24, 0x3fb8aa3b, v12
	v_cmp_ngt_f32_e64 s7, 0xc2ce8ed0, v4
	s_wait_dscnt 0x2
	v_max_num_f32_e32 v13, v13, v13
	v_cmp_ngt_f32_e64 s11, 0xc2ce8ed0, v12
	v_fma_f32 v28, 0x3fb8aa3b, v4, -v16
	v_rndne_f32_e32 v124, v16
	s_wait_dscnt 0x1
	v_dual_max_num_f32 v14, v14, v14 :: v_dual_max_num_f32 v1, v1, v13
	v_fma_f32 v68, 0x3fb8aa3b, v12, -v24
	s_wait_dscnt 0x0
	s_delay_alu instid0(VALU_DEP_2) | instskip(NEXT) | instid1(VALU_DEP_3)
	v_dual_max_num_f32 v15, v15, v15 :: v_dual_max_num_f32 v2, v2, v14
	v_dual_sub_f32 v5, v5, v0 :: v_dual_sub_f32 v6, v6, v1
	v_sub_f32_e32 v7, v7, v1
	s_delay_alu instid0(VALU_DEP_3) | instskip(NEXT) | instid1(VALU_DEP_3)
	v_dual_max_num_f32 v3, v3, v15 :: v_dual_sub_f32 v16, v16, v124
	v_dual_mul_f32 v17, 0x3fb8aa3b, v5 :: v_dual_mul_f32 v18, 0x3fb8aa3b, v6
	s_delay_alu instid0(VALU_DEP_2) | instskip(NEXT) | instid1(VALU_DEP_4)
	v_dual_sub_f32 v8, v8, v2 :: v_dual_sub_f32 v15, v43, v3
	v_mul_f32_e32 v19, 0x3fb8aa3b, v7
	s_delay_alu instid0(VALU_DEP_3)
	v_fma_f32 v29, 0x3fb8aa3b, v5, -v17
	v_rndne_f32_e32 v125, v17
	v_fmac_f32_e32 v28, 0x32a5705f, v4
	v_mul_f32_e32 v27, 0x3fb8aa3b, v15
	v_fma_f32 v30, 0x3fb8aa3b, v6, -v18
	v_rndne_f32_e32 v126, v18
	s_delay_alu instid0(VALU_DEP_4)
	v_dual_fmac_f32 v29, 0x32a5705f, v5 :: v_dual_add_f32 v16, v16, v28
	v_sub_f32_e32 v17, v17, v125
	v_dual_sub_f32 v9, v9, v2 :: v_dual_sub_f32 v10, v10, v3
	v_dual_sub_f32 v11, v11, v3 :: v_dual_sub_f32 v13, v41, v1
	v_sub_f32_e32 v14, v42, v2
	v_mul_f32_e32 v20, 0x3fb8aa3b, v8
	v_fma_f32 v31, 0x3fb8aa3b, v7, -v19
	v_rndne_f32_e32 v127, v19
	v_dual_add_f32 v17, v17, v29 :: v_dual_fmac_f32 v30, 0x32a5705f, v6
	s_delay_alu instid0(VALU_DEP_3)
	v_dual_sub_f32 v18, v18, v126 :: v_dual_fmac_f32 v31, 0x32a5705f, v7
	v_dual_mul_f32 v21, 0x3fb8aa3b, v9 :: v_dual_mul_f32 v22, 0x3fb8aa3b, v10
	v_mul_f32_e32 v23, 0x3fb8aa3b, v11
	v_dual_mul_f32 v25, 0x3fb8aa3b, v13 :: v_dual_mul_f32 v26, 0x3fb8aa3b, v14
	v_fma_f32 v40, 0x3fb8aa3b, v8, -v20
	v_rndne_f32_e32 v128, v20
	v_dual_add_f32 v18, v18, v30 :: v_dual_sub_f32 v19, v19, v127
	v_fma_f32 v41, 0x3fb8aa3b, v9, -v21
	v_fma_f32 v42, 0x3fb8aa3b, v10, -v22
	;; [unrolled: 1-line block ×4, first 2 shown]
	v_rndne_f32_e32 v129, v21
	v_rndne_f32_e32 v130, v22
	;; [unrolled: 1-line block ×4, first 2 shown]
	v_dual_add_f32 v19, v19, v31 :: v_dual_fmac_f32 v40, 0x32a5705f, v8
	v_dual_sub_f32 v20, v20, v128 :: v_dual_fmac_f32 v41, 0x32a5705f, v9
	v_fma_f32 v69, 0x3fb8aa3b, v13, -v25
	v_fma_f32 v71, 0x3fb8aa3b, v15, -v27
	v_rndne_f32_e32 v30, v25
	v_rndne_f32_e32 v31, v26
	v_dual_add_f32 v20, v20, v40 :: v_dual_fmac_f32 v43, 0x32a5705f, v11
	v_rndne_f32_e32 v40, v27
	v_dual_fmac_f32 v42, 0x32a5705f, v10 :: v_dual_fmac_f32 v69, 0x32a5705f, v13
	v_dual_fmac_f32 v68, 0x32a5705f, v12 :: v_dual_fmac_f32 v71, 0x32a5705f, v15
	v_dual_fmac_f32 v70, 0x32a5705f, v14 :: v_dual_sub_f32 v21, v21, v129
	v_dual_sub_f32 v22, v22, v130 :: v_dual_sub_f32 v23, v23, v28
	v_dual_sub_f32 v24, v24, v29 :: v_dual_sub_f32 v25, v25, v30
	v_exp_f32_e32 v17, v17
	v_cvt_i32_f32_e32 v125, v125
	v_dual_sub_f32 v26, v26, v31 :: v_dual_sub_f32 v27, v27, v40
	v_dual_add_f32 v21, v21, v41 :: v_dual_add_f32 v22, v22, v42
	v_dual_add_f32 v23, v23, v43 :: v_dual_add_f32 v24, v24, v68
	s_delay_alu instid0(VALU_DEP_3)
	v_dual_add_f32 v25, v25, v69 :: v_dual_add_f32 v26, v26, v70
	v_exp_f32_e32 v16, v16
	v_exp_f32_e32 v18, v18
	;; [unrolled: 1-line block ×8, first 2 shown]
	v_ldexp_f32 v17, v17, v125
	v_cmp_ngt_f32_e64 s12, 0xc2ce8ed0, v5
	v_add_f32_e32 v27, v27, v71
	v_cvt_i32_f32_e32 v124, v124
	v_cvt_i32_f32_e32 v126, v126
	;; [unrolled: 1-line block ×8, first 2 shown]
	v_exp_f32_e32 v25, v25
	v_exp_f32_e32 v26, v26
	v_cndmask_b32_e64 v17, 0, v17, s12
	v_exp_f32_e32 v27, v27
	v_cvt_i32_f32_e32 v30, v30
	v_cvt_i32_f32_e32 v31, v31
	;; [unrolled: 1-line block ×3, first 2 shown]
	v_ldexp_f32 v18, v18, v126
	v_cmp_ngt_f32_e32 vcc_lo, 0xc2ce8ed0, v6
	v_ldexp_f32 v19, v19, v127
	v_cmp_ngt_f32_e64 s2, 0xc2ce8ed0, v7
	v_ldexp_f32 v20, v20, v128
	v_cmp_ngt_f32_e64 s3, 0xc2ce8ed0, v8
	;; [unrolled: 2-line block ×5, first 2 shown]
	v_ldexp_f32 v16, v16, v124
	v_ldexp_f32 v24, v24, v29
	;; [unrolled: 1-line block ×3, first 2 shown]
	v_cmp_ngt_f32_e64 s8, 0xc2ce8ed0, v13
	v_ldexp_f32 v26, v26, v31
	v_cmp_ngt_f32_e64 s9, 0xc2ce8ed0, v14
	v_ldexp_f32 v27, v27, v40
	v_cmp_ngt_f32_e64 s10, 0xc2ce8ed0, v15
	v_cmp_nlt_f32_e64 s12, 0x42b17218, v5
	v_dual_cndmask_b32 v5, 0, v18, vcc_lo :: v_dual_cndmask_b32 v18, 0, v19, s2
	v_cmp_nlt_f32_e32 vcc_lo, 0x42b17218, v6
	v_cmp_nlt_f32_e64 s2, 0x42b17218, v7
	v_cndmask_b32_e64 v6, 0, v20, s3
	v_cmp_nlt_f32_e64 s3, 0x42b17218, v8
	v_cndmask_b32_e64 v8, 0, v21, s4
	v_cmp_nlt_f32_e64 s4, 0x42b17218, v9
	v_dual_cndmask_b32 v7, 0, v22, s5 :: v_dual_cndmask_b32 v9, 0, v23, s6
	v_cmp_nlt_f32_e64 s5, 0x42b17218, v10
	v_cmp_nlt_f32_e64 s6, 0x42b17218, v11
	v_cndmask_b32_e64 v10, 0, v16, s7
	v_cmp_nlt_f32_e64 s7, 0x42b17218, v15
	v_cndmask_b32_e64 v15, 0, v24, s11
	;; [unrolled: 2-line block ×6, first 2 shown]
	v_cndmask_b32_e32 v5, 0x7f800000, v5, vcc_lo
	v_cndmask_b32_e64 v6, 0x7f800000, v6, s3
	v_cndmask_b32_e64 v7, 0x7f800000, v7, s5
	;; [unrolled: 1-line block ×9, first 2 shown]
	v_cvt_pk_f16_f32 v13, v6, v7
	v_cvt_pk_f16_f32 v12, v4, v5
	;; [unrolled: 1-line block ×4, first 2 shown]
	v_cndmask_b32_e64 v41, 0x7f800000, v19, s8
	v_cvt_f16_f32_e32 v16, v43
	v_cvt_f16_f32_e32 v17, v40
	v_pk_add_f32 v[70:71], v[6:7], v[8:9]
	ds_store_2addr_b64 v100, v[12:13], v[14:15] offset1:32
	s_wait_dscnt 0x0
	s_barrier_signal -1
	s_barrier_wait -1
	ds_load_b128 v[28:31], v96
	ds_load_2addr_b64 v[24:27], v80 offset1:32
	v_cvt_f16_f32_e32 v18, v41
	v_cvt_f16_f32_e32 v19, v42
	v_and_b32_e32 v127, 0xffff, v16
	v_and_b32_e32 v124, 0xffff, v17
	v_pk_fma_f32 v[46:47], v[46:47], v[42:43], v[70:71]
	v_and_b32_e32 v125, 0xffff, v18
	v_and_b32_e32 v126, 0xffff, v19
	s_delay_alu instid0(VALU_DEP_4) | instskip(NEXT) | instid1(VALU_DEP_3)
	v_mul_u32_u24_e32 v124, 0x10001, v124
	v_mul_u32_u24_e32 v125, 0x10001, v125
	s_delay_alu instid0(VALU_DEP_3) | instskip(NEXT) | instid1(VALU_DEP_3)
	v_mul_u32_u24_e32 v126, 0x10001, v126
	v_pk_mul_f16 v123, v123, v124
	v_pk_mul_f16 v122, v122, v124
	;; [unrolled: 1-line block ×5, first 2 shown]
	s_wait_dscnt 0x1
	v_lshrrev_b32_e32 v70, 16, v28
	v_pk_add_f32 v[68:69], v[4:5], v[10:11]
	v_and_b32_e32 v71, 0xffff, v29
	ds_load_2addr_b64 v[20:23], v80 offset0:64 offset1:96
	ds_load_b128 v[4:7], v96 offset:16
	ds_load_2addr_b64 v[16:19], v80 offset0:128 offset1:160
	ds_load_2addr_b64 v[12:15], v80 offset0:192 offset1:224
	ds_load_b128 v[8:11], v96 offset:32
	v_pk_mul_f16 v116, v116, v125
	v_mul_u32_u24_e32 v70, 0x10001, v70
	v_pk_fma_f32 v[48:49], v[48:49], v[40:41], v[68:69]
	v_mul_u32_u24_e32 v40, 0x10001, v127
	v_lshrrev_b32_e32 v68, 16, v29
	v_and_b32_e32 v69, 0xffff, v28
	v_mul_u32_u24_e32 v71, 0x10001, v71
	v_pk_mul_f16 v115, v115, v126
	v_pk_mul_f16 v41, v111, v40
	;; [unrolled: 1-line block ×5, first 2 shown]
	v_mul_u32_u24_e32 v68, 0x10001, v68
	v_mul_u32_u24_e32 v69, 0x10001, v69
	v_dual_lshrrev_b32 v108, 16, v30 :: v_dual_lshrrev_b32 v109, 16, v31
	v_and_b32_e32 v111, 0xffff, v31
	v_pk_mul_f16 v114, v114, v126
	v_pk_mul_f16 v112, v112, v126
	s_wait_dscnt 0x5
	v_pk_fma_f16 v127, v24, v68, v41
	v_pk_fma_f16 v132, v25, v68, v42
	;; [unrolled: 1-line block ×7, first 2 shown]
	v_pk_mul_f16 v40, v24, v69
	v_pk_mul_f16 v41, v24, v70
	;; [unrolled: 1-line block ×3, first 2 shown]
	v_and_b32_e32 v110, 0xffff, v30
	v_pk_fma_f16 v119, v25, v70, v119
	v_pk_fma_f16 v118, v26, v70, v118
	;; [unrolled: 1-line block ×7, first 2 shown]
	v_mul_u32_u24_e32 v70, 0x10001, v109
	v_pk_fma_f16 v109, v113, v126, v69
	v_mul_u32_u24_e32 v108, 0x10001, v108
	v_mul_u32_u24_e32 v111, 0x10001, v111
	v_pk_fma_f16 v120, v120, v124, v40
	v_mul_u32_u24_e32 v110, 0x10001, v110
	ds_load_2addr_b64 v[128:131], v101 offset1:32
	s_wait_dscnt 0x5
	v_pk_fma_f16 v119, v21, v108, v119
	v_pk_fma_f16 v118, v22, v108, v118
	;; [unrolled: 1-line block ×8, first 2 shown]
	s_wait_dscnt 0x4
	v_lshrrev_b32_e32 v111, 16, v5
	v_and_b32_e32 v117, 0xffff, v4
	v_lshrrev_b32_e32 v4, 16, v4
	v_pk_fma_f16 v123, v21, v110, v123
	v_pk_fma_f16 v122, v22, v110, v122
	;; [unrolled: 1-line block ×4, first 2 shown]
	v_mul_u32_u24_e32 v117, 0x10001, v117
	v_mul_u32_u24_e32 v4, 0x10001, v4
	v_pk_fma_f16 v124, v21, v70, v132
	v_pk_fma_f16 v125, v22, v70, v133
	v_mul_u32_u24_e32 v111, 0x10001, v111
	s_wait_dscnt 0x3
	v_pk_fma_f16 v123, v17, v117, v123
	v_pk_fma_f16 v122, v18, v117, v122
	;; [unrolled: 1-line block ×8, first 2 shown]
	v_dual_lshrrev_b32 v4, 16, v7 :: v_dual_lshrrev_b32 v117, 16, v6
	v_pk_fma_f16 v113, v20, v70, v127
	v_pk_fma_f16 v126, v23, v70, v68
	;; [unrolled: 1-line block ×4, first 2 shown]
	v_and_b32_e32 v5, 0xffff, v5
	v_and_b32_e32 v125, 0xffff, v6
	v_mul_u32_u24_e32 v117, 0x10001, v117
	v_pk_fma_f16 v113, v16, v111, v113
	v_pk_fma_f16 v111, v19, v111, v126
	v_mul_u32_u24_e32 v5, 0x10001, v5
	v_and_b32_e32 v126, 0xffff, v7
	v_mul_u32_u24_e32 v4, 0x10001, v4
	v_mul_u32_u24_e32 v125, 0x10001, v125
	s_wait_dscnt 0x2
	v_pk_fma_f16 v119, v13, v117, v119
	v_pk_fma_f16 v118, v14, v117, v118
	;; [unrolled: 1-line block ×4, first 2 shown]
	s_wait_dscnt 0x1
	v_lshrrev_b32_e32 v117, 16, v9
	ds_load_2addr_b64 v[28:31], v101 offset0:64 offset1:96
	ds_load_b128 v[24:27], v96 offset:48
	ds_load_b128 v[20:23], v96 offset:64
	v_pk_fma_f16 v109, v16, v5, v109
	v_pk_fma_f16 v113, v12, v4, v113
	;; [unrolled: 1-line block ×5, first 2 shown]
	v_mul_u32_u24_e32 v126, 0x10001, v126
	v_pk_fma_f16 v123, v13, v125, v123
	v_pk_fma_f16 v122, v14, v125, v122
	;; [unrolled: 1-line block ×4, first 2 shown]
	v_and_b32_e32 v125, 0xffff, v8
	v_lshrrev_b32_e32 v8, 16, v8
	v_mul_u32_u24_e32 v117, 0x10001, v117
	v_and_b32_e32 v9, 0xffff, v9
	v_pk_fma_f16 v115, v17, v5, v115
	v_pk_fma_f16 v114, v18, v5, v114
	;; [unrolled: 1-line block ×4, first 2 shown]
	s_wait_dscnt 0x3
	v_pk_fma_f16 v113, v128, v117, v113
	v_pk_fma_f16 v120, v129, v117, v120
	;; [unrolled: 1-line block ×4, first 2 shown]
	v_mul_u32_u24_e32 v111, 0x10001, v125
	v_mul_u32_u24_e32 v8, 0x10001, v8
	;; [unrolled: 1-line block ×3, first 2 shown]
	ds_load_2addr_b64 v[40:43], v101 offset0:128 offset1:160
	v_pk_fma_f16 v115, v13, v126, v115
	v_pk_fma_f16 v114, v14, v126, v114
	;; [unrolled: 1-line block ×9, first 2 shown]
	v_dual_lshrrev_b32 v8, 16, v11 :: v_dual_lshrrev_b32 v128, 16, v10
	v_pk_fma_f16 v123, v129, v111, v123
	v_pk_fma_f16 v115, v129, v9, v115
	v_and_b32_e32 v129, 0xffff, v10
	v_pk_fma_f16 v122, v130, v111, v122
	v_mul_u32_u24_e32 v128, 0x10001, v128
	v_pk_fma_f16 v121, v131, v111, v121
	v_mul_u32_u24_e32 v8, 0x10001, v8
	v_mul_u32_u24_e32 v129, 0x10001, v129
	ds_load_2addr_b64 v[68:71], v101 offset0:192 offset1:224
	s_wait_dscnt 0x4
	v_pk_fma_f16 v119, v29, v128, v119
	v_pk_fma_f16 v118, v30, v128, v118
	;; [unrolled: 1-line block ×4, first 2 shown]
	s_wait_dscnt 0x3
	v_lshrrev_b32_e32 v128, 16, v25
	v_pk_fma_f16 v113, v28, v8, v113
	v_pk_fma_f16 v120, v29, v8, v120
	;; [unrolled: 1-line block ×8, first 2 shown]
	v_and_b32_e32 v129, 0xffff, v24
	v_lshrrev_b32_e32 v24, 16, v24
	v_mul_u32_u24_e32 v128, 0x10001, v128
	ds_load_2addr_b64 v[16:19], v102 offset1:32
	ds_load_2addr_b64 v[4:7], v102 offset0:64 offset1:96
	ds_load_b128 v[12:15], v96 offset:80
	v_mul_u32_u24_e32 v24, 0x10001, v24
	s_wait_dscnt 0x4
	v_pk_fma_f16 v113, v40, v128, v113
	v_pk_fma_f16 v120, v41, v128, v120
	;; [unrolled: 1-line block ×4, first 2 shown]
	v_mul_u32_u24_e32 v128, 0x10001, v129
	v_pk_fma_f16 v119, v41, v24, v119
	v_pk_fma_f16 v118, v42, v24, v118
	;; [unrolled: 1-line block ×8, first 2 shown]
	v_dual_lshrrev_b32 v24, 16, v27 :: v_dual_lshrrev_b32 v128, 16, v26
	v_and_b32_e32 v129, 0xffff, v26
	v_pk_fma_f16 v114, v130, v9, v114
	ds_load_2addr_b64 v[108:111], v102 offset0:128 offset1:160
	v_mul_u32_u24_e32 v24, 0x10001, v24
	v_mul_u32_u24_e32 v128, 0x10001, v128
	;; [unrolled: 1-line block ×3, first 2 shown]
	v_and_b32_e32 v130, 0xffff, v11
	v_pk_fma_f16 v112, v131, v9, v112
	s_wait_dscnt 0x4
	v_pk_fma_f16 v113, v68, v24, v113
	v_pk_fma_f16 v119, v69, v128, v119
	;; [unrolled: 1-line block ×5, first 2 shown]
	v_lshrrev_b32_e32 v128, 16, v21
	v_pk_fma_f16 v120, v69, v24, v120
	v_pk_fma_f16 v124, v70, v24, v124
	;; [unrolled: 1-line block ×7, first 2 shown]
	v_and_b32_e32 v129, 0xffff, v20
	v_lshrrev_b32_e32 v20, 16, v20
	v_mul_u32_u24_e32 v128, 0x10001, v128
	v_mul_u32_u24_e32 v130, 0x10001, v130
	ds_load_2addr_b64 v[8:11], v102 offset0:192 offset1:224
	v_and_b32_e32 v25, 0xffff, v25
	v_mul_u32_u24_e32 v20, 0x10001, v20
	s_wait_dscnt 0x4
	v_pk_fma_f16 v113, v16, v128, v113
	v_pk_fma_f16 v120, v17, v128, v120
	;; [unrolled: 1-line block ×4, first 2 shown]
	v_mul_u32_u24_e32 v128, 0x10001, v129
	v_pk_fma_f16 v119, v17, v20, v119
	v_pk_fma_f16 v118, v18, v20, v118
	;; [unrolled: 1-line block ×8, first 2 shown]
	v_dual_lshrrev_b32 v20, 16, v23 :: v_dual_lshrrev_b32 v128, 16, v22
	v_and_b32_e32 v129, 0xffff, v22
	v_pk_fma_f16 v115, v29, v130, v115
	v_pk_fma_f16 v114, v30, v130, v114
	;; [unrolled: 1-line block ×3, first 2 shown]
	v_mul_u32_u24_e32 v128, 0x10001, v128
	v_pk_fma_f16 v127, v28, v130, v127
	ds_load_b128 v[28:31], v96 offset:96
	v_mul_u32_u24_e32 v20, 0x10001, v20
	v_mul_u32_u24_e32 v129, 0x10001, v129
	s_wait_dscnt 0x4
	v_pk_fma_f16 v119, v5, v128, v119
	v_pk_fma_f16 v118, v6, v128, v118
	;; [unrolled: 1-line block ×4, first 2 shown]
	s_wait_dscnt 0x3
	v_lshrrev_b32_e32 v128, 16, v13
	v_pk_fma_f16 v113, v4, v20, v113
	v_pk_fma_f16 v120, v5, v20, v120
	;; [unrolled: 1-line block ×8, first 2 shown]
	v_and_b32_e32 v129, 0xffff, v12
	v_lshrrev_b32_e32 v12, 16, v12
	v_mul_u32_u24_e32 v128, 0x10001, v128
	v_mul_u32_u24_e32 v25, 0x10001, v25
	v_and_b32_e32 v130, 0xffff, v27
	v_and_b32_e32 v21, 0xffff, v21
	v_mul_u32_u24_e32 v12, 0x10001, v12
	s_wait_dscnt 0x2
	v_pk_fma_f16 v113, v108, v128, v113
	v_pk_fma_f16 v120, v109, v128, v120
	;; [unrolled: 1-line block ×4, first 2 shown]
	v_mul_u32_u24_e32 v128, 0x10001, v129
	v_pk_fma_f16 v115, v41, v25, v115
	v_pk_fma_f16 v114, v42, v25, v114
	;; [unrolled: 1-line block ×4, first 2 shown]
	ds_load_2addr_b64 v[40:43], v103 offset1:32
	v_pk_fma_f16 v123, v109, v128, v123
	v_pk_fma_f16 v122, v110, v128, v122
	;; [unrolled: 1-line block ×8, first 2 shown]
	v_dual_lshrrev_b32 v12, 16, v15 :: v_dual_lshrrev_b32 v128, 16, v14
	v_and_b32_e32 v129, 0xffff, v14
	v_mul_u32_u24_e32 v130, 0x10001, v130
	ds_load_2addr_b64 v[24:27], v103 offset0:64 offset1:96
	v_mul_u32_u24_e32 v12, 0x10001, v12
	v_mul_u32_u24_e32 v128, 0x10001, v128
	v_mul_u32_u24_e32 v129, 0x10001, v129
	v_pk_fma_f16 v115, v69, v130, v115
	v_pk_fma_f16 v114, v70, v130, v114
	;; [unrolled: 1-line block ×3, first 2 shown]
	s_wait_dscnt 0x3
	v_pk_fma_f16 v119, v9, v128, v119
	v_pk_fma_f16 v118, v10, v128, v118
	;; [unrolled: 1-line block ×4, first 2 shown]
	s_wait_dscnt 0x2
	v_lshrrev_b32_e32 v128, 16, v29
	v_pk_fma_f16 v127, v68, v130, v127
	ds_load_b128 v[68:71], v96 offset:112
	v_pk_fma_f16 v113, v8, v12, v113
	v_pk_fma_f16 v120, v9, v12, v120
	;; [unrolled: 1-line block ×8, first 2 shown]
	v_and_b32_e32 v129, 0xffff, v28
	v_lshrrev_b32_e32 v28, 16, v28
	v_mul_u32_u24_e32 v128, 0x10001, v128
	v_mul_u32_u24_e32 v21, 0x10001, v21
	v_and_b32_e32 v130, 0xffff, v23
	v_and_b32_e32 v13, 0xffff, v13
	v_mul_u32_u24_e32 v28, 0x10001, v28
	s_wait_dscnt 0x2
	v_pk_fma_f16 v113, v40, v128, v113
	v_pk_fma_f16 v120, v41, v128, v120
	v_pk_fma_f16 v124, v42, v128, v124
	v_pk_fma_f16 v117, v43, v128, v117
	v_mul_u32_u24_e32 v128, 0x10001, v129
	v_pk_fma_f16 v115, v17, v21, v115
	v_pk_fma_f16 v114, v18, v21, v114
	;; [unrolled: 1-line block ×4, first 2 shown]
	ds_load_2addr_b64 v[16:19], v103 offset0:128 offset1:160
	v_pk_fma_f16 v123, v41, v128, v123
	v_pk_fma_f16 v122, v42, v128, v122
	;; [unrolled: 1-line block ×8, first 2 shown]
	v_dual_lshrrev_b32 v28, 16, v31 :: v_dual_lshrrev_b32 v128, 16, v30
	v_mul_u32_u24_e32 v130, 0x10001, v130
	v_and_b32_e32 v129, 0xffff, v30
	ds_load_2addr_b64 v[20:23], v103 offset0:192 offset1:224
	v_mul_u32_u24_e32 v28, 0x10001, v28
	v_mul_u32_u24_e32 v128, 0x10001, v128
	v_pk_fma_f16 v115, v5, v130, v115
	v_pk_fma_f16 v114, v6, v130, v114
	;; [unrolled: 1-line block ×4, first 2 shown]
	ds_load_b128 v[4:7], v96 offset:128
	v_mul_u32_u24_e32 v129, 0x10001, v129
	s_wait_dscnt 0x4
	v_pk_fma_f16 v119, v25, v128, v119
	v_pk_fma_f16 v118, v26, v128, v118
	;; [unrolled: 1-line block ×4, first 2 shown]
	s_wait_dscnt 0x3
	v_lshrrev_b32_e32 v128, 16, v69
	v_pk_fma_f16 v113, v24, v28, v113
	v_pk_fma_f16 v120, v25, v28, v120
	;; [unrolled: 1-line block ×8, first 2 shown]
	v_and_b32_e32 v129, 0xffff, v68
	v_lshrrev_b32_e32 v68, 16, v68
	v_mul_u32_u24_e32 v128, 0x10001, v128
	v_mul_u32_u24_e32 v13, 0x10001, v13
	v_and_b32_e32 v130, 0xffff, v15
	v_and_b32_e32 v29, 0xffff, v29
	v_mul_u32_u24_e32 v68, 0x10001, v68
	s_wait_dscnt 0x2
	v_pk_fma_f16 v113, v16, v128, v113
	v_pk_fma_f16 v120, v17, v128, v120
	;; [unrolled: 1-line block ×4, first 2 shown]
	v_mul_u32_u24_e32 v128, 0x10001, v129
	v_pk_fma_f16 v115, v109, v13, v115
	v_pk_fma_f16 v114, v110, v13, v114
	;; [unrolled: 1-line block ×4, first 2 shown]
	ds_load_2addr_b64 v[108:111], v104 offset1:32
	v_pk_fma_f16 v123, v17, v128, v123
	v_pk_fma_f16 v122, v18, v128, v122
	;; [unrolled: 1-line block ×8, first 2 shown]
	v_dual_lshrrev_b32 v68, 16, v71 :: v_dual_lshrrev_b32 v128, 16, v70
	v_and_b32_e32 v129, 0xffff, v70
	v_mul_u32_u24_e32 v130, 0x10001, v130
	ds_load_2addr_b64 v[12:15], v104 offset0:64 offset1:96
	v_mul_u32_u24_e32 v68, 0x10001, v68
	v_mul_u32_u24_e32 v128, 0x10001, v128
	;; [unrolled: 1-line block ×3, first 2 shown]
	v_pk_fma_f16 v115, v9, v130, v115
	v_pk_fma_f16 v114, v10, v130, v114
	;; [unrolled: 1-line block ×3, first 2 shown]
	s_wait_dscnt 0x3
	v_pk_fma_f16 v119, v21, v128, v119
	v_pk_fma_f16 v118, v22, v128, v118
	;; [unrolled: 1-line block ×4, first 2 shown]
	s_wait_dscnt 0x2
	v_lshrrev_b32_e32 v128, 16, v5
	v_pk_fma_f16 v127, v8, v130, v127
	ds_load_b128 v[8:11], v96 offset:144
	v_pk_fma_f16 v113, v20, v68, v113
	v_pk_fma_f16 v120, v21, v68, v120
	;; [unrolled: 1-line block ×8, first 2 shown]
	v_and_b32_e32 v129, 0xffff, v4
	v_lshrrev_b32_e32 v4, 16, v4
	v_mul_u32_u24_e32 v128, 0x10001, v128
	v_mul_u32_u24_e32 v29, 0x10001, v29
	v_and_b32_e32 v130, 0xffff, v31
	v_and_b32_e32 v69, 0xffff, v69
	v_mul_u32_u24_e32 v4, 0x10001, v4
	s_wait_dscnt 0x2
	v_pk_fma_f16 v113, v108, v128, v113
	v_pk_fma_f16 v120, v109, v128, v120
	;; [unrolled: 1-line block ×4, first 2 shown]
	v_mul_u32_u24_e32 v128, 0x10001, v129
	v_pk_fma_f16 v115, v41, v29, v115
	v_pk_fma_f16 v114, v42, v29, v114
	;; [unrolled: 1-line block ×4, first 2 shown]
	ds_load_2addr_b64 v[40:43], v104 offset0:128 offset1:160
	v_pk_fma_f16 v123, v109, v128, v123
	v_pk_fma_f16 v122, v110, v128, v122
	v_pk_fma_f16 v121, v111, v128, v121
	v_pk_fma_f16 v119, v109, v4, v119
	v_pk_fma_f16 v118, v110, v4, v118
	v_pk_fma_f16 v116, v111, v4, v116
	v_pk_fma_f16 v125, v108, v128, v125
	v_pk_fma_f16 v126, v108, v4, v126
	v_dual_lshrrev_b32 v4, 16, v7 :: v_dual_lshrrev_b32 v128, 16, v6
	v_mul_u32_u24_e32 v130, 0x10001, v130
	v_and_b32_e32 v129, 0xffff, v6
	ds_load_2addr_b64 v[28:31], v104 offset0:192 offset1:224
	v_mul_u32_u24_e32 v4, 0x10001, v4
	v_mul_u32_u24_e32 v128, 0x10001, v128
	v_pk_fma_f16 v115, v25, v130, v115
	v_pk_fma_f16 v114, v26, v130, v114
	;; [unrolled: 1-line block ×4, first 2 shown]
	ds_load_b128 v[24:27], v96 offset:160
	v_mul_u32_u24_e32 v129, 0x10001, v129
	s_wait_dscnt 0x4
	v_pk_fma_f16 v119, v13, v128, v119
	v_pk_fma_f16 v118, v14, v128, v118
	;; [unrolled: 1-line block ×4, first 2 shown]
	s_wait_dscnt 0x3
	v_lshrrev_b32_e32 v128, 16, v9
	v_pk_fma_f16 v113, v12, v4, v113
	v_pk_fma_f16 v120, v13, v4, v120
	;; [unrolled: 1-line block ×8, first 2 shown]
	v_and_b32_e32 v129, 0xffff, v8
	v_lshrrev_b32_e32 v8, 16, v8
	v_mul_u32_u24_e32 v128, 0x10001, v128
	v_mul_u32_u24_e32 v69, 0x10001, v69
	v_and_b32_e32 v130, 0xffff, v71
	v_and_b32_e32 v5, 0xffff, v5
	v_mul_u32_u24_e32 v8, 0x10001, v8
	s_wait_dscnt 0x2
	v_pk_fma_f16 v113, v40, v128, v113
	v_pk_fma_f16 v120, v41, v128, v120
	;; [unrolled: 1-line block ×4, first 2 shown]
	v_mul_u32_u24_e32 v128, 0x10001, v129
	v_pk_fma_f16 v115, v17, v69, v115
	v_pk_fma_f16 v114, v18, v69, v114
	;; [unrolled: 1-line block ×4, first 2 shown]
	ds_load_2addr_b64 v[16:19], v105 offset1:32
	v_pk_fma_f16 v123, v41, v128, v123
	v_pk_fma_f16 v122, v42, v128, v122
	;; [unrolled: 1-line block ×8, first 2 shown]
	v_dual_lshrrev_b32 v8, 16, v11 :: v_dual_lshrrev_b32 v128, 16, v10
	v_and_b32_e32 v129, 0xffff, v10
	v_mul_u32_u24_e32 v130, 0x10001, v130
	ds_load_2addr_b64 v[68:71], v105 offset0:64 offset1:96
	v_mul_u32_u24_e32 v8, 0x10001, v8
	v_mul_u32_u24_e32 v128, 0x10001, v128
	;; [unrolled: 1-line block ×3, first 2 shown]
	v_pk_fma_f16 v115, v21, v130, v115
	v_pk_fma_f16 v114, v22, v130, v114
	;; [unrolled: 1-line block ×3, first 2 shown]
	s_wait_dscnt 0x3
	v_pk_fma_f16 v119, v29, v128, v119
	v_pk_fma_f16 v118, v30, v128, v118
	;; [unrolled: 1-line block ×4, first 2 shown]
	s_wait_dscnt 0x2
	v_lshrrev_b32_e32 v128, 16, v25
	v_pk_fma_f16 v127, v20, v130, v127
	ds_load_b128 v[20:23], v96 offset:176
	v_pk_fma_f16 v113, v28, v8, v113
	v_pk_fma_f16 v120, v29, v8, v120
	;; [unrolled: 1-line block ×8, first 2 shown]
	v_and_b32_e32 v129, 0xffff, v24
	v_lshrrev_b32_e32 v24, 16, v24
	v_mul_u32_u24_e32 v128, 0x10001, v128
	v_mul_u32_u24_e32 v5, 0x10001, v5
	v_and_b32_e32 v130, 0xffff, v7
	v_and_b32_e32 v9, 0xffff, v9
	v_mul_u32_u24_e32 v24, 0x10001, v24
	s_wait_dscnt 0x2
	v_pk_fma_f16 v113, v16, v128, v113
	v_pk_fma_f16 v120, v17, v128, v120
	;; [unrolled: 1-line block ×4, first 2 shown]
	v_mul_u32_u24_e32 v128, 0x10001, v129
	v_pk_fma_f16 v115, v109, v5, v115
	v_pk_fma_f16 v114, v110, v5, v114
	;; [unrolled: 1-line block ×4, first 2 shown]
	ds_load_2addr_b64 v[108:111], v105 offset0:128 offset1:160
	v_pk_fma_f16 v123, v17, v128, v123
	v_pk_fma_f16 v122, v18, v128, v122
	;; [unrolled: 1-line block ×8, first 2 shown]
	v_dual_lshrrev_b32 v24, 16, v27 :: v_dual_lshrrev_b32 v128, 16, v26
	v_mul_u32_u24_e32 v130, 0x10001, v130
	v_and_b32_e32 v129, 0xffff, v26
	ds_load_2addr_b64 v[4:7], v105 offset0:192 offset1:224
	v_mul_u32_u24_e32 v24, 0x10001, v24
	v_mul_u32_u24_e32 v128, 0x10001, v128
	v_pk_fma_f16 v115, v13, v130, v115
	v_pk_fma_f16 v114, v14, v130, v114
	;; [unrolled: 1-line block ×4, first 2 shown]
	ds_load_b128 v[12:15], v96 offset:192
	v_mul_u32_u24_e32 v129, 0x10001, v129
	s_wait_dscnt 0x4
	v_pk_fma_f16 v119, v69, v128, v119
	v_pk_fma_f16 v118, v70, v128, v118
	;; [unrolled: 1-line block ×4, first 2 shown]
	s_wait_dscnt 0x3
	v_lshrrev_b32_e32 v128, 16, v21
	v_pk_fma_f16 v113, v68, v24, v113
	v_pk_fma_f16 v120, v69, v24, v120
	;; [unrolled: 1-line block ×8, first 2 shown]
	v_and_b32_e32 v129, 0xffff, v20
	v_lshrrev_b32_e32 v20, 16, v20
	v_mul_u32_u24_e32 v128, 0x10001, v128
	v_mul_u32_u24_e32 v9, 0x10001, v9
	v_and_b32_e32 v130, 0xffff, v11
	v_and_b32_e32 v25, 0xffff, v25
	v_mul_u32_u24_e32 v20, 0x10001, v20
	s_wait_dscnt 0x2
	v_pk_fma_f16 v113, v108, v128, v113
	v_pk_fma_f16 v120, v109, v128, v120
	;; [unrolled: 1-line block ×4, first 2 shown]
	v_mul_u32_u24_e32 v128, 0x10001, v129
	v_pk_fma_f16 v115, v41, v9, v115
	v_pk_fma_f16 v114, v42, v9, v114
	;; [unrolled: 1-line block ×4, first 2 shown]
	ds_load_2addr_b64 v[40:43], v106 offset1:32
	v_mul_u32_u24_e32 v130, 0x10001, v130
	v_pk_fma_f16 v123, v109, v128, v123
	v_pk_fma_f16 v122, v110, v128, v122
	;; [unrolled: 1-line block ×8, first 2 shown]
	v_dual_lshrrev_b32 v20, 16, v23 :: v_dual_lshrrev_b32 v128, 16, v22
	v_pk_fma_f16 v115, v29, v130, v115
	v_pk_fma_f16 v114, v30, v130, v114
	;; [unrolled: 1-line block ×4, first 2 shown]
	v_mul_u32_u24_e32 v25, 0x10001, v25
	v_and_b32_e32 v130, 0xffff, v27
	v_and_b32_e32 v129, 0xffff, v22
	v_mul_u32_u24_e32 v128, 0x10001, v128
	ds_load_2addr_b64 v[8:11], v106 offset0:64 offset1:96
	ds_load_b128 v[28:31], v96 offset:208
	v_pk_fma_f16 v115, v17, v25, v115
	v_pk_fma_f16 v114, v18, v25, v114
	;; [unrolled: 1-line block ×4, first 2 shown]
	v_mul_u32_u24_e32 v130, 0x10001, v130
	v_and_b32_e32 v21, 0xffff, v21
	v_mul_u32_u24_e32 v20, 0x10001, v20
	v_mul_u32_u24_e32 v129, 0x10001, v129
	s_wait_dscnt 0x4
	v_pk_fma_f16 v119, v5, v128, v119
	v_pk_fma_f16 v118, v6, v128, v118
	;; [unrolled: 1-line block ×4, first 2 shown]
	s_wait_dscnt 0x3
	v_lshrrev_b32_e32 v128, 16, v13
	v_pk_fma_f16 v115, v69, v130, v115
	v_pk_fma_f16 v114, v70, v130, v114
	;; [unrolled: 1-line block ×4, first 2 shown]
	v_mul_u32_u24_e32 v21, 0x10001, v21
	v_and_b32_e32 v130, 0xffff, v23
	v_pk_fma_f16 v113, v4, v20, v113
	v_pk_fma_f16 v120, v5, v20, v120
	;; [unrolled: 1-line block ×8, first 2 shown]
	v_and_b32_e32 v129, 0xffff, v12
	v_lshrrev_b32_e32 v12, 16, v12
	v_mul_u32_u24_e32 v128, 0x10001, v128
	ds_load_2addr_b64 v[16:19], v106 offset0:128 offset1:160
	v_pk_fma_f16 v115, v109, v21, v115
	v_pk_fma_f16 v114, v110, v21, v114
	;; [unrolled: 1-line block ×4, first 2 shown]
	v_mul_u32_u24_e32 v130, 0x10001, v130
	s_wait_dscnt 0x3
	v_pk_fma_f16 v113, v40, v128, v113
	v_pk_fma_f16 v120, v41, v128, v120
	;; [unrolled: 1-line block ×4, first 2 shown]
	v_and_b32_e32 v13, 0xffff, v13
	v_mul_u32_u24_e32 v128, 0x10001, v129
	v_mul_u32_u24_e32 v12, 0x10001, v12
	v_and_b32_e32 v129, 0xffff, v14
	v_pk_fma_f16 v115, v5, v130, v115
	v_pk_fma_f16 v114, v6, v130, v114
	;; [unrolled: 1-line block ×4, first 2 shown]
	v_mul_u32_u24_e32 v13, 0x10001, v13
	v_pk_fma_f16 v123, v41, v128, v123
	v_pk_fma_f16 v122, v42, v128, v122
	;; [unrolled: 1-line block ×8, first 2 shown]
	v_dual_lshrrev_b32 v12, 16, v15 :: v_dual_lshrrev_b32 v128, 16, v14
	v_and_b32_e32 v130, 0xffff, v15
	v_mul_u32_u24_e32 v129, 0x10001, v129
	ds_load_b128 v[68:71], v96 offset:224
	v_pk_fma_f16 v115, v41, v13, v115
	v_pk_fma_f16 v114, v42, v13, v114
	;; [unrolled: 1-line block ×4, first 2 shown]
	v_mul_u32_u24_e32 v12, 0x10001, v12
	s_wait_dscnt 0x3
	v_pk_fma_f16 v123, v9, v129, v123
	v_pk_fma_f16 v122, v10, v129, v122
	;; [unrolled: 1-line block ×4, first 2 shown]
	s_wait_dscnt 0x2
	v_lshrrev_b32_e32 v129, 16, v29
	v_mul_u32_u24_e32 v128, 0x10001, v128
	v_mul_u32_u24_e32 v130, 0x10001, v130
	ds_load_2addr_b64 v[24:27], v106 offset0:192 offset1:224
	v_pk_fma_f16 v113, v8, v12, v113
	v_pk_fma_f16 v120, v9, v12, v120
	;; [unrolled: 1-line block ×8, first 2 shown]
	v_and_b32_e32 v128, 0xffff, v28
	v_pk_fma_f16 v115, v9, v130, v115
	v_pk_fma_f16 v114, v10, v130, v114
	;; [unrolled: 1-line block ×4, first 2 shown]
	v_lshrrev_b32_e32 v130, 16, v28
	v_mul_u32_u24_e32 v28, 0x10001, v129
	ds_load_2addr_b64 v[108:111], v107 offset1:32
	ds_load_2addr_b64 v[20:23], v107 offset0:64 offset1:96
	ds_load_b128 v[4:7], v96 offset:240
	ds_load_2addr_b64 v[40:43], v107 offset0:128 offset1:160
	ds_load_2addr_b64 v[12:15], v107 offset0:192 offset1:224
	s_wait_dscnt 0x0
	s_barrier_signal -1
	s_barrier_wait -1
	v_and_b32_e32 v131, 0xffff, v29
	v_dual_lshrrev_b32 v132, 16, v31 :: v_dual_lshrrev_b32 v133, 16, v30
	v_and_b32_e32 v134, 0xffff, v30
	v_and_b32_e32 v135, 0xffff, v31
	global_load_b128 v[8:11], v[38:39], off
	s_wait_xcnt 0x0
	v_pk_fma_f16 v38, v16, v28, v113
	v_pk_fma_f16 v39, v17, v28, v120
	;; [unrolled: 1-line block ×4, first 2 shown]
	global_load_b128 v[28:31], v[36:37], off
	s_wait_xcnt 0x0
	v_mul_u32_u24_e32 v36, 0x10001, v128
	v_and_b32_e32 v124, 0xffff, v68
	v_lshrrev_b32_e32 v68, 16, v68
	v_mul_u32_u24_e32 v128, 0x10001, v134
	v_mul_u32_u24_e32 v129, 0x10001, v133
	v_pk_fma_f16 v37, v17, v36, v123
	v_pk_fma_f16 v120, v18, v36, v122
	;; [unrolled: 1-line block ×4, first 2 shown]
	v_mul_u32_u24_e32 v123, 0x10001, v130
	v_mul_u32_u24_e32 v125, 0x10001, v131
	v_lshrrev_b32_e32 v122, 16, v69
	v_and_b32_e32 v69, 0xffff, v69
	v_mul_u32_u24_e32 v130, 0x10001, v135
	v_pk_fma_f16 v119, v17, v123, v119
	v_pk_fma_f16 v118, v18, v123, v118
	;; [unrolled: 1-line block ×8, first 2 shown]
	global_load_b128 v[16:19], v[34:35], off
	s_wait_xcnt 0x0
	v_mul_u32_u24_e32 v34, 0x10001, v132
	v_dual_lshrrev_b32 v126, 16, v71 :: v_dual_lshrrev_b32 v127, 16, v70
	v_and_b32_e32 v70, 0xffff, v70
	v_and_b32_e32 v71, 0xffff, v71
	s_delay_alu instid0(VALU_DEP_4)
	v_pk_fma_f16 v38, v24, v34, v38
	v_pk_fma_f16 v39, v25, v34, v39
	;; [unrolled: 1-line block ×4, first 2 shown]
	global_load_b128 v[32:35], v[32:33], off
	v_pk_fma_f16 v37, v25, v128, v37
	v_pk_fma_f16 v120, v26, v128, v120
	;; [unrolled: 1-line block ×12, first 2 shown]
	v_mul_u32_u24_e32 v115, 0x10001, v122
	v_mul_u32_u24_e32 v122, 0x10001, v124
	v_mul_u32_u24_e32 v68, 0x10001, v68
	v_mul_u32_u24_e32 v69, 0x10001, v69
	v_lshrrev_b32_e32 v128, 16, v5
	v_and_b32_e32 v129, 0xffff, v4
	v_lshrrev_b32_e32 v4, 16, v4
	v_and_b32_e32 v5, 0xffff, v5
	v_mul_u32_u24_e32 v124, 0x10001, v126
	v_mul_u32_u24_e32 v70, 0x10001, v70
	;; [unrolled: 1-line block ×4, first 2 shown]
	v_pk_fma_f16 v38, v108, v115, v38
	v_pk_fma_f16 v39, v109, v115, v39
	;; [unrolled: 1-line block ×16, first 2 shown]
	v_lshrrev_b32_e32 v112, 16, v7
	v_and_b32_e32 v114, 0xffff, v6
	v_lshrrev_b32_e32 v6, 16, v6
	v_and_b32_e32 v7, 0xffff, v7
	v_mul_u32_u24_e32 v126, 0x10001, v128
	v_mul_u32_u24_e32 v127, 0x10001, v129
	;; [unrolled: 1-line block ×4, first 2 shown]
	v_pk_fma_f16 v38, v20, v124, v38
	v_pk_fma_f16 v39, v21, v124, v39
	;; [unrolled: 1-line block ×16, first 2 shown]
	v_mul_u32_u24_e32 v112, 0x10001, v112
	v_mul_u32_u24_e32 v114, 0x10001, v114
	;; [unrolled: 1-line block ×4, first 2 shown]
	v_pk_fma_f16 v24, v40, v126, v38
	v_pk_fma_f16 v27, v41, v126, v39
	;; [unrolled: 1-line block ×32, first 2 shown]
	s_wait_loadcnt 0x3
	ds_store_b128 v94, v[8:11]
	s_wait_loadcnt 0x2
	ds_store_b128 v97, v[28:31]
	;; [unrolled: 2-line block ×4, first 2 shown]
	s_wait_dscnt 0x0
	s_barrier_signal -1
	s_barrier_wait -1
	ds_load_b128 v[4:7], v96 offset:256
	ds_load_2addr_b64 v[8:11], v80 offset1:32
	ds_load_b128 v[20:23], v96 offset:272
	ds_load_2addr_b64 v[28:31], v80 offset0:64 offset1:96
	ds_load_2addr_b64 v[36:39], v80 offset0:128 offset1:160
	;; [unrolled: 1-line block ×3, first 2 shown]
	ds_load_b128 v[68:71], v96 offset:288
	ds_load_b128 v[12:15], v96 offset:304
	ds_load_2addr_b64 v[108:111], v101 offset1:32
	ds_load_2addr_b64 v[112:115], v101 offset0:64 offset1:96
	ds_load_2addr_b64 v[32:35], v101 offset0:128 offset1:160
	;; [unrolled: 1-line block ×3, first 2 shown]
	s_wait_dscnt 0xb
	v_and_b32_e32 v16, 0xffff, v4
	v_lshrrev_b32_e32 v4, 16, v4
	v_and_b32_e32 v17, 0xffff, v5
	v_lshrrev_b32_e32 v5, 16, v5
	s_delay_alu instid0(VALU_DEP_4) | instskip(NEXT) | instid1(VALU_DEP_4)
	v_mul_u32_u24_e32 v16, 0x10001, v16
	v_mul_u32_u24_e32 v4, 0x10001, v4
	s_delay_alu instid0(VALU_DEP_3) | instskip(SKIP_1) | instid1(VALU_DEP_3)
	v_mul_u32_u24_e32 v5, 0x10001, v5
	s_wait_dscnt 0xa
	v_pk_fma_f16 v129, v8, v16, v129
	v_pk_fma_f16 v120, v9, v16, v120
	;; [unrolled: 1-line block ×4, first 2 shown]
	v_mul_u32_u24_e32 v16, 0x10001, v17
	v_pk_fma_f16 v130, v8, v4, v130
	v_pk_fma_f16 v123, v9, v4, v123
	;; [unrolled: 1-line block ×10, first 2 shown]
	v_and_b32_e32 v4, 0xffff, v6
	v_dual_lshrrev_b32 v116, 16, v6 :: v_dual_lshrrev_b32 v117, 16, v7
	v_and_b32_e32 v118, 0xffff, v7
	v_pk_fma_f16 v128, v11, v16, v128
	s_delay_alu instid0(VALU_DEP_4) | instskip(NEXT) | instid1(VALU_DEP_4)
	v_mul_u32_u24_e32 v4, 0x10001, v4
	v_mul_u32_u24_e32 v116, 0x10001, v116
	;; [unrolled: 1-line block ×4, first 2 shown]
	v_pk_fma_f16 v11, v11, v5, v119
	s_wait_dscnt 0x8
	v_pk_fma_f16 v129, v28, v4, v129
	v_pk_fma_f16 v120, v29, v4, v120
	;; [unrolled: 1-line block ×8, first 2 shown]
	v_and_b32_e32 v28, 0xffff, v20
	v_lshrrev_b32_e32 v20, 16, v20
	v_and_b32_e32 v29, 0xffff, v21
	v_lshrrev_b32_e32 v21, 16, v21
	v_pk_fma_f16 v10, v30, v117, v10
	v_pk_fma_f16 v11, v31, v117, v11
	;; [unrolled: 1-line block ×4, first 2 shown]
	v_mul_u32_u24_e32 v21, 0x10001, v21
	v_pk_fma_f16 v124, v30, v116, v124
	v_pk_fma_f16 v125, v31, v116, v125
	;; [unrolled: 1-line block ×4, first 2 shown]
	v_mul_u32_u24_e32 v28, 0x10001, v28
	v_mul_u32_u24_e32 v20, 0x10001, v20
	v_mul_u32_u24_e32 v29, 0x10001, v29
	s_wait_dscnt 0x7
	v_pk_fma_f16 v8, v36, v21, v8
	v_pk_fma_f16 v9, v37, v21, v9
	;; [unrolled: 1-line block ×4, first 2 shown]
	v_and_b32_e32 v21, 0xffff, v22
	v_pk_fma_f16 v30, v36, v28, v129
	v_pk_fma_f16 v31, v37, v28, v120
	;; [unrolled: 1-line block ×12, first 2 shown]
	v_dual_lshrrev_b32 v22, 16, v22 :: v_dual_lshrrev_b32 v128, 16, v23
	v_and_b32_e32 v23, 0xffff, v23
	v_mul_u32_u24_e32 v21, 0x10001, v21
	ds_load_b128 v[16:19], v96 offset:320
	ds_load_b128 v[4:7], v96 offset:336
	v_mul_u32_u24_e32 v22, 0x10001, v22
	v_mul_u32_u24_e32 v23, 0x10001, v23
	s_wait_dscnt 0x8
	v_pk_fma_f16 v131, v40, v21, v30
	v_pk_fma_f16 v133, v41, v21, v31
	;; [unrolled: 1-line block ×4, first 2 shown]
	v_mul_u32_u24_e32 v28, 0x10001, v128
	v_pk_fma_f16 v128, v40, v22, v130
	v_pk_fma_f16 v130, v41, v22, v132
	;; [unrolled: 1-line block ×6, first 2 shown]
	s_wait_dscnt 0x7
	v_and_b32_e32 v40, 0xffff, v68
	v_pk_fma_f16 v125, v41, v23, v126
	v_pk_fma_f16 v126, v42, v23, v127
	v_pk_fma_f16 v23, v43, v23, v29
	v_pk_fma_f16 v9, v41, v28, v9
	v_mul_u32_u24_e32 v40, 0x10001, v40
	v_pk_fma_f16 v10, v42, v28, v10
	v_pk_fma_f16 v11, v43, v28, v11
	v_lshrrev_b32_e32 v41, 16, v68
	v_and_b32_e32 v42, 0xffff, v69
	s_wait_dscnt 0x5
	v_pk_fma_f16 v43, v108, v40, v131
	v_pk_fma_f16 v68, v109, v40, v133
	;; [unrolled: 1-line block ×4, first 2 shown]
	v_lshrrev_b32_e32 v21, 16, v69
	v_mul_u32_u24_e32 v41, 0x10001, v41
	v_mul_u32_u24_e32 v42, 0x10001, v42
	ds_load_2addr_b64 v[116:119], v102 offset1:32
	ds_load_2addr_b64 v[120:123], v102 offset0:64 offset1:96
	v_mul_u32_u24_e32 v21, 0x10001, v21
	v_pk_fma_f16 v69, v108, v41, v128
	v_pk_fma_f16 v129, v108, v42, v22
	;; [unrolled: 1-line block ×3, first 2 shown]
	v_lshrrev_b32_e32 v130, 16, v71
	v_pk_fma_f16 v108, v108, v21, v8
	v_and_b32_e32 v8, 0xffff, v70
	v_lshrrev_b32_e32 v70, 16, v70
	v_and_b32_e32 v71, 0xffff, v71
	v_pk_fma_f16 v125, v109, v42, v125
	v_pk_fma_f16 v109, v109, v21, v9
	v_mul_u32_u24_e32 v8, 0x10001, v8
	v_pk_fma_f16 v124, v110, v41, v124
	v_pk_fma_f16 v41, v111, v41, v20
	v_pk_fma_f16 v126, v110, v42, v126
	v_pk_fma_f16 v42, v111, v42, v23
	s_wait_dscnt 0x6
	v_pk_fma_f16 v131, v113, v8, v68
	v_mul_u32_u24_e32 v68, 0x10001, v70
	v_mul_u32_u24_e32 v70, 0x10001, v71
	;; [unrolled: 1-line block ×3, first 2 shown]
	v_pk_fma_f16 v43, v112, v8, v43
	v_pk_fma_f16 v110, v110, v21, v10
	;; [unrolled: 1-line block ×5, first 2 shown]
	v_and_b32_e32 v112, 0xffff, v12
	v_pk_fma_f16 v111, v111, v21, v11
	v_pk_fma_f16 v127, v114, v8, v127
	;; [unrolled: 1-line block ×6, first 2 shown]
	v_lshrrev_b32_e32 v12, 16, v12
	v_and_b32_e32 v113, 0xffff, v13
	v_mul_u32_u24_e32 v112, 0x10001, v112
	v_lshrrev_b32_e32 v13, 16, v13
	v_pk_fma_f16 v124, v114, v68, v124
	v_pk_fma_f16 v41, v115, v68, v41
	;; [unrolled: 1-line block ×6, first 2 shown]
	s_wait_dscnt 0x5
	v_pk_fma_f16 v43, v32, v112, v43
	v_pk_fma_f16 v114, v33, v112, v131
	;; [unrolled: 1-line block ×4, first 2 shown]
	v_mul_u32_u24_e32 v12, 0x10001, v12
	v_mul_u32_u24_e32 v112, 0x10001, v113
	;; [unrolled: 1-line block ×3, first 2 shown]
	ds_load_2addr_b64 v[36:39], v102 offset0:128 offset1:160
	ds_load_2addr_b64 v[28:31], v102 offset0:192 offset1:224
	v_pk_fma_f16 v113, v32, v12, v130
	v_pk_fma_f16 v127, v33, v12, v128
	;; [unrolled: 1-line block ×12, first 2 shown]
	v_and_b32_e32 v35, 0xffff, v14
	v_dual_lshrrev_b32 v14, 16, v14 :: v_dual_lshrrev_b32 v129, 16, v15
	v_and_b32_e32 v15, 0xffff, v15
	ds_load_b128 v[20:23], v96 offset:352
	ds_load_b128 v[8:11], v96 offset:368
	v_mul_u32_u24_e32 v35, 0x10001, v35
	v_mul_u32_u24_e32 v14, 0x10001, v14
	v_mul_u32_u24_e32 v15, 0x10001, v15
	ds_load_2addr_b64 v[68:71], v103 offset1:32
	ds_load_2addr_b64 v[108:111], v103 offset0:64 offset1:96
	s_wait_dscnt 0xa
	v_pk_fma_f16 v130, v24, v35, v43
	v_pk_fma_f16 v114, v25, v35, v114
	;; [unrolled: 1-line block ×4, first 2 shown]
	v_mul_u32_u24_e32 v35, 0x10001, v129
	v_pk_fma_f16 v113, v24, v14, v113
	v_pk_fma_f16 v127, v25, v14, v127
	;; [unrolled: 1-line block ×9, first 2 shown]
	s_wait_dscnt 0x9
	v_and_b32_e32 v27, 0xffff, v16
	v_lshrrev_b32_e32 v16, 16, v16
	v_and_b32_e32 v112, 0xffff, v17
	v_lshrrev_b32_e32 v17, 16, v17
	v_pk_fma_f16 v24, v24, v35, v32
	v_mul_u32_u24_e32 v27, 0x10001, v27
	v_mul_u32_u24_e32 v16, 0x10001, v16
	v_pk_fma_f16 v25, v25, v35, v33
	v_pk_fma_f16 v26, v26, v35, v34
	v_mul_u32_u24_e32 v17, 0x10001, v17
	s_wait_dscnt 0x7
	v_pk_fma_f16 v128, v116, v27, v130
	v_pk_fma_f16 v114, v117, v27, v114
	;; [unrolled: 1-line block ×4, first 2 shown]
	v_mul_u32_u24_e32 v27, 0x10001, v112
	v_pk_fma_f16 v112, v116, v16, v113
	v_pk_fma_f16 v113, v117, v16, v127
	v_pk_fma_f16 v124, v118, v16, v124
	v_pk_fma_f16 v16, v119, v16, v12
	v_and_b32_e32 v12, 0xffff, v18
	v_pk_fma_f16 v127, v116, v27, v14
	v_pk_fma_f16 v125, v117, v27, v125
	;; [unrolled: 1-line block ×8, first 2 shown]
	v_dual_lshrrev_b32 v18, 16, v18 :: v_dual_lshrrev_b32 v119, 16, v19
	v_and_b32_e32 v19, 0xffff, v19
	v_mul_u32_u24_e32 v12, 0x10001, v12
	ds_load_2addr_b64 v[40:43], v103 offset0:128 offset1:160
	v_mul_u32_u24_e32 v18, 0x10001, v18
	ds_load_2addr_b64 v[32:35], v103 offset0:192 offset1:224
	v_mul_u32_u24_e32 v19, 0x10001, v19
	s_wait_dscnt 0x8
	v_pk_fma_f16 v131, v121, v12, v114
	v_mul_u32_u24_e32 v114, 0x10001, v119
	v_pk_fma_f16 v128, v120, v12, v128
	v_pk_fma_f16 v119, v120, v18, v112
	;; [unrolled: 1-line block ×9, first 2 shown]
	v_and_b32_e32 v120, 0xffff, v4
	v_lshrrev_b32_e32 v4, 16, v4
	v_and_b32_e32 v121, 0xffff, v5
	v_lshrrev_b32_e32 v5, 16, v5
	v_pk_fma_f16 v132, v122, v12, v115
	v_pk_fma_f16 v129, v123, v12, v129
	;; [unrolled: 1-line block ×6, first 2 shown]
	v_mul_u32_u24_e32 v120, 0x10001, v120
	v_mul_u32_u24_e32 v4, 0x10001, v4
	;; [unrolled: 1-line block ×4, first 2 shown]
	ds_load_b128 v[24:27], v96 offset:384
	ds_load_b128 v[12:15], v96 offset:400
	s_wait_dscnt 0x9
	v_pk_fma_f16 v122, v36, v120, v128
	v_pk_fma_f16 v123, v37, v120, v131
	;; [unrolled: 1-line block ×16, first 2 shown]
	v_and_b32_e32 v17, 0xffff, v6
	v_dual_lshrrev_b32 v6, 16, v6 :: v_dual_lshrrev_b32 v131, 16, v7
	v_and_b32_e32 v7, 0xffff, v7
	ds_load_2addr_b64 v[112:115], v104 offset1:32
	v_mul_u32_u24_e32 v17, 0x10001, v17
	v_mul_u32_u24_e32 v6, 0x10001, v6
	ds_load_2addr_b64 v[116:119], v104 offset0:64 offset1:96
	v_mul_u32_u24_e32 v7, 0x10001, v7
	ds_load_2addr_b64 v[36:39], v104 offset0:128 offset1:160
	s_wait_dscnt 0xb
	v_pk_fma_f16 v122, v28, v17, v122
	v_pk_fma_f16 v123, v29, v17, v123
	;; [unrolled: 1-line block ×4, first 2 shown]
	v_mul_u32_u24_e32 v120, 0x10001, v131
	v_pk_fma_f16 v128, v28, v6, v128
	v_pk_fma_f16 v129, v29, v6, v129
	;; [unrolled: 1-line block ×12, first 2 shown]
	s_wait_dscnt 0xa
	v_and_b32_e32 v120, 0xffff, v20
	v_lshrrev_b32_e32 v20, 16, v20
	v_and_b32_e32 v126, 0xffff, v21
	ds_load_2addr_b64 v[28:31], v104 offset0:192 offset1:224
	v_mul_u32_u24_e32 v120, 0x10001, v120
	s_wait_dscnt 0x9
	s_delay_alu instid0(VALU_DEP_1)
	v_pk_fma_f16 v122, v68, v120, v122
	v_pk_fma_f16 v123, v69, v120, v123
	;; [unrolled: 1-line block ×4, first 2 shown]
	v_lshrrev_b32_e32 v17, 16, v21
	v_mul_u32_u24_e32 v20, 0x10001, v20
	v_mul_u32_u24_e32 v21, 0x10001, v126
	s_delay_alu instid0(VALU_DEP_3) | instskip(NEXT) | instid1(VALU_DEP_3)
	v_mul_u32_u24_e32 v17, 0x10001, v17
	v_pk_fma_f16 v126, v68, v20, v128
	v_pk_fma_f16 v128, v69, v20, v129
	;; [unrolled: 1-line block ×6, first 2 shown]
	v_and_b32_e32 v4, 0xffff, v22
	v_dual_lshrrev_b32 v22, 16, v22 :: v_dual_lshrrev_b32 v121, 16, v23
	v_and_b32_e32 v23, 0xffff, v23
	v_pk_fma_f16 v129, v68, v21, v6
	v_pk_fma_f16 v131, v70, v21, v18
	;; [unrolled: 1-line block ×6, first 2 shown]
	v_mul_u32_u24_e32 v4, 0x10001, v4
	v_mul_u32_u24_e32 v22, 0x10001, v22
	;; [unrolled: 1-line block ×4, first 2 shown]
	ds_load_b128 v[16:19], v96 offset:416
	s_wait_dscnt 0x9
	v_pk_fma_f16 v122, v108, v4, v122
	v_pk_fma_f16 v123, v109, v4, v123
	v_pk_fma_f16 v125, v110, v4, v127
	v_pk_fma_f16 v120, v111, v4, v120
	v_pk_fma_f16 v126, v108, v22, v126
	v_pk_fma_f16 v127, v109, v22, v128
	v_pk_fma_f16 v124, v110, v22, v124
	v_pk_fma_f16 v20, v111, v22, v20
	v_pk_fma_f16 v22, v108, v23, v129
	v_pk_fma_f16 v128, v109, v23, v130
	v_pk_fma_f16 v129, v110, v23, v131
	v_pk_fma_f16 v21, v111, v23, v21
	v_pk_fma_f16 v23, v108, v121, v68
	v_pk_fma_f16 v108, v109, v121, v69
	v_pk_fma_f16 v109, v110, v121, v70
	v_pk_fma_f16 v110, v111, v121, v71
	v_and_b32_e32 v111, 0xffff, v8
	v_lshrrev_b32_e32 v8, 16, v8
	v_and_b32_e32 v121, 0xffff, v9
	v_lshrrev_b32_e32 v9, 16, v9
	ds_load_2addr_b64 v[68:71], v105 offset1:32
	v_mul_u32_u24_e32 v111, 0x10001, v111
	v_mul_u32_u24_e32 v8, 0x10001, v8
	ds_load_b128 v[4:7], v96 offset:432
	v_mul_u32_u24_e32 v9, 0x10001, v9
	s_wait_dscnt 0xa
	v_pk_fma_f16 v122, v40, v111, v122
	v_pk_fma_f16 v123, v41, v111, v123
	;; [unrolled: 1-line block ×4, first 2 shown]
	v_mul_u32_u24_e32 v120, 0x10001, v121
	v_pk_fma_f16 v121, v40, v8, v126
	v_pk_fma_f16 v126, v41, v8, v127
	;; [unrolled: 1-line block ×8, first 2 shown]
	v_and_b32_e32 v20, 0xffff, v10
	v_dual_lshrrev_b32 v10, 16, v10 :: v_dual_lshrrev_b32 v110, 16, v11
	v_and_b32_e32 v11, 0xffff, v11
	v_pk_fma_f16 v128, v41, v120, v128
	v_pk_fma_f16 v129, v42, v120, v129
	v_mul_u32_u24_e32 v20, 0x10001, v20
	v_mul_u32_u24_e32 v10, 0x10001, v10
	;; [unrolled: 1-line block ×4, first 2 shown]
	v_pk_fma_f16 v127, v40, v120, v22
	v_pk_fma_f16 v120, v43, v120, v21
	s_wait_dscnt 0x9
	v_pk_fma_f16 v123, v33, v20, v123
	v_pk_fma_f16 v125, v34, v20, v125
	;; [unrolled: 1-line block ×8, first 2 shown]
	s_wait_dscnt 0x8
	v_and_b32_e32 v108, 0xffff, v24
	v_lshrrev_b32_e32 v24, 16, v24
	v_and_b32_e32 v109, 0xffff, v25
	v_lshrrev_b32_e32 v25, 16, v25
	v_pk_fma_f16 v122, v32, v20, v122
	v_pk_fma_f16 v111, v35, v20, v111
	;; [unrolled: 1-line block ×8, first 2 shown]
	v_mul_u32_u24_e32 v108, 0x10001, v108
	v_mul_u32_u24_e32 v24, 0x10001, v24
	v_mul_u32_u24_e32 v109, 0x10001, v109
	v_mul_u32_u24_e32 v25, 0x10001, v25
	ds_load_2addr_b64 v[40:43], v105 offset0:64 offset1:96
	s_wait_dscnt 0x7
	v_pk_fma_f16 v110, v112, v108, v122
	v_pk_fma_f16 v122, v113, v108, v123
	;; [unrolled: 1-line block ×16, first 2 shown]
	v_and_b32_e32 v109, 0xffff, v26
	v_dual_lshrrev_b32 v26, 16, v26 :: v_dual_lshrrev_b32 v115, 16, v27
	v_and_b32_e32 v27, 0xffff, v27
	ds_load_2addr_b64 v[20:23], v105 offset0:128 offset1:160
	v_mul_u32_u24_e32 v109, 0x10001, v109
	v_mul_u32_u24_e32 v26, 0x10001, v26
	;; [unrolled: 1-line block ×4, first 2 shown]
	ds_load_2addr_b64 v[8:11], v105 offset0:192 offset1:224
	s_wait_dscnt 0x8
	v_pk_fma_f16 v130, v119, v109, v108
	v_pk_fma_f16 v121, v116, v26, v121
	;; [unrolled: 1-line block ×10, first 2 shown]
	v_and_b32_e32 v119, 0xffff, v12
	v_lshrrev_b32_e32 v12, 16, v12
	v_and_b32_e32 v120, 0xffff, v13
	v_pk_fma_f16 v129, v116, v109, v110
	v_pk_fma_f16 v122, v117, v109, v122
	;; [unrolled: 1-line block ×3, first 2 shown]
	v_mul_u32_u24_e32 v119, 0x10001, v119
	v_lshrrev_b32_e32 v13, 16, v13
	v_mul_u32_u24_e32 v12, 0x10001, v12
	v_mul_u32_u24_e32 v120, 0x10001, v120
	v_pk_fma_f16 v116, v116, v115, v112
	v_pk_fma_f16 v117, v117, v115, v113
	s_wait_dscnt 0x7
	v_pk_fma_f16 v128, v36, v119, v129
	v_pk_fma_f16 v122, v37, v119, v122
	;; [unrolled: 1-line block ×4, first 2 shown]
	v_mul_u32_u24_e32 v13, 0x10001, v13
	v_pk_fma_f16 v121, v36, v12, v121
	v_pk_fma_f16 v125, v37, v12, v125
	;; [unrolled: 1-line block ×8, first 2 shown]
	v_and_b32_e32 v12, 0xffff, v14
	v_dual_lshrrev_b32 v120, 16, v14 :: v_dual_lshrrev_b32 v129, 16, v15
	v_and_b32_e32 v130, 0xffff, v15
	v_pk_fma_f16 v116, v36, v13, v116
	v_pk_fma_f16 v117, v37, v13, v117
	v_mul_u32_u24_e32 v12, 0x10001, v12
	v_mul_u32_u24_e32 v120, 0x10001, v120
	;; [unrolled: 1-line block ×4, first 2 shown]
	v_pk_fma_f16 v118, v118, v115, v114
	s_wait_dscnt 0x6
	v_pk_fma_f16 v128, v28, v12, v128
	v_pk_fma_f16 v122, v29, v12, v122
	;; [unrolled: 1-line block ×8, first 2 shown]
	s_wait_dscnt 0x5
	v_and_b32_e32 v116, 0xffff, v16
	v_lshrrev_b32_e32 v16, 16, v16
	v_and_b32_e32 v117, 0xffff, v17
	v_pk_fma_f16 v118, v38, v13, v118
	v_pk_fma_f16 v123, v30, v12, v123
	v_pk_fma_f16 v119, v31, v12, v119
	v_pk_fma_f16 v127, v30, v130, v127
	v_pk_fma_f16 v130, v31, v130, v27
	v_mul_u32_u24_e32 v116, 0x10001, v116
	v_lshrrev_b32_e32 v17, 16, v17
	v_mul_u32_u24_e32 v16, 0x10001, v16
	v_mul_u32_u24_e32 v117, 0x10001, v117
	v_pk_fma_f16 v25, v39, v13, v25
	v_pk_fma_f16 v124, v30, v120, v124
	;; [unrolled: 1-line block ×4, first 2 shown]
	s_wait_dscnt 0x4
	v_pk_fma_f16 v118, v68, v116, v128
	v_pk_fma_f16 v122, v69, v116, v122
	;; [unrolled: 1-line block ×10, first 2 shown]
	v_lshrrev_b32_e32 v128, 16, v18
	v_and_b32_e32 v130, 0xffff, v19
	v_pk_fma_f16 v31, v31, v129, v25
	v_mul_u32_u24_e32 v17, 0x10001, v17
	v_pk_fma_f16 v124, v70, v16, v124
	v_pk_fma_f16 v120, v71, v16, v120
	v_and_b32_e32 v16, 0xffff, v18
	v_lshrrev_b32_e32 v129, 16, v19
	v_mul_u32_u24_e32 v128, 0x10001, v128
	v_mul_u32_u24_e32 v130, 0x10001, v130
	ds_load_b128 v[32:35], v96 offset:448
	ds_load_b128 v[108:111], v96 offset:464
	v_pk_fma_f16 v68, v68, v17, v28
	v_pk_fma_f16 v69, v69, v17, v29
	v_mul_u32_u24_e32 v16, 0x10001, v16
	s_wait_dscnt 0x4
	v_pk_fma_f16 v119, v40, v128, v119
	v_pk_fma_f16 v121, v41, v128, v121
	;; [unrolled: 1-line block ×4, first 2 shown]
	v_and_b32_e32 v128, 0xffff, v4
	v_pk_fma_f16 v125, v40, v130, v125
	v_pk_fma_f16 v126, v41, v130, v126
	;; [unrolled: 1-line block ×4, first 2 shown]
	v_lshrrev_b32_e32 v130, 16, v4
	v_mul_u32_u24_e32 v4, 0x10001, v129
	v_pk_fma_f16 v70, v70, v17, v30
	v_pk_fma_f16 v71, v71, v17, v31
	;; [unrolled: 1-line block ×6, first 2 shown]
	v_and_b32_e32 v68, 0xffff, v5
	v_lshrrev_b32_e32 v69, 16, v5
	ds_load_2addr_b64 v[112:115], v106 offset1:32
	ds_load_b128 v[28:31], v96 offset:480
	v_pk_fma_f16 v123, v42, v16, v123
	v_pk_fma_f16 v116, v43, v16, v116
	;; [unrolled: 1-line block ×4, first 2 shown]
	v_and_b32_e32 v70, 0xffff, v6
	v_dual_lshrrev_b32 v71, 16, v6 :: v_dual_lshrrev_b32 v129, 16, v7
	v_mul_u32_u24_e32 v4, 0x10001, v128
	v_mul_u32_u24_e32 v128, 0x10001, v130
	;; [unrolled: 1-line block ×4, first 2 shown]
	v_and_b32_e32 v131, 0xffff, v7
	s_wait_dscnt 0x5
	v_pk_fma_f16 v118, v20, v4, v118
	v_pk_fma_f16 v122, v21, v4, v122
	;; [unrolled: 1-line block ×7, first 2 shown]
	v_mul_u32_u24_e32 v20, 0x10001, v70
	v_mul_u32_u24_e32 v71, 0x10001, v71
	ds_load_2addr_b64 v[36:39], v106 offset0:64 offset1:96
	v_pk_fma_f16 v121, v21, v128, v121
	v_pk_fma_f16 v120, v23, v128, v120
	s_wait_dscnt 0x4
	v_and_b32_e32 v128, 0xffff, v32
	v_pk_fma_f16 v126, v21, v68, v126
	v_pk_fma_f16 v127, v22, v68, v127
	;; [unrolled: 1-line block ×3, first 2 shown]
	v_lshrrev_b32_e32 v32, 16, v32
	v_pk_fma_f16 v41, v21, v69, v41
	v_pk_fma_f16 v42, v22, v69, v42
	;; [unrolled: 1-line block ×3, first 2 shown]
	v_and_b32_e32 v69, 0xffff, v33
	v_pk_fma_f16 v70, v8, v20, v118
	v_pk_fma_f16 v118, v9, v20, v122
	;; [unrolled: 1-line block ×4, first 2 shown]
	v_mul_u32_u24_e32 v124, 0x10001, v131
	v_lshrrev_b32_e32 v33, 16, v33
	v_pk_fma_f16 v119, v8, v71, v119
	v_pk_fma_f16 v121, v9, v71, v121
	;; [unrolled: 1-line block ×7, first 2 shown]
	v_mul_u32_u24_e32 v124, 0x10001, v129
	v_mul_u32_u24_e32 v32, 0x10001, v32
	;; [unrolled: 1-line block ×3, first 2 shown]
	ds_load_2addr_b64 v[12:15], v106 offset0:128 offset1:160
	ds_load_b128 v[16:19], v96 offset:496
	v_pk_fma_f16 v116, v23, v4, v116
	v_and_b32_e32 v117, 0xffff, v34
	v_dual_lshrrev_b32 v34, 16, v34 :: v_dual_lshrrev_b32 v130, 16, v35
	v_and_b32_e32 v35, 0xffff, v35
	v_pk_fma_f16 v40, v8, v124, v40
	v_pk_fma_f16 v41, v9, v124, v41
	;; [unrolled: 1-line block ×4, first 2 shown]
	v_mul_u32_u24_e32 v8, 0x10001, v128
	s_wait_dscnt 0x4
	v_pk_fma_f16 v119, v112, v32, v119
	v_pk_fma_f16 v121, v113, v32, v121
	;; [unrolled: 1-line block ×4, first 2 shown]
	s_wait_dscnt 0x3
	v_and_b32_e32 v71, 0xffff, v28
	v_pk_fma_f16 v125, v112, v69, v125
	v_pk_fma_f16 v126, v113, v69, v126
	v_pk_fma_f16 v127, v114, v69, v127
	v_pk_fma_f16 v68, v115, v69, v68
	v_lshrrev_b32_e32 v69, 16, v28
	v_mul_u32_u24_e32 v28, 0x10001, v33
	ds_load_2addr_b64 v[24:27], v106 offset0:192 offset1:224
	v_pk_fma_f16 v116, v11, v20, v116
	v_pk_fma_f16 v118, v113, v8, v118
	;; [unrolled: 1-line block ×7, first 2 shown]
	v_mul_u32_u24_e32 v28, 0x10001, v117
	v_mul_u32_u24_e32 v34, 0x10001, v34
	;; [unrolled: 1-line block ×3, first 2 shown]
	ds_load_2addr_b64 v[4:7], v107 offset1:32
	v_and_b32_e32 v120, 0xffff, v108
	v_lshrrev_b32_e32 v108, 16, v108
	v_and_b32_e32 v124, 0xffff, v109
	v_lshrrev_b32_e32 v109, 16, v109
	v_pk_fma_f16 v70, v112, v8, v70
	v_pk_fma_f16 v116, v115, v8, v116
	s_wait_dscnt 0x4
	v_pk_fma_f16 v117, v37, v28, v118
	v_pk_fma_f16 v118, v38, v28, v122
	;; [unrolled: 1-line block ×7, first 2 shown]
	v_mul_u32_u24_e32 v68, 0x10001, v130
	ds_load_2addr_b64 v[20:23], v107 offset0:64 offset1:96
	v_and_b32_e32 v129, 0xffff, v110
	v_dual_lshrrev_b32 v110, 16, v110 :: v_dual_lshrrev_b32 v131, 16, v111
	v_and_b32_e32 v111, 0xffff, v111
	v_pk_fma_f16 v70, v36, v28, v70
	v_pk_fma_f16 v116, v39, v28, v116
	;; [unrolled: 1-line block ×9, first 2 shown]
	v_mul_u32_u24_e32 v42, 0x10001, v120
	v_mul_u32_u24_e32 v68, 0x10001, v108
	;; [unrolled: 1-line block ×4, first 2 shown]
	ds_load_2addr_b64 v[8:11], v107 offset0:128 offset1:160
	v_and_b32_e32 v43, 0xffff, v29
	v_lshrrev_b32_e32 v112, 16, v29
	v_mul_u32_u24_e32 v120, 0x10001, v129
	v_mul_u32_u24_e32 v110, 0x10001, v110
	;; [unrolled: 1-line block ×4, first 2 shown]
	s_wait_dscnt 0x5
	v_pk_fma_f16 v70, v12, v42, v70
	v_pk_fma_f16 v117, v13, v42, v117
	;; [unrolled: 1-line block ×16, first 2 shown]
	v_and_b32_e32 v113, 0xffff, v30
	v_dual_lshrrev_b32 v114, 16, v30 :: v_dual_lshrrev_b32 v115, 16, v31
	v_and_b32_e32 v128, 0xffff, v31
	ds_load_2addr_b64 v[28:31], v107 offset0:192 offset1:224
	s_wait_dscnt 0x0
	s_barrier_signal -1
	s_barrier_wait -1
	s_load_b32 s2, s[42:43], 0x4
	v_mul_u32_u24_e32 v71, 0x10001, v71
	v_mul_u32_u24_e32 v69, 0x10001, v69
	;; [unrolled: 1-line block ×4, first 2 shown]
	v_pk_fma_f16 v33, v24, v120, v70
	v_pk_fma_f16 v36, v25, v120, v117
	;; [unrolled: 1-line block ×16, first 2 shown]
	v_and_b32_e32 v34, 0xffff, v16
	v_lshrrev_b32_e32 v16, 16, v16
	v_and_b32_e32 v39, 0xffff, v17
	v_lshrrev_b32_e32 v17, 16, v17
	v_mul_u32_u24_e32 v113, 0x10001, v113
	v_mul_u32_u24_e32 v114, 0x10001, v114
	;; [unrolled: 1-line block ×4, first 2 shown]
	v_pk_fma_f16 v24, v4, v71, v33
	v_pk_fma_f16 v25, v5, v71, v36
	;; [unrolled: 1-line block ×16, first 2 shown]
	v_and_b32_e32 v40, 0xffff, v18
	v_dual_lshrrev_b32 v18, 16, v18 :: v_dual_lshrrev_b32 v41, 16, v19
	v_and_b32_e32 v19, 0xffff, v19
	v_mul_u32_u24_e32 v34, 0x10001, v34
	v_mul_u32_u24_e32 v16, 0x10001, v16
	;; [unrolled: 1-line block ×4, first 2 shown]
	v_pk_fma_f16 v12, v20, v113, v24
	v_pk_fma_f16 v13, v21, v113, v25
	v_pk_fma_f16 v14, v22, v113, v26
	v_pk_fma_f16 v15, v23, v113, v27
	v_pk_fma_f16 v24, v20, v114, v33
	v_pk_fma_f16 v25, v21, v114, v36
	v_pk_fma_f16 v26, v22, v114, v37
	v_pk_fma_f16 v27, v23, v114, v32
	v_pk_fma_f16 v32, v20, v127, v38
	v_pk_fma_f16 v33, v21, v127, v42
	v_pk_fma_f16 v36, v22, v127, v68
	v_pk_fma_f16 v35, v23, v127, v35
	v_pk_fma_f16 v4, v20, v115, v4
	v_pk_fma_f16 v5, v21, v115, v5
	v_pk_fma_f16 v6, v22, v115, v6
	v_pk_fma_f16 v7, v23, v115, v7
	v_mul_u32_u24_e32 v40, 0x10001, v40
	v_mul_u32_u24_e32 v18, 0x10001, v18
	;; [unrolled: 1-line block ×4, first 2 shown]
	v_pk_fma_f16 v12, v8, v34, v12
	v_pk_fma_f16 v13, v9, v34, v13
	;; [unrolled: 1-line block ×16, first 2 shown]
	s_wait_kmcnt 0x0
	s_lshl_b32 s2, s2, 6
	v_pk_fma_f16 v120, v28, v40, v12
	v_pk_fma_f16 v123, v29, v40, v13
	;; [unrolled: 1-line block ×16, first 2 shown]
	s_add_co_i32 s14, s2, s14
	s_delay_alu instid0(SALU_CYCLE_1)
	s_cmp_ge_i32 s14, s34
	s_cbranch_scc0 .LBB26_9
; %bb.10:
	v_dual_mov_b32 v4, 32 :: v_dual_mov_b32 v5, v81
.LBB26_11:
	s_delay_alu instid0(VALU_DEP_1)
	v_cmp_lt_i32_e32 vcc_lo, v86, v4
	s_cmp_lg_u64 s[16:17], 0
	s_cselect_b32 s2, -1, 0
	s_cmp_eq_u32 s33, 0
	v_cndmask_b32_e32 v6, v5, v86, vcc_lo
	v_cmp_lt_i32_e32 vcc_lo, v85, v4
	s_cselect_b32 s3, -1, 0
	s_delay_alu instid0(SALU_CYCLE_1)
	s_and_b32 s2, s3, s2
	v_cndmask_b32_e32 v10, v5, v85, vcc_lo
	v_cmp_lt_i32_e32 vcc_lo, v84, v4
	v_dual_cndmask_b32 v14, v5, v84 :: v_dual_lshlrev_b32 v9, 2, v6
	ds_bpermute_b32 v6, v9, v48
	ds_bpermute_b32 v7, v9, v49
	;; [unrolled: 1-line block ×4, first 2 shown]
	v_cmp_lt_i32_e32 vcc_lo, v83, v4
	v_lshlrev_b32_e32 v13, 2, v10
	v_lshlrev_b32_e32 v14, 2, v14
	s_wait_dscnt 0x2
	v_pk_add_f32 v[6:7], v[48:49], v[6:7]
	s_wait_dscnt 0x0
	v_pk_add_f32 v[8:9], v[46:47], v[8:9]
	ds_bpermute_b32 v10, v13, v6
	ds_bpermute_b32 v11, v13, v7
	;; [unrolled: 1-line block ×4, first 2 shown]
	s_wait_dscnt 0x2
	v_pk_add_f32 v[6:7], v[6:7], v[10:11]
	s_wait_dscnt 0x0
	v_pk_add_f32 v[8:9], v[8:9], v[12:13]
	ds_bpermute_b32 v10, v14, v6
	ds_bpermute_b32 v11, v14, v7
	ds_bpermute_b32 v12, v14, v8
	ds_bpermute_b32 v13, v14, v9
	v_cndmask_b32_e32 v14, v5, v83, vcc_lo
	v_cmp_lt_i32_e32 vcc_lo, v82, v4
	s_delay_alu instid0(VALU_DEP_2)
	v_lshlrev_b32_e32 v14, 2, v14
	v_cndmask_b32_e32 v4, v5, v82, vcc_lo
	s_and_b32 vcc_lo, exec_lo, s2
	s_wait_dscnt 0x2
	v_pk_add_f32 v[6:7], v[6:7], v[10:11]
	s_wait_dscnt 0x0
	v_pk_add_f32 v[8:9], v[8:9], v[12:13]
	ds_bpermute_b32 v10, v14, v6
	ds_bpermute_b32 v11, v14, v7
	;; [unrolled: 1-line block ×4, first 2 shown]
	v_lshlrev_b32_e32 v14, 2, v4
	s_wait_dscnt 0x2
	v_pk_add_f32 v[4:5], v[6:7], v[10:11]
	s_wait_dscnt 0x0
	v_pk_add_f32 v[8:9], v[8:9], v[12:13]
	ds_bpermute_b32 v6, v14, v4
	ds_bpermute_b32 v7, v14, v5
	;; [unrolled: 1-line block ×4, first 2 shown]
	s_wait_dscnt 0x2
	v_pk_add_f32 v[6:7], v[4:5], v[6:7]
	s_wait_dscnt 0x0
	v_pk_add_f32 v[4:5], v[8:9], v[10:11]
	s_cbranch_vccz .LBB26_13
; %bb.12:
	s_ashr_i32 s29, s28, 31
	v_mov_b32_e32 v8, 0
	s_lshl_b64 s[2:3], s[28:29], 2
	v_max_num_f32_e32 v9, v1, v1
	s_add_nc_u64 s[2:3], s[16:17], s[2:3]
	v_max_num_f32_e32 v14, v2, v2
	global_load_b64 v[12:13], v8, s[2:3]
	s_wait_xcnt 0x0
	v_max_num_f32_e32 v8, v0, v0
	s_wait_loadcnt 0x0
	v_dual_max_num_f32 v10, v12, v12 :: v_dual_max_num_f32 v11, v13, v13
	s_delay_alu instid0(VALU_DEP_1) | instskip(NEXT) | instid1(VALU_DEP_2)
	v_dual_max_num_f32 v15, v3, v3 :: v_dual_max_num_f32 v8, v8, v10
	v_dual_max_num_f32 v9, v9, v11 :: v_dual_max_num_f32 v10, v14, v10
	s_delay_alu instid0(VALU_DEP_2) | instskip(NEXT) | instid1(VALU_DEP_2)
	v_dual_max_num_f32 v11, v15, v11 :: v_dual_sub_f32 v0, v0, v8
	v_dual_sub_f32 v14, v12, v8 :: v_dual_sub_f32 v1, v1, v9
	s_delay_alu instid0(VALU_DEP_3) | instskip(NEXT) | instid1(VALU_DEP_3)
	v_dual_sub_f32 v15, v13, v9 :: v_dual_sub_f32 v16, v2, v10
	v_dual_sub_f32 v19, v13, v11 :: v_dual_mul_f32 v2, 0x3fb8aa3b, v0
	v_dual_sub_f32 v17, v12, v10 :: v_dual_sub_f32 v18, v3, v11
	s_delay_alu instid0(VALU_DEP_4) | instskip(NEXT) | instid1(VALU_DEP_4)
	v_dual_mul_f32 v3, 0x3fb8aa3b, v14 :: v_dual_mul_f32 v12, 0x3fb8aa3b, v1
	v_dual_mul_f32 v13, 0x3fb8aa3b, v15 :: v_dual_mul_f32 v20, 0x3fb8aa3b, v16
	s_delay_alu instid0(VALU_DEP_4)
	v_fma_f32 v24, 0x3fb8aa3b, v0, -v2
	v_rndne_f32_e32 v25, v2
	v_mul_f32_e32 v23, 0x3fb8aa3b, v19
	v_fma_f32 v26, 0x3fb8aa3b, v14, -v3
	v_rndne_f32_e32 v27, v3
	v_rndne_f32_e32 v33, v20
	v_fmac_f32_e32 v24, 0x32a5705f, v0
	v_sub_f32_e32 v2, v2, v25
	v_dual_mul_f32 v21, 0x3fb8aa3b, v17 :: v_dual_mul_f32 v22, 0x3fb8aa3b, v18
	v_fma_f32 v28, 0x3fb8aa3b, v1, -v12
	v_rndne_f32_e32 v29, v12
	v_fma_f32 v30, 0x3fb8aa3b, v15, -v13
	v_rndne_f32_e32 v31, v13
	v_fma_f32 v32, 0x3fb8aa3b, v16, -v20
	v_dual_fmac_f32 v26, 0x32a5705f, v14 :: v_dual_sub_f32 v3, v3, v27
	v_dual_sub_f32 v20, v20, v33 :: v_dual_add_f32 v2, v2, v24
	v_fma_f32 v34, 0x3fb8aa3b, v17, -v21
	v_rndne_f32_e32 v35, v21
	v_rndne_f32_e32 v37, v22
	v_fma_f32 v38, 0x3fb8aa3b, v19, -v23
	v_rndne_f32_e32 v39, v23
	s_delay_alu instid0(VALU_DEP_4)
	v_dual_fmac_f32 v28, 0x32a5705f, v1 :: v_dual_sub_f32 v21, v21, v35
	v_dual_sub_f32 v12, v12, v29 :: v_dual_sub_f32 v13, v13, v31
	v_dual_fmac_f32 v30, 0x32a5705f, v15 :: v_dual_add_f32 v3, v3, v26
	v_exp_f32_e32 v2, v2
	v_cvt_i32_f32_e32 v25, v25
	v_fma_f32 v36, 0x3fb8aa3b, v18, -v22
	v_fmac_f32_e32 v38, 0x32a5705f, v19
	v_dual_sub_f32 v23, v23, v39 :: v_dual_fmac_f32 v34, 0x32a5705f, v17
	v_dual_sub_f32 v22, v22, v37 :: v_dual_add_f32 v12, v12, v28
	v_exp_f32_e32 v3, v3
	v_cvt_i32_f32_e32 v27, v27
	v_dual_fmac_f32 v32, 0x32a5705f, v16 :: v_dual_add_f32 v13, v13, v30
	v_ldexp_f32 v2, v2, v25
	v_cmp_ngt_f32_e32 vcc_lo, 0xc2ce8ed0, v0
	v_add_f32_e32 v23, v23, v38
	v_add_f32_e32 v21, v21, v34
	v_exp_f32_e32 v12, v12
	v_cvt_i32_f32_e32 v29, v29
	v_dual_add_f32 v20, v20, v32 :: v_dual_cndmask_b32 v2, 0, v2, vcc_lo
	v_ldexp_f32 v3, v3, v27
	v_cmp_ngt_f32_e32 vcc_lo, 0xc2ce8ed0, v14
	v_exp_f32_e32 v13, v13
	v_exp_f32_e32 v21, v21
	v_cvt_i32_f32_e32 v31, v31
	v_cvt_i32_f32_e32 v35, v35
	v_dual_fmac_f32 v36, 0x32a5705f, v18 :: v_dual_cndmask_b32 v3, 0, v3
	v_ldexp_f32 v12, v12, v29
	v_cmp_ngt_f32_e32 vcc_lo, 0xc2ce8ed0, v1
	v_exp_f32_e32 v20, v20
	v_ldexp_f32 v13, v13, v31
	v_ldexp_f32 v21, v21, v35
	v_cvt_i32_f32_e32 v33, v33
	v_cndmask_b32_e32 v12, 0, v12, vcc_lo
	v_cmp_ngt_f32_e32 vcc_lo, 0xc2ce8ed0, v15
	v_add_f32_e32 v22, v22, v36
	v_cvt_i32_f32_e32 v37, v37
	v_ldexp_f32 v20, v20, v33
	v_exp_f32_e32 v23, v23
	v_cndmask_b32_e32 v13, 0, v13, vcc_lo
	v_exp_f32_e32 v22, v22
	v_cmp_ngt_f32_e32 vcc_lo, 0xc2ce8ed0, v16
	v_cvt_i32_f32_e32 v39, v39
	s_delay_alu instid0(TRANS32_DEP_1) | instskip(SKIP_2) | instid1(VALU_DEP_4)
	v_ldexp_f32 v22, v22, v37
	v_cndmask_b32_e32 v20, 0, v20, vcc_lo
	v_cmp_ngt_f32_e32 vcc_lo, 0xc2ce8ed0, v17
	v_ldexp_f32 v23, v23, v39
	v_cndmask_b32_e32 v21, 0, v21, vcc_lo
	v_cmp_ngt_f32_e32 vcc_lo, 0xc2ce8ed0, v18
	v_cndmask_b32_e32 v22, 0, v22, vcc_lo
	v_cmp_ngt_f32_e32 vcc_lo, 0xc2ce8ed0, v19
	v_cndmask_b32_e32 v23, 0, v23, vcc_lo
	v_cmp_nlt_f32_e32 vcc_lo, 0x42b17218, v0
	v_cndmask_b32_e32 v0, 0x7f800000, v2, vcc_lo
	v_cmp_nlt_f32_e32 vcc_lo, 0x42b17218, v14
	;; [unrolled: 2-line block ×5, first 2 shown]
	v_cvt_f16_f32_e32 v16, v0
	s_delay_alu instid0(VALU_DEP_3)
	v_pk_fma_f32 v[6:7], v[6:7], v[0:1], v[2:3]
	v_cndmask_b32_e32 v12, 0x7f800000, v20, vcc_lo
	v_cmp_nlt_f32_e32 vcc_lo, 0x42b17218, v17
	v_cvt_f16_f32_e32 v17, v1
	v_and_b32_e32 v16, 0xffff, v16
	v_cndmask_b32_e32 v14, 0x7f800000, v21, vcc_lo
	v_cmp_nlt_f32_e32 vcc_lo, 0x42b17218, v18
	v_cvt_f16_f32_e32 v18, v12
	v_and_b32_e32 v0, 0xffff, v17
	v_mul_u32_u24_e32 v3, 0x10001, v16
	v_cndmask_b32_e32 v13, 0x7f800000, v22, vcc_lo
	v_cmp_nlt_f32_e32 vcc_lo, 0x42b17218, v19
	v_and_b32_e32 v1, 0xffff, v18
	v_mul_u32_u24_e32 v0, 0x10001, v0
	v_pk_mul_f16 v120, v120, v3
	v_cvt_f16_f32_e32 v19, v13
	v_cndmask_b32_e32 v15, 0x7f800000, v23, vcc_lo
	v_mul_u32_u24_e32 v1, 0x10001, v1
	v_pk_mul_f16 v123, v123, v3
	v_pk_mul_f16 v122, v122, v3
	v_and_b32_e32 v2, 0xffff, v19
	v_pk_mul_f16 v121, v121, v3
	v_pk_mul_f16 v117, v117, v0
	;; [unrolled: 1-line block ×4, first 2 shown]
	v_mul_u32_u24_e32 v2, 0x10001, v2
	v_pk_mul_f16 v116, v116, v0
	v_pk_mul_f16 v113, v113, v1
	;; [unrolled: 1-line block ×9, first 2 shown]
	v_mov_b64_e32 v[0:1], v[8:9]
	v_mov_b64_e32 v[2:3], v[10:11]
	v_pk_fma_f32 v[4:5], v[4:5], v[12:13], v[14:15]
.LBB26_13:
	s_mov_b32 s2, exec_lo
	v_cmpx_gt_i32_e64 s26, v79
	s_cbranch_execz .LBB26_32
; %bb.14:
	s_load_b32 s0, s[0:1], 0xd4
	v_mov_b32_e32 v8, 1.0
	s_wait_kmcnt 0x0
	s_cmp_lg_u32 s0, 1
	s_cselect_b32 s2, -1, 0
	s_cmp_eq_u32 s0, 1
	s_cselect_b32 s3, -1, 0
	s_and_b32 vcc_lo, exec_lo, s2
	s_cbranch_vccnz .LBB26_16
; %bb.15:
	v_div_scale_f32 v8, null, v6, v6, 1.0
	s_delay_alu instid0(VALU_DEP_1) | instskip(SKIP_1) | instid1(TRANS32_DEP_1)
	v_rcp_f32_e32 v9, v8
	v_nop
	v_fma_f32 v10, -v8, v9, 1.0
	s_delay_alu instid0(VALU_DEP_1) | instskip(SKIP_1) | instid1(VALU_DEP_1)
	v_fmac_f32_e32 v9, v10, v9
	v_div_scale_f32 v10, vcc_lo, 1.0, v6, 1.0
	v_mul_f32_e32 v11, v10, v9
	s_delay_alu instid0(VALU_DEP_1) | instskip(NEXT) | instid1(VALU_DEP_1)
	v_fma_f32 v12, -v8, v11, v10
	v_fmac_f32_e32 v11, v12, v9
	s_delay_alu instid0(VALU_DEP_1) | instskip(NEXT) | instid1(VALU_DEP_1)
	v_fma_f32 v8, -v8, v11, v10
	v_div_fmas_f32 v8, v8, v9, v11
	s_delay_alu instid0(VALU_DEP_1)
	v_div_fixup_f32 v8, v8, v6, 1.0
.LBB26_16:
	s_mul_i32 s1, s30, s26
	v_dual_lshrrev_b32 v15, 16, v123 :: v_dual_lshrrev_b32 v17, 16, v122
	s_add_co_i32 s1, s1, s35
	s_delay_alu instid0(SALU_CYCLE_1)
	v_dual_mov_b32 v19, 0 :: v_dual_add_nc_u32 v9, s1, v77
	v_lshrrev_b32_e32 v21, 16, v121
	v_cvt_f32_f16_e32 v12, v120
	v_cvt_f32_f16_e32 v14, v123
	;; [unrolled: 1-line block ×3, first 2 shown]
	v_mul_lo_u32 v9, v9, s27
	v_cvt_f32_f16_e32 v16, v122
	v_cvt_f32_f16_e32 v20, v121
	;; [unrolled: 1-line block ×4, first 2 shown]
	v_cmp_eq_u32_e32 vcc_lo, 0, v78
	v_lshrrev_b32_e32 v11, 16, v120
	s_and_b32 s2, vcc_lo, s2
	v_add_nc_u32_e32 v10, s28, v9
	v_pk_mul_f32 v[14:15], v[8:9], v[14:15] op_sel_hi:[0,1]
	v_pk_mul_f32 v[16:17], v[8:9], v[16:17] op_sel_hi:[0,1]
	v_cvt_f32_f16_e32 v13, v11
	s_delay_alu instid0(VALU_DEP_4) | instskip(NEXT) | instid1(VALU_DEP_2)
	v_mad_u32 v10, s0, v10, s33
	v_pk_mul_f32 v[12:13], v[8:9], v[12:13] op_sel_hi:[0,1]
	s_delay_alu instid0(VALU_DEP_2) | instskip(NEXT) | instid1(VALU_DEP_1)
	v_lshl_add_u32 v18, v10, 8, v76
	v_lshl_add_u64 v[22:23], v[18:19], 2, s[20:21]
	v_add_nc_u32_e32 v18, 0x80, v18
	s_delay_alu instid0(VALU_DEP_1)
	v_lshl_add_u64 v[24:25], v[18:19], 2, s[20:21]
	v_pk_mul_f32 v[18:19], v[8:9], v[20:21] op_sel_hi:[0,1]
	s_clause 0x1
	global_store_b128 v[22:23], v[12:15], off
	global_store_b128 v[24:25], v[16:19], off
	s_wait_xcnt 0x0
	s_and_saveexec_b32 s4, s2
	s_cbranch_execz .LBB26_18
; %bb.17:
	v_dual_mov_b32 v12, v0 :: v_dual_mov_b32 v13, v6
	global_store_b64 v10, v[12:13], s[22:23] scale_offset
.LBB26_18:
	s_wait_xcnt 0x0
	s_or_b32 exec_lo, exec_lo, s4
	v_cndmask_b32_e64 v8, 0, 1, s3
	v_mov_b32_e32 v0, 1.0
	s_and_not1_b32 vcc_lo, exec_lo, s3
	s_cbranch_vccnz .LBB26_20
; %bb.19:
	v_div_scale_f32 v0, null, v7, v7, 1.0
	s_delay_alu instid0(VALU_DEP_1) | instskip(SKIP_1) | instid1(TRANS32_DEP_1)
	v_rcp_f32_e32 v6, v0
	v_nop
	v_fma_f32 v10, -v0, v6, 1.0
	s_delay_alu instid0(VALU_DEP_1) | instskip(SKIP_1) | instid1(VALU_DEP_1)
	v_fmac_f32_e32 v6, v10, v6
	v_div_scale_f32 v10, vcc_lo, 1.0, v7, 1.0
	v_mul_f32_e32 v11, v10, v6
	s_delay_alu instid0(VALU_DEP_1) | instskip(NEXT) | instid1(VALU_DEP_1)
	v_fma_f32 v12, -v0, v11, v10
	v_fmac_f32_e32 v11, v12, v6
	s_delay_alu instid0(VALU_DEP_1) | instskip(NEXT) | instid1(VALU_DEP_1)
	v_fma_f32 v0, -v0, v11, v10
	v_div_fmas_f32 v0, v0, v6, v11
	s_delay_alu instid0(VALU_DEP_1)
	v_div_fixup_f32 v0, v0, v7, 1.0
.LBB26_20:
	s_add_co_i32 s3, s28, 1
	v_dual_lshrrev_b32 v15, 16, v118 :: v_dual_lshrrev_b32 v19, 16, v116
	v_dual_mov_b32 v17, 0 :: v_dual_add_nc_u32 v6, s3, v9
	v_cvt_f32_f16_e32 v10, v117
	v_cvt_f32_f16_e32 v12, v119
	v_lshrrev_b32_e32 v13, 16, v119
	s_delay_alu instid0(VALU_DEP_4)
	v_mad_u32 v9, s0, v6, s33
	v_lshrrev_b32_e32 v6, 16, v117
	v_cvt_f32_f16_e32 v14, v118
	v_cvt_f32_f16_e32 v18, v116
	;; [unrolled: 1-line block ×6, first 2 shown]
	s_delay_alu instid0(VALU_DEP_4) | instskip(NEXT) | instid1(VALU_DEP_4)
	v_pk_mul_f32 v[12:13], v[0:1], v[12:13] op_sel_hi:[0,1]
	v_pk_mul_f32 v[14:15], v[0:1], v[14:15] op_sel_hi:[0,1]
	v_lshl_add_u32 v16, v9, 8, v76
	v_pk_mul_f32 v[10:11], v[0:1], v[10:11] op_sel_hi:[0,1]
	s_delay_alu instid0(VALU_DEP_2) | instskip(SKIP_1) | instid1(VALU_DEP_1)
	v_lshl_add_u64 v[20:21], v[16:17], 2, s[20:21]
	v_add_nc_u32_e32 v16, 0x80, v16
	v_lshl_add_u64 v[22:23], v[16:17], 2, s[20:21]
	v_pk_mul_f32 v[16:17], v[0:1], v[18:19] op_sel_hi:[0,1]
	s_clause 0x1
	global_store_b128 v[20:21], v[10:13], off
	global_store_b128 v[22:23], v[14:17], off
	s_wait_xcnt 0x0
	s_and_saveexec_b32 s4, s2
	s_cbranch_execz .LBB26_22
; %bb.21:
	v_mov_b32_e32 v6, v1
	global_store_b64 v9, v[6:7], s[22:23] scale_offset
.LBB26_22:
	s_wait_xcnt 0x0
	s_or_b32 exec_lo, exec_lo, s4
	v_cmp_gt_i32_e32 vcc_lo, s26, v75
	s_and_b32 exec_lo, exec_lo, vcc_lo
	s_cbranch_execz .LBB26_32
; %bb.23:
	v_cmp_ne_u32_e32 vcc_lo, 1, v8
	v_mov_b32_e32 v0, 1.0
	s_cbranch_vccnz .LBB26_25
; %bb.24:
	v_div_scale_f32 v0, null, v4, v4, 1.0
	s_delay_alu instid0(VALU_DEP_1) | instskip(SKIP_1) | instid1(TRANS32_DEP_1)
	v_rcp_f32_e32 v1, v0
	v_nop
	v_fma_f32 v6, -v0, v1, 1.0
	s_delay_alu instid0(VALU_DEP_1) | instskip(SKIP_1) | instid1(VALU_DEP_1)
	v_fmac_f32_e32 v1, v6, v1
	v_div_scale_f32 v6, vcc_lo, 1.0, v4, 1.0
	v_mul_f32_e32 v7, v6, v1
	s_delay_alu instid0(VALU_DEP_1) | instskip(NEXT) | instid1(VALU_DEP_1)
	v_fma_f32 v9, -v0, v7, v6
	v_fmac_f32_e32 v7, v9, v1
	s_delay_alu instid0(VALU_DEP_1) | instskip(NEXT) | instid1(VALU_DEP_1)
	v_fma_f32 v0, -v0, v7, v6
	v_div_fmas_f32 v0, v0, v1, v7
	s_delay_alu instid0(VALU_DEP_1)
	v_div_fixup_f32 v0, v0, v4, 1.0
.LBB26_25:
	v_dual_add_nc_u32 v1, s1, v74 :: v_dual_mov_b32 v7, 0
	v_dual_lshrrev_b32 v9, 16, v113 :: v_dual_lshrrev_b32 v13, 16, v115
	v_dual_lshrrev_b32 v15, 16, v114 :: v_dual_lshrrev_b32 v17, 16, v112
	s_delay_alu instid0(VALU_DEP_3)
	v_mad_u32 v1, v1, s27, s28
	v_cvt_f32_f16_e32 v10, v113
	v_cvt_f32_f16_e32 v12, v115
	;; [unrolled: 1-line block ×8, first 2 shown]
	v_mad_u32 v1, s0, v1, s33
	s_delay_alu instid0(VALU_DEP_1)
	v_lshl_add_u32 v6, v1, 8, v76
	v_pk_mul_f32 v[10:11], v[0:1], v[10:11] op_sel_hi:[0,1]
	v_pk_mul_f32 v[12:13], v[0:1], v[12:13] op_sel_hi:[0,1]
	;; [unrolled: 1-line block ×4, first 2 shown]
	v_lshl_add_u64 v[18:19], v[6:7], 2, s[20:21]
	v_add_nc_u32_e32 v6, 0x80, v6
	s_delay_alu instid0(VALU_DEP_1)
	v_lshl_add_u64 v[6:7], v[6:7], 2, s[20:21]
	s_clause 0x1
	global_store_b128 v[18:19], v[10:13], off
	global_store_b128 v[6:7], v[14:17], off
	s_wait_xcnt 0x0
	s_and_saveexec_b32 s4, s2
	s_cbranch_execz .LBB26_27
; %bb.26:
	v_dual_mov_b32 v6, v2 :: v_dual_mov_b32 v7, v4
	global_store_b64 v1, v[6:7], s[22:23] scale_offset
.LBB26_27:
	s_wait_xcnt 0x0
	s_or_b32 exec_lo, exec_lo, s4
	v_cmp_gt_i32_e32 vcc_lo, s26, v73
	s_and_b32 exec_lo, exec_lo, vcc_lo
	s_cbranch_execz .LBB26_32
; %bb.28:
	v_cmp_ne_u32_e32 vcc_lo, 1, v8
	v_mov_b32_e32 v0, 1.0
	s_cbranch_vccnz .LBB26_30
; %bb.29:
	v_div_scale_f32 v0, null, v5, v5, 1.0
	s_delay_alu instid0(VALU_DEP_1) | instskip(SKIP_1) | instid1(TRANS32_DEP_1)
	v_rcp_f32_e32 v1, v0
	v_nop
	v_fma_f32 v2, -v0, v1, 1.0
	s_delay_alu instid0(VALU_DEP_1) | instskip(SKIP_1) | instid1(VALU_DEP_1)
	v_fmac_f32_e32 v1, v2, v1
	v_div_scale_f32 v2, vcc_lo, 1.0, v5, 1.0
	v_mul_f32_e32 v4, v2, v1
	s_delay_alu instid0(VALU_DEP_1) | instskip(NEXT) | instid1(VALU_DEP_1)
	v_fma_f32 v6, -v0, v4, v2
	v_fmac_f32_e32 v4, v6, v1
	s_delay_alu instid0(VALU_DEP_1) | instskip(NEXT) | instid1(VALU_DEP_1)
	v_fma_f32 v0, -v0, v4, v2
	v_div_fmas_f32 v0, v0, v1, v4
	s_delay_alu instid0(VALU_DEP_1)
	v_div_fixup_f32 v0, v0, v5, 1.0
.LBB26_30:
	v_dual_add_nc_u32 v1, s1, v72 :: v_dual_mov_b32 v13, 0
	v_dual_lshrrev_b32 v2, 16, v111 :: v_dual_lshrrev_b32 v4, 16, v110
	v_dual_lshrrev_b32 v11, 16, v109 :: v_dual_lshrrev_b32 v15, 16, v108
	s_delay_alu instid0(VALU_DEP_3)
	v_mad_u32 v1, v1, s27, s3
	v_cvt_f32_f16_e32 v6, v111
	v_cvt_f32_f16_e32 v8, v110
	;; [unrolled: 1-line block ×8, first 2 shown]
	v_mad_u32 v1, s0, v1, s33
	s_delay_alu instid0(VALU_DEP_1) | instskip(SKIP_3) | instid1(VALU_DEP_4)
	v_lshl_add_u32 v12, v1, 8, v76
	v_pk_mul_f32 v[6:7], v[0:1], v[6:7] op_sel_hi:[0,1]
	v_pk_mul_f32 v[8:9], v[0:1], v[8:9] op_sel_hi:[0,1]
	;; [unrolled: 1-line block ×3, first 2 shown]
	v_lshl_add_u64 v[16:17], v[12:13], 2, s[20:21]
	v_add_nc_u32_e32 v12, 0x80, v12
	s_delay_alu instid0(VALU_DEP_1)
	v_lshl_add_u64 v[18:19], v[12:13], 2, s[20:21]
	v_pk_mul_f32 v[12:13], v[0:1], v[14:15] op_sel_hi:[0,1]
	s_clause 0x1
	global_store_b128 v[16:17], v[6:9], off
	global_store_b128 v[18:19], v[10:13], off
	s_wait_xcnt 0x0
	s_and_b32 exec_lo, exec_lo, s2
	s_cbranch_execz .LBB26_32
; %bb.31:
	v_mov_b32_e32 v4, v3
	global_store_b64 v1, v[4:5], s[22:23] scale_offset
.LBB26_32:
	s_sendmsg sendmsg(MSG_DEALLOC_VGPRS)
	s_endpgm
	.section	.rodata,"a",@progbits
	.p2align	6, 0x0
	.amdhsa_kernel _ZL15flash_attn_tileILi256ELi256ELi16ELi2ELb0EEvPKcS1_S1_S1_S1_PKiPfP15HIP_vector_typeIfLj2EEffffjfiS5_IjLj3EEiiiiiiiiiiiliiliiiiil
		.amdhsa_group_segment_fixed_size 37888
		.amdhsa_private_segment_fixed_size 0
		.amdhsa_kernarg_size 464
		.amdhsa_user_sgpr_count 2
		.amdhsa_user_sgpr_dispatch_ptr 0
		.amdhsa_user_sgpr_queue_ptr 0
		.amdhsa_user_sgpr_kernarg_segment_ptr 1
		.amdhsa_user_sgpr_dispatch_id 0
		.amdhsa_user_sgpr_kernarg_preload_length 0
		.amdhsa_user_sgpr_kernarg_preload_offset 0
		.amdhsa_user_sgpr_private_segment_size 0
		.amdhsa_wavefront_size32 1
		.amdhsa_uses_dynamic_stack 0
		.amdhsa_enable_private_segment 0
		.amdhsa_system_sgpr_workgroup_id_x 1
		.amdhsa_system_sgpr_workgroup_id_y 1
		.amdhsa_system_sgpr_workgroup_id_z 1
		.amdhsa_system_sgpr_workgroup_info 0
		.amdhsa_system_vgpr_workitem_id 1
		.amdhsa_next_free_vgpr 138
		.amdhsa_next_free_sgpr 45
		.amdhsa_named_barrier_count 0
		.amdhsa_reserve_vcc 1
		.amdhsa_float_round_mode_32 0
		.amdhsa_float_round_mode_16_64 0
		.amdhsa_float_denorm_mode_32 3
		.amdhsa_float_denorm_mode_16_64 3
		.amdhsa_fp16_overflow 0
		.amdhsa_memory_ordered 1
		.amdhsa_forward_progress 1
		.amdhsa_inst_pref_size 187
		.amdhsa_round_robin_scheduling 0
		.amdhsa_exception_fp_ieee_invalid_op 0
		.amdhsa_exception_fp_denorm_src 0
		.amdhsa_exception_fp_ieee_div_zero 0
		.amdhsa_exception_fp_ieee_overflow 0
		.amdhsa_exception_fp_ieee_underflow 0
		.amdhsa_exception_fp_ieee_inexact 0
		.amdhsa_exception_int_div_zero 0
	.end_amdhsa_kernel
	.section	.text._ZL15flash_attn_tileILi256ELi256ELi16ELi2ELb0EEvPKcS1_S1_S1_S1_PKiPfP15HIP_vector_typeIfLj2EEffffjfiS5_IjLj3EEiiiiiiiiiiiliiliiiiil,"axG",@progbits,_ZL15flash_attn_tileILi256ELi256ELi16ELi2ELb0EEvPKcS1_S1_S1_S1_PKiPfP15HIP_vector_typeIfLj2EEffffjfiS5_IjLj3EEiiiiiiiiiiiliiliiiiil,comdat
.Lfunc_end26:
	.size	_ZL15flash_attn_tileILi256ELi256ELi16ELi2ELb0EEvPKcS1_S1_S1_S1_PKiPfP15HIP_vector_typeIfLj2EEffffjfiS5_IjLj3EEiiiiiiiiiiiliiliiiiil, .Lfunc_end26-_ZL15flash_attn_tileILi256ELi256ELi16ELi2ELb0EEvPKcS1_S1_S1_S1_PKiPfP15HIP_vector_typeIfLj2EEffffjfiS5_IjLj3EEiiiiiiiiiiiliiliiiiil
                                        ; -- End function
	.set _ZL15flash_attn_tileILi256ELi256ELi16ELi2ELb0EEvPKcS1_S1_S1_S1_PKiPfP15HIP_vector_typeIfLj2EEffffjfiS5_IjLj3EEiiiiiiiiiiiliiliiiiil.num_vgpr, 138
	.set _ZL15flash_attn_tileILi256ELi256ELi16ELi2ELb0EEvPKcS1_S1_S1_S1_PKiPfP15HIP_vector_typeIfLj2EEffffjfiS5_IjLj3EEiiiiiiiiiiiliiliiiiil.num_agpr, 0
	.set _ZL15flash_attn_tileILi256ELi256ELi16ELi2ELb0EEvPKcS1_S1_S1_S1_PKiPfP15HIP_vector_typeIfLj2EEffffjfiS5_IjLj3EEiiiiiiiiiiiliiliiiiil.numbered_sgpr, 45
	.set _ZL15flash_attn_tileILi256ELi256ELi16ELi2ELb0EEvPKcS1_S1_S1_S1_PKiPfP15HIP_vector_typeIfLj2EEffffjfiS5_IjLj3EEiiiiiiiiiiiliiliiiiil.num_named_barrier, 0
	.set _ZL15flash_attn_tileILi256ELi256ELi16ELi2ELb0EEvPKcS1_S1_S1_S1_PKiPfP15HIP_vector_typeIfLj2EEffffjfiS5_IjLj3EEiiiiiiiiiiiliiliiiiil.private_seg_size, 0
	.set _ZL15flash_attn_tileILi256ELi256ELi16ELi2ELb0EEvPKcS1_S1_S1_S1_PKiPfP15HIP_vector_typeIfLj2EEffffjfiS5_IjLj3EEiiiiiiiiiiiliiliiiiil.uses_vcc, 1
	.set _ZL15flash_attn_tileILi256ELi256ELi16ELi2ELb0EEvPKcS1_S1_S1_S1_PKiPfP15HIP_vector_typeIfLj2EEffffjfiS5_IjLj3EEiiiiiiiiiiiliiliiiiil.uses_flat_scratch, 0
	.set _ZL15flash_attn_tileILi256ELi256ELi16ELi2ELb0EEvPKcS1_S1_S1_S1_PKiPfP15HIP_vector_typeIfLj2EEffffjfiS5_IjLj3EEiiiiiiiiiiiliiliiiiil.has_dyn_sized_stack, 0
	.set _ZL15flash_attn_tileILi256ELi256ELi16ELi2ELb0EEvPKcS1_S1_S1_S1_PKiPfP15HIP_vector_typeIfLj2EEffffjfiS5_IjLj3EEiiiiiiiiiiiliiliiiiil.has_recursion, 0
	.set _ZL15flash_attn_tileILi256ELi256ELi16ELi2ELb0EEvPKcS1_S1_S1_S1_PKiPfP15HIP_vector_typeIfLj2EEffffjfiS5_IjLj3EEiiiiiiiiiiiliiliiiiil.has_indirect_call, 0
	.section	.AMDGPU.csdata,"",@progbits
; Kernel info:
; codeLenInByte = 23868
; TotalNumSgprs: 47
; NumVgprs: 138
; ScratchSize: 0
; MemoryBound: 0
; FloatMode: 240
; IeeeMode: 1
; LDSByteSize: 37888 bytes/workgroup (compile time only)
; SGPRBlocks: 0
; VGPRBlocks: 8
; NumSGPRsForWavesPerEU: 47
; NumVGPRsForWavesPerEU: 138
; NamedBarCnt: 0
; Occupancy: 7
; WaveLimiterHint : 1
; COMPUTE_PGM_RSRC2:SCRATCH_EN: 0
; COMPUTE_PGM_RSRC2:USER_SGPR: 2
; COMPUTE_PGM_RSRC2:TRAP_HANDLER: 0
; COMPUTE_PGM_RSRC2:TGID_X_EN: 1
; COMPUTE_PGM_RSRC2:TGID_Y_EN: 1
; COMPUTE_PGM_RSRC2:TGID_Z_EN: 1
; COMPUTE_PGM_RSRC2:TIDIG_COMP_CNT: 1
	.section	.text._ZL25flash_attn_mask_to_KV_maxILi16EEvPK7__half2Piiii,"axG",@progbits,_ZL25flash_attn_mask_to_KV_maxILi16EEvPK7__half2Piiii,comdat
	.globl	_ZL25flash_attn_mask_to_KV_maxILi16EEvPK7__half2Piiii ; -- Begin function _ZL25flash_attn_mask_to_KV_maxILi16EEvPK7__half2Piiii
	.p2align	8
	.type	_ZL25flash_attn_mask_to_KV_maxILi16EEvPK7__half2Piiii,@function
_ZL25flash_attn_mask_to_KV_maxILi16EEvPK7__half2Piiii: ; @_ZL25flash_attn_mask_to_KV_maxILi16EEvPK7__half2Piiii
; %bb.0:
	s_load_b128 s[4:7], s[0:1], 0x0
	s_mov_b32 s2, exec_lo
	v_cmpx_gt_u32_e32 32, v0
; %bb.1:
	v_dual_mov_b32 v2, 1 :: v_dual_lshlrev_b32 v1, 2, v0
	ds_store_b32 v1, v2
; %bb.2:
	s_or_b32 exec_lo, exec_lo, s2
	s_clause 0x1
	s_load_b96 s[8:10], s[0:1], 0x10
	s_load_b32 s11, s[0:1], 0x20
	s_wait_xcnt 0x0
	s_bfe_u32 s1, ttmp6, 0x4000c
	s_bfe_u32 s2, ttmp6, 0x40010
	s_add_co_i32 s1, s1, 1
	s_add_co_i32 s2, s2, 1
	s_and_b32 s0, ttmp6, 15
	s_bfe_u32 s3, ttmp6, 0x40004
	s_mul_i32 s1, ttmp9, s1
	s_mul_i32 s2, ttmp7, s2
	s_getreg_b32 s12, hwreg(HW_REG_IB_STS2, 6, 4)
	s_add_co_i32 s0, s0, s1
	s_add_co_i32 s3, s3, s2
	s_cmp_eq_u32 s12, 0
	v_dual_lshrrev_b32 v1, 3, v0 :: v_dual_bitop2_b32 v2, 31, v0 bitop3:0x40
	s_cselect_b32 s1, ttmp9, s0
	s_cselect_b32 s12, ttmp7, s3
	s_wait_dscnt 0x0
	s_barrier_signal -1
	s_wait_kmcnt 0x0
	s_mul_i32 s0, s1, s9
	s_mul_i32 s2, s10, s12
	s_lshl_b32 s0, s0, 4
	s_barrier_wait -1
	s_add_co_i32 s2, s2, s0
	v_cmp_eq_u32_e64 s0, 0, v2
	s_ashr_i32 s3, s2, 31
	v_lshlrev_b32_e32 v2, 2, v2
	s_lshl_b64 s[2:3], s[2:3], 2
	s_delay_alu instid0(SALU_CYCLE_1)
	s_add_nc_u64 s[2:3], s[4:5], s[2:3]
	s_lshl_b32 s5, s8, 8
	s_branch .LBB27_4
.LBB27_3:                               ;   in Loop: Header=BB27_4 Depth=1
	s_or_b32 exec_lo, exec_lo, s8
	s_wait_dscnt 0x0
	s_barrier_signal -1
	s_barrier_wait -1
	ds_load_b32 v3, v2
	s_wait_dscnt 0x0
	s_barrier_signal -1
	s_barrier_wait -1
	v_cmp_ne_u32_e32 vcc_lo, 0, v3
	s_cmp_lg_u32 vcc_lo, exec_lo
	s_cselect_b32 s8, -1, 0
	s_delay_alu instid0(SALU_CYCLE_1)
	s_and_b32 vcc_lo, exec_lo, s8
	s_cbranch_vccnz .LBB27_68
.LBB27_4:                               ; =>This Inner Loop Header: Depth=1
	s_mov_b32 s4, s5
	s_addk_co_i32 s5, 0xff00
	s_delay_alu instid0(SALU_CYCLE_1)
	s_cmp_lt_i32 s5, 0
	s_cbranch_scc1 .LBB27_67
; %bb.5:                                ;   in Loop: Header=BB27_4 Depth=1
	s_lshr_b32 s8, s5, 1
	s_delay_alu instid0(SALU_CYCLE_1) | instskip(SKIP_4) | instid1(VALU_DEP_2)
	v_add_nc_u32_e32 v3, s8, v0
	global_load_b32 v4, v3, s[2:3] scale_offset
	s_wait_loadcnt 0x0
	v_lshrrev_b32_e32 v5, 16, v4
	v_cmp_class_f16_e64 s8, v4, 0x204
	v_cmp_class_f16_e64 s10, v5, 0x204
	s_and_b32 s13, s8, s10
	s_mov_b32 s10, 0
	s_and_saveexec_b32 s8, s13
	s_cbranch_execz .LBB27_65
; %bb.6:                                ;   in Loop: Header=BB27_4 Depth=1
	v_add_nc_u32_e32 v3, s9, v3
	s_mov_b32 s13, 0
	global_load_b32 v4, v3, s[2:3] scale_offset
	s_wait_loadcnt 0x0
	v_cmp_class_f16_e64 s14, v4, 0x204
	s_and_saveexec_b32 s10, s14
	s_cbranch_execz .LBB27_64
; %bb.7:                                ;   in Loop: Header=BB27_4 Depth=1
	v_lshrrev_b32_e32 v4, 16, v4
	s_mov_b32 s14, 0
	s_delay_alu instid0(VALU_DEP_1)
	v_cmp_class_f16_e64 s15, v4, 0x204
	s_and_saveexec_b32 s13, s15
	s_cbranch_execz .LBB27_63
; %bb.8:                                ;   in Loop: Header=BB27_4 Depth=1
	v_add_nc_u32_e32 v3, s9, v3
	s_mov_b32 s15, 0
	global_load_b32 v4, v3, s[2:3] scale_offset
	s_wait_loadcnt 0x0
	v_cmp_class_f16_e64 s16, v4, 0x204
	s_and_saveexec_b32 s14, s16
	s_cbranch_execz .LBB27_62
; %bb.9:                                ;   in Loop: Header=BB27_4 Depth=1
	v_lshrrev_b32_e32 v4, 16, v4
	s_mov_b32 s16, 0
	s_delay_alu instid0(VALU_DEP_1)
	v_cmp_class_f16_e64 s17, v4, 0x204
	s_and_saveexec_b32 s15, s17
	s_cbranch_execz .LBB27_61
; %bb.10:                               ;   in Loop: Header=BB27_4 Depth=1
	v_add_nc_u32_e32 v3, s9, v3
	s_mov_b32 s17, 0
	global_load_b32 v4, v3, s[2:3] scale_offset
	s_wait_loadcnt 0x0
	v_cmp_class_f16_e64 s18, v4, 0x204
	s_and_saveexec_b32 s16, s18
	s_cbranch_execz .LBB27_60
; %bb.11:                               ;   in Loop: Header=BB27_4 Depth=1
	v_lshrrev_b32_e32 v4, 16, v4
	s_mov_b32 s18, 0
	s_delay_alu instid0(VALU_DEP_1)
	v_cmp_class_f16_e64 s19, v4, 0x204
	s_and_saveexec_b32 s17, s19
	s_cbranch_execz .LBB27_59
; %bb.12:                               ;   in Loop: Header=BB27_4 Depth=1
	v_add_nc_u32_e32 v3, s9, v3
	s_mov_b32 s19, 0
	global_load_b32 v4, v3, s[2:3] scale_offset
	s_wait_loadcnt 0x0
	v_cmp_class_f16_e64 s20, v4, 0x204
	s_and_saveexec_b32 s18, s20
	s_cbranch_execz .LBB27_58
; %bb.13:                               ;   in Loop: Header=BB27_4 Depth=1
	;; [unrolled: 15-line block ×12, first 2 shown]
	v_lshrrev_b32_e32 v4, 16, v4
	s_mov_b32 s41, 0
	s_delay_alu instid0(VALU_DEP_1)
	v_cmp_class_f16_e64 s42, v4, 0x204
	s_and_saveexec_b32 s40, s42
	s_cbranch_execz .LBB27_37
; %bb.34:                               ;   in Loop: Header=BB27_4 Depth=1
	v_add_nc_u32_e32 v3, s9, v3
	global_load_b32 v3, v3, s[2:3] scale_offset
	s_wait_loadcnt 0x0
	v_cmp_class_f16_e64 s43, v3, 0x204
	s_and_saveexec_b32 s42, s43
; %bb.35:                               ;   in Loop: Header=BB27_4 Depth=1
	v_lshrrev_b32_e32 v3, 16, v3
	s_delay_alu instid0(VALU_DEP_1)
	v_cmp_class_f16_e64 s41, v3, 0x204
	s_and_b32 s41, s41, exec_lo
; %bb.36:                               ;   in Loop: Header=BB27_4 Depth=1
	s_or_b32 exec_lo, exec_lo, s42
	s_delay_alu instid0(SALU_CYCLE_1)
	s_and_b32 s41, s41, exec_lo
.LBB27_37:                              ;   in Loop: Header=BB27_4 Depth=1
	s_or_b32 exec_lo, exec_lo, s40
	s_delay_alu instid0(SALU_CYCLE_1)
	s_and_b32 s40, s41, exec_lo
.LBB27_38:                              ;   in Loop: Header=BB27_4 Depth=1
	s_or_b32 exec_lo, exec_lo, s39
	s_delay_alu instid0(SALU_CYCLE_1)
	s_and_b32 s39, s40, exec_lo
.LBB27_39:                              ;   in Loop: Header=BB27_4 Depth=1
	s_or_b32 exec_lo, exec_lo, s38
	s_delay_alu instid0(SALU_CYCLE_1)
	s_and_b32 s38, s39, exec_lo
.LBB27_40:                              ;   in Loop: Header=BB27_4 Depth=1
	s_or_b32 exec_lo, exec_lo, s37
	s_delay_alu instid0(SALU_CYCLE_1)
	s_and_b32 s37, s38, exec_lo
.LBB27_41:                              ;   in Loop: Header=BB27_4 Depth=1
	s_or_b32 exec_lo, exec_lo, s36
	s_delay_alu instid0(SALU_CYCLE_1)
	s_and_b32 s36, s37, exec_lo
.LBB27_42:                              ;   in Loop: Header=BB27_4 Depth=1
	s_or_b32 exec_lo, exec_lo, s35
	s_delay_alu instid0(SALU_CYCLE_1)
	s_and_b32 s35, s36, exec_lo
.LBB27_43:                              ;   in Loop: Header=BB27_4 Depth=1
	s_or_b32 exec_lo, exec_lo, s34
	s_delay_alu instid0(SALU_CYCLE_1)
	s_and_b32 s34, s35, exec_lo
.LBB27_44:                              ;   in Loop: Header=BB27_4 Depth=1
	s_or_b32 exec_lo, exec_lo, s33
	s_delay_alu instid0(SALU_CYCLE_1)
	s_and_b32 s33, s34, exec_lo
.LBB27_45:                              ;   in Loop: Header=BB27_4 Depth=1
	s_or_b32 exec_lo, exec_lo, s31
	s_delay_alu instid0(SALU_CYCLE_1)
	s_and_b32 s31, s33, exec_lo
.LBB27_46:                              ;   in Loop: Header=BB27_4 Depth=1
	s_or_b32 exec_lo, exec_lo, s30
	s_delay_alu instid0(SALU_CYCLE_1)
	s_and_b32 s30, s31, exec_lo
.LBB27_47:                              ;   in Loop: Header=BB27_4 Depth=1
	s_or_b32 exec_lo, exec_lo, s29
	s_delay_alu instid0(SALU_CYCLE_1)
	s_and_b32 s29, s30, exec_lo
.LBB27_48:                              ;   in Loop: Header=BB27_4 Depth=1
	s_or_b32 exec_lo, exec_lo, s28
	s_delay_alu instid0(SALU_CYCLE_1)
	s_and_b32 s28, s29, exec_lo
.LBB27_49:                              ;   in Loop: Header=BB27_4 Depth=1
	s_or_b32 exec_lo, exec_lo, s27
	s_delay_alu instid0(SALU_CYCLE_1)
	s_and_b32 s27, s28, exec_lo
.LBB27_50:                              ;   in Loop: Header=BB27_4 Depth=1
	s_or_b32 exec_lo, exec_lo, s26
	s_delay_alu instid0(SALU_CYCLE_1)
	s_and_b32 s26, s27, exec_lo
.LBB27_51:                              ;   in Loop: Header=BB27_4 Depth=1
	s_or_b32 exec_lo, exec_lo, s25
	s_delay_alu instid0(SALU_CYCLE_1)
	s_and_b32 s25, s26, exec_lo
.LBB27_52:                              ;   in Loop: Header=BB27_4 Depth=1
	s_or_b32 exec_lo, exec_lo, s24
	s_delay_alu instid0(SALU_CYCLE_1)
	s_and_b32 s24, s25, exec_lo
.LBB27_53:                              ;   in Loop: Header=BB27_4 Depth=1
	s_or_b32 exec_lo, exec_lo, s23
	s_delay_alu instid0(SALU_CYCLE_1)
	s_and_b32 s23, s24, exec_lo
.LBB27_54:                              ;   in Loop: Header=BB27_4 Depth=1
	s_or_b32 exec_lo, exec_lo, s22
	s_delay_alu instid0(SALU_CYCLE_1)
	s_and_b32 s22, s23, exec_lo
.LBB27_55:                              ;   in Loop: Header=BB27_4 Depth=1
	s_or_b32 exec_lo, exec_lo, s21
	s_delay_alu instid0(SALU_CYCLE_1)
	s_and_b32 s21, s22, exec_lo
.LBB27_56:                              ;   in Loop: Header=BB27_4 Depth=1
	s_or_b32 exec_lo, exec_lo, s20
	s_delay_alu instid0(SALU_CYCLE_1)
	s_and_b32 s20, s21, exec_lo
.LBB27_57:                              ;   in Loop: Header=BB27_4 Depth=1
	s_or_b32 exec_lo, exec_lo, s19
	s_delay_alu instid0(SALU_CYCLE_1)
	s_and_b32 s19, s20, exec_lo
.LBB27_58:                              ;   in Loop: Header=BB27_4 Depth=1
	s_or_b32 exec_lo, exec_lo, s18
	s_delay_alu instid0(SALU_CYCLE_1)
	s_and_b32 s18, s19, exec_lo
.LBB27_59:                              ;   in Loop: Header=BB27_4 Depth=1
	s_or_b32 exec_lo, exec_lo, s17
	s_delay_alu instid0(SALU_CYCLE_1)
	s_and_b32 s17, s18, exec_lo
.LBB27_60:                              ;   in Loop: Header=BB27_4 Depth=1
	s_or_b32 exec_lo, exec_lo, s16
	s_delay_alu instid0(SALU_CYCLE_1)
	s_and_b32 s16, s17, exec_lo
.LBB27_61:                              ;   in Loop: Header=BB27_4 Depth=1
	s_or_b32 exec_lo, exec_lo, s15
	s_delay_alu instid0(SALU_CYCLE_1)
	s_and_b32 s15, s16, exec_lo
.LBB27_62:                              ;   in Loop: Header=BB27_4 Depth=1
	s_or_b32 exec_lo, exec_lo, s14
	s_delay_alu instid0(SALU_CYCLE_1)
	s_and_b32 s14, s15, exec_lo
.LBB27_63:                              ;   in Loop: Header=BB27_4 Depth=1
	s_or_b32 exec_lo, exec_lo, s13
	s_delay_alu instid0(SALU_CYCLE_1)
	s_and_b32 s13, s14, exec_lo
.LBB27_64:                              ;   in Loop: Header=BB27_4 Depth=1
	s_or_b32 exec_lo, exec_lo, s10
	s_delay_alu instid0(SALU_CYCLE_1)
	s_and_b32 s10, s13, exec_lo
.LBB27_65:                              ;   in Loop: Header=BB27_4 Depth=1
	s_or_b32 exec_lo, exec_lo, s8
	v_cndmask_b32_e64 v3, 0, 1, s10
	s_mov_b32 s13, exec_lo
	s_delay_alu instid0(VALU_DEP_1)
	v_cmp_ne_u32_e32 vcc_lo, 0, v3
	s_and_saveexec_b32 s8, s0
	s_cbranch_execz .LBB27_3
; %bb.66:                               ;   in Loop: Header=BB27_4 Depth=1
	s_cmp_eq_u32 vcc_lo, s13
	s_cselect_b32 s10, -1, 0
	s_delay_alu instid0(SALU_CYCLE_1)
	v_cndmask_b32_e64 v3, 0, 1, s10
	ds_store_b32 v1, v3
	s_branch .LBB27_3
.LBB27_67:                              ;   in Loop: Header=BB27_4 Depth=1
	s_cbranch_execz .LBB27_4
.LBB27_68:
	s_mov_b32 s0, exec_lo
	v_cmpx_eq_u32_e32 0, v0
	s_cbranch_execz .LBB27_70
; %bb.69:
	s_mul_i32 s0, s11, s12
	v_mov_b32_e32 v1, s4
	s_add_co_i32 s0, s0, s1
	s_delay_alu instid0(SALU_CYCLE_1)
	v_mov_b32_e32 v0, s0
	global_store_b32 v0, v1, s[6:7] scale_offset
.LBB27_70:
	s_endpgm
	.section	.rodata,"a",@progbits
	.p2align	6, 0x0
	.amdhsa_kernel _ZL25flash_attn_mask_to_KV_maxILi16EEvPK7__half2Piiii
		.amdhsa_group_segment_fixed_size 128
		.amdhsa_private_segment_fixed_size 0
		.amdhsa_kernarg_size 288
		.amdhsa_user_sgpr_count 2
		.amdhsa_user_sgpr_dispatch_ptr 0
		.amdhsa_user_sgpr_queue_ptr 0
		.amdhsa_user_sgpr_kernarg_segment_ptr 1
		.amdhsa_user_sgpr_dispatch_id 0
		.amdhsa_user_sgpr_kernarg_preload_length 0
		.amdhsa_user_sgpr_kernarg_preload_offset 0
		.amdhsa_user_sgpr_private_segment_size 0
		.amdhsa_wavefront_size32 1
		.amdhsa_uses_dynamic_stack 0
		.amdhsa_enable_private_segment 0
		.amdhsa_system_sgpr_workgroup_id_x 1
		.amdhsa_system_sgpr_workgroup_id_y 1
		.amdhsa_system_sgpr_workgroup_id_z 0
		.amdhsa_system_sgpr_workgroup_info 0
		.amdhsa_system_vgpr_workitem_id 0
		.amdhsa_next_free_vgpr 6
		.amdhsa_next_free_sgpr 44
		.amdhsa_named_barrier_count 0
		.amdhsa_reserve_vcc 1
		.amdhsa_float_round_mode_32 0
		.amdhsa_float_round_mode_16_64 0
		.amdhsa_float_denorm_mode_32 3
		.amdhsa_float_denorm_mode_16_64 3
		.amdhsa_fp16_overflow 0
		.amdhsa_memory_ordered 1
		.amdhsa_forward_progress 1
		.amdhsa_inst_pref_size 16
		.amdhsa_round_robin_scheduling 0
		.amdhsa_exception_fp_ieee_invalid_op 0
		.amdhsa_exception_fp_denorm_src 0
		.amdhsa_exception_fp_ieee_div_zero 0
		.amdhsa_exception_fp_ieee_overflow 0
		.amdhsa_exception_fp_ieee_underflow 0
		.amdhsa_exception_fp_ieee_inexact 0
		.amdhsa_exception_int_div_zero 0
	.end_amdhsa_kernel
	.section	.text._ZL25flash_attn_mask_to_KV_maxILi16EEvPK7__half2Piiii,"axG",@progbits,_ZL25flash_attn_mask_to_KV_maxILi16EEvPK7__half2Piiii,comdat
.Lfunc_end27:
	.size	_ZL25flash_attn_mask_to_KV_maxILi16EEvPK7__half2Piiii, .Lfunc_end27-_ZL25flash_attn_mask_to_KV_maxILi16EEvPK7__half2Piiii
                                        ; -- End function
	.set _ZL25flash_attn_mask_to_KV_maxILi16EEvPK7__half2Piiii.num_vgpr, 6
	.set _ZL25flash_attn_mask_to_KV_maxILi16EEvPK7__half2Piiii.num_agpr, 0
	.set _ZL25flash_attn_mask_to_KV_maxILi16EEvPK7__half2Piiii.numbered_sgpr, 44
	.set _ZL25flash_attn_mask_to_KV_maxILi16EEvPK7__half2Piiii.num_named_barrier, 0
	.set _ZL25flash_attn_mask_to_KV_maxILi16EEvPK7__half2Piiii.private_seg_size, 0
	.set _ZL25flash_attn_mask_to_KV_maxILi16EEvPK7__half2Piiii.uses_vcc, 1
	.set _ZL25flash_attn_mask_to_KV_maxILi16EEvPK7__half2Piiii.uses_flat_scratch, 0
	.set _ZL25flash_attn_mask_to_KV_maxILi16EEvPK7__half2Piiii.has_dyn_sized_stack, 0
	.set _ZL25flash_attn_mask_to_KV_maxILi16EEvPK7__half2Piiii.has_recursion, 0
	.set _ZL25flash_attn_mask_to_KV_maxILi16EEvPK7__half2Piiii.has_indirect_call, 0
	.section	.AMDGPU.csdata,"",@progbits
; Kernel info:
; codeLenInByte = 1948
; TotalNumSgprs: 46
; NumVgprs: 6
; ScratchSize: 0
; MemoryBound: 0
; FloatMode: 240
; IeeeMode: 1
; LDSByteSize: 128 bytes/workgroup (compile time only)
; SGPRBlocks: 0
; VGPRBlocks: 0
; NumSGPRsForWavesPerEU: 46
; NumVGPRsForWavesPerEU: 6
; NamedBarCnt: 0
; Occupancy: 16
; WaveLimiterHint : 0
; COMPUTE_PGM_RSRC2:SCRATCH_EN: 0
; COMPUTE_PGM_RSRC2:USER_SGPR: 2
; COMPUTE_PGM_RSRC2:TRAP_HANDLER: 0
; COMPUTE_PGM_RSRC2:TGID_X_EN: 1
; COMPUTE_PGM_RSRC2:TGID_Y_EN: 1
; COMPUTE_PGM_RSRC2:TGID_Z_EN: 0
; COMPUTE_PGM_RSRC2:TIDIG_COMP_CNT: 0
	.section	.text._ZL33flash_attn_stream_k_fixup_uniformILi256ELi16ELi2EEvPfPK15HIP_vector_typeIfLj2EEiiiiiiS1_IjLj3EES5_S5_,"axG",@progbits,_ZL33flash_attn_stream_k_fixup_uniformILi256ELi16ELi2EEvPfPK15HIP_vector_typeIfLj2EEiiiiiiS1_IjLj3EES5_S5_,comdat
	.globl	_ZL33flash_attn_stream_k_fixup_uniformILi256ELi16ELi2EEvPfPK15HIP_vector_typeIfLj2EEiiiiiiS1_IjLj3EES5_S5_ ; -- Begin function _ZL33flash_attn_stream_k_fixup_uniformILi256ELi16ELi2EEvPfPK15HIP_vector_typeIfLj2EEiiiiiiS1_IjLj3EES5_S5_
	.p2align	8
	.type	_ZL33flash_attn_stream_k_fixup_uniformILi256ELi16ELi2EEvPfPK15HIP_vector_typeIfLj2EEiiiiiiS1_IjLj3EES5_S5_,@function
_ZL33flash_attn_stream_k_fixup_uniformILi256ELi16ELi2EEvPfPK15HIP_vector_typeIfLj2EEiiiiiiS1_IjLj3EES5_S5_: ; @_ZL33flash_attn_stream_k_fixup_uniformILi256ELi16ELi2EEvPfPK15HIP_vector_typeIfLj2EEiiiiiiS1_IjLj3EES5_S5_
; %bb.0:
	s_load_b256 s[4:11], s[0:1], 0x1c
	s_bfe_u32 s2, ttmp6, 0x40014
	s_lshr_b32 s3, ttmp7, 16
	s_add_co_i32 s2, s2, 1
	s_bfe_u32 s13, ttmp6, 0x40010
	s_mul_i32 s2, s3, s2
	s_bfe_u32 s12, ttmp6, 0x40008
	s_and_b32 s15, ttmp7, 0xffff
	s_add_co_i32 s13, s13, 1
	s_bfe_u32 s14, ttmp6, 0x4000c
	s_add_co_i32 s12, s12, s2
	s_mul_i32 s2, s15, s13
	s_bfe_u32 s13, ttmp6, 0x40004
	s_add_co_i32 s14, s14, 1
	s_add_co_i32 s13, s13, s2
	s_and_b32 s2, ttmp6, 15
	s_mul_i32 s14, ttmp9, s14
	s_getreg_b32 s20, hwreg(HW_REG_IB_STS2, 6, 4)
	s_add_co_i32 s2, s2, s14
	s_load_b128 s[16:19], s[0:1], 0x3c
	s_cmp_eq_u32 s20, 0
	s_cselect_b32 s14, ttmp9, s2
	s_cselect_b32 s13, s15, s13
	s_wait_kmcnt 0x0
	s_mul_hi_u32 s2, s7, s14
	s_cselect_b32 s12, s3, s12
	s_add_co_i32 s2, s14, s2
	s_delay_alu instid0(SALU_CYCLE_1) | instskip(NEXT) | instid1(SALU_CYCLE_1)
	s_lshr_b32 s7, s2, s8
	s_mul_i32 s2, s7, s9
	s_delay_alu instid0(SALU_CYCLE_1) | instskip(NEXT) | instid1(SALU_CYCLE_1)
	s_sub_co_i32 s8, s14, s2
	s_mul_hi_u32 s2, s8, s10
	s_delay_alu instid0(SALU_CYCLE_1) | instskip(SKIP_2) | instid1(SALU_CYCLE_1)
	s_add_co_i32 s9, s8, s2
	s_load_b64 s[2:3], s[0:1], 0x10
	s_lshr_b32 s15, s9, s11
	s_mul_i32 s9, s15, s16
	s_delay_alu instid0(SALU_CYCLE_1) | instskip(NEXT) | instid1(SALU_CYCLE_1)
	s_sub_co_i32 s8, s8, s9
	s_mul_hi_u32 s9, s8, s17
	s_delay_alu instid0(SALU_CYCLE_1) | instskip(NEXT) | instid1(SALU_CYCLE_1)
	s_add_co_i32 s9, s8, s9
	s_lshr_b32 s9, s9, s18
	s_delay_alu instid0(SALU_CYCLE_1) | instskip(SKIP_2) | instid1(SALU_CYCLE_1)
	s_mul_i32 s10, s9, s19
	s_lshl_b32 s17, s9, 1
	s_sub_co_i32 s16, s8, s10
	s_lshl_b32 s8, s16, 4
	s_delay_alu instid0(SALU_CYCLE_1) | instskip(SKIP_4) | instid1(SALU_CYCLE_1)
	s_add_co_i32 s8, s8, s13
	s_wait_kmcnt 0x0
	s_cmp_lt_i32 s8, s2
	s_cselect_b32 s8, -1, 0
	s_add_co_i32 s9, s17, s12
	s_cmp_lt_i32 s9, s5
	s_cselect_b32 s9, -1, 0
	s_delay_alu instid0(SALU_CYCLE_1) | instskip(NEXT) | instid1(SALU_CYCLE_1)
	s_and_b32 s8, s8, s9
	s_and_not1_b32 vcc_lo, exec_lo, s8
	s_cbranch_vccnz .LBB28_6
; %bb.1:
	s_mul_i32 s2, s7, s2
	s_load_b128 s[8:11], s[0:1], 0x0
	s_wait_xcnt 0x0
	s_add_co_i32 s0, s2, s13
	s_mul_i32 s15, s15, s5
	s_mul_i32 s0, s0, s3
	s_mul_i32 s1, s3, s16
	s_add_co_i32 s0, s0, s12
	s_lshl_b32 s1, s1, 12
	s_add_co_i32 s0, s0, s15
	s_mul_i32 s7, s6, s14
	s_add_co_i32 s0, s0, s17
	s_lshl_b32 s5, s13, 1
	s_lshl_b32 s0, s0, 8
	s_add_co_i32 s15, s7, s6
	s_add_co_i32 s1, s1, s0
	;; [unrolled: 1-line block ×3, first 2 shown]
	v_or_b32_e32 v4, s1, v0
	s_lshl_b32 s1, s15, 5
	s_add_co_i32 s2, s15, -2
	s_add_co_i32 s0, s0, s1
	s_delay_alu instid0(SALU_CYCLE_1)
	s_sub_co_i32 s0, s0, 32
	s_wait_kmcnt 0x0
	global_load_b32 v3, v4, s[8:9] scale_offset
	s_ashr_i32 s1, s0, 31
	v_ashrrev_i32_e32 v5, 31, v4
	s_lshl_b64 s[0:1], s[0:1], 3
	s_cmp_lt_i32 s2, s7
	s_add_nc_u64 s[0:1], s[10:11], s[0:1]
	s_load_b32 s16, s[0:1], 0x4
	s_cbranch_scc1 .LBB28_4
; %bb.2:
	s_wait_xcnt 0x0
	s_load_b32 s0, s[0:1], 0x0
	s_add_co_i32 s14, s14, 1
	s_lshl_b32 s3, s13, 9
	s_wait_xcnt 0x0
	s_mul_i32 s1, s6, s14
	s_lshl_b32 s6, s12, 8
	s_lshl_b32 s13, s1, 13
	s_add_co_i32 s6, s6, s3
	s_lshl_b32 s1, s1, 5
	s_add_co_i32 s6, s6, s13
	s_lshl_b32 s2, s4, 7
	s_wait_kmcnt 0x0
	v_dual_mov_b32 v2, s16 :: v_dual_bitop2_b32 v0, s6, v0 bitop3:0x54
	s_add_co_i32 s1, s12, s1
	s_lshl_b32 s4, s4, 5
	s_ashr_i32 s3, s2, 31
	s_add_co_i32 s1, s1, s4
	v_add_nc_u32_e32 v0, 0xffffc000, v0
	s_lshl_b64 s[2:3], s[2:3], 2
	s_add_co_i32 s4, s1, s5
	s_add_nc_u64 s[2:3], s[10:11], s[2:3]
	s_add_co_i32 s1, s15, -1
	s_sub_co_i32 s4, s4, 64
.LBB28_3:                               ; =>This Inner Loop Header: Depth=1
	global_load_b32 v7, v0, s[2:3] scale_offset
	s_ashr_i32 s5, s4, 31
	v_max_num_f32_e64 v1, s0, s0
	s_lshl_b64 s[12:13], s[4:5], 3
	s_delay_alu instid0(SALU_CYCLE_1) | instskip(SKIP_1) | instid1(VALU_DEP_1)
	s_add_nc_u64 s[12:13], s[10:11], s[12:13]
	s_load_b64 s[12:13], s[12:13], 0x0
	v_readfirstlane_b32 s5, v1
	v_add_nc_u32_e32 v0, 0xffffe000, v0
	s_wait_kmcnt 0x0
	v_max_num_f32_e64 v1, s12, s12
	s_delay_alu instid0(VALU_DEP_1) | instskip(SKIP_1) | instid1(SALU_CYCLE_3)
	v_readfirstlane_b32 s6, v1
	s_max_num_f32 s5, s5, s6
	s_sub_f32 s0, s0, s5
	s_sub_f32 s6, s12, s5
	s_delay_alu instid0(SALU_CYCLE_2) | instskip(NEXT) | instid1(SALU_CYCLE_2)
	s_mul_f32 s12, s0, 0x3fb8aa3b
	s_mul_f32 s14, s6, 0x3fb8aa3b
	s_delay_alu instid0(SALU_CYCLE_2)
	s_xor_b32 s15, s12, 0x80000000
	s_rndne_f32 s16, s12
	s_fmamk_f32 s15, s0, 0x3fb8aa3b, s15
	s_cmp_nlt_f32 s0, 0xc2ce8ed0
	s_rndne_f32 s17, s14
	s_sub_f32 s12, s12, s16
	s_fmamk_f32 s15, s0, 0x32a5705f, s15
	s_cselect_b32 vcc_lo, -1, 0
	s_cmp_ngt_f32 s0, 0x42b17218
	s_delay_alu instid0(SALU_CYCLE_1) | instskip(SKIP_2) | instid1(SALU_CYCLE_1)
	s_add_f32 s12, s12, s15
	s_cvt_i32_f32 s15, s16
	s_sub_f32 s16, s14, s17
	v_s_exp_f32 s12, s12
	v_nop
	s_delay_alu instid0(TRANS32_DEP_1) | instskip(SKIP_1) | instid1(VALU_DEP_1)
	v_ldexp_f32 v1, s12, s15
	s_cvt_i32_f32 s12, s17
	v_cndmask_b32_e32 v1, 0, v1, vcc_lo
	s_cselect_b32 vcc_lo, -1, 0
	s_cmp_ge_f32 s0, 0xc1a00000
	s_delay_alu instid0(VALU_DEP_1)
	v_cndmask_b32_e32 v1, 0x7f800000, v1, vcc_lo
	s_cselect_b32 vcc_lo, -1, 0
	s_xor_b32 s0, s14, 0x80000000
	s_cmp_nlt_f32 s6, 0xc2ce8ed0
	s_fmamk_f32 s0, s6, 0x3fb8aa3b, s0
	v_cndmask_b32_e32 v10, 0, v1, vcc_lo
	s_delay_alu instid0(SALU_CYCLE_2) | instskip(NEXT) | instid1(SALU_CYCLE_3)
	s_fmamk_f32 s0, s6, 0x32a5705f, s0
	s_add_f32 s0, s16, s0
	s_delay_alu instid0(SALU_CYCLE_3) | instskip(SKIP_1) | instid1(TRANS32_DEP_1)
	v_s_exp_f32 s0, s0
	v_nop
	v_ldexp_f32 v6, s0, s12
	s_cselect_b32 s0, -1, 0
	s_cmp_ngt_f32 s6, 0x42b17218
	s_delay_alu instid0(VALU_DEP_1) | instskip(SKIP_2) | instid1(VALU_DEP_1)
	v_cndmask_b32_e64 v6, 0, v6, s0
	s_cselect_b32 s0, -1, 0
	s_cmp_ge_f32 s6, 0xc1a00000
	v_cndmask_b32_e64 v8, 0x7f800000, v6, s0
	s_cselect_b32 s0, -1, 0
	v_mov_b32_e32 v6, s13
	s_add_co_i32 s1, s1, -1
	s_sub_co_i32 s4, s4, 32
	v_cndmask_b32_e64 v8, 0, v8, s0
	s_cmp_le_i32 s1, s7
	s_mov_b32 s0, s5
	s_wait_loadcnt 0x0
	s_delay_alu instid0(VALU_DEP_1) | instskip(NEXT) | instid1(VALU_DEP_1)
	v_pk_mul_f32 v[6:7], v[6:7], v[8:9] op_sel_hi:[1,0]
	v_pk_fma_f32 v[2:3], v[2:3], v[10:11], v[6:7] op_sel_hi:[1,0,1]
	s_cbranch_scc0 .LBB28_3
	s_branch .LBB28_5
.LBB28_4:
	s_wait_kmcnt 0x0
	v_mov_b32_e32 v2, s16
.LBB28_5:
	v_lshl_add_u64 v[0:1], v[4:5], 2, s[8:9]
	s_wait_loadcnt 0x0
	s_delay_alu instid0(VALU_DEP_2) | instskip(NEXT) | instid1(VALU_DEP_1)
	v_div_scale_f32 v4, null, v2, v2, v3
	v_rcp_f32_e32 v5, v4
	v_nop
	s_delay_alu instid0(TRANS32_DEP_1) | instskip(NEXT) | instid1(VALU_DEP_1)
	v_fma_f32 v6, -v4, v5, 1.0
	v_fmac_f32_e32 v5, v6, v5
	v_div_scale_f32 v6, vcc_lo, v3, v2, v3
	s_delay_alu instid0(VALU_DEP_1) | instskip(NEXT) | instid1(VALU_DEP_1)
	v_mul_f32_e32 v7, v6, v5
	v_fma_f32 v8, -v4, v7, v6
	s_delay_alu instid0(VALU_DEP_1) | instskip(NEXT) | instid1(VALU_DEP_1)
	v_fmac_f32_e32 v7, v8, v5
	v_fma_f32 v4, -v4, v7, v6
	s_delay_alu instid0(VALU_DEP_1) | instskip(NEXT) | instid1(VALU_DEP_1)
	v_div_fmas_f32 v4, v4, v5, v7
	v_div_fixup_f32 v2, v4, v2, v3
	global_store_b32 v[0:1], v2, off
.LBB28_6:
	s_endpgm
	.section	.rodata,"a",@progbits
	.p2align	6, 0x0
	.amdhsa_kernel _ZL33flash_attn_stream_k_fixup_uniformILi256ELi16ELi2EEvPfPK15HIP_vector_typeIfLj2EEiiiiiiS1_IjLj3EES5_S5_
		.amdhsa_group_segment_fixed_size 0
		.amdhsa_private_segment_fixed_size 0
		.amdhsa_kernarg_size 76
		.amdhsa_user_sgpr_count 2
		.amdhsa_user_sgpr_dispatch_ptr 0
		.amdhsa_user_sgpr_queue_ptr 0
		.amdhsa_user_sgpr_kernarg_segment_ptr 1
		.amdhsa_user_sgpr_dispatch_id 0
		.amdhsa_user_sgpr_kernarg_preload_length 0
		.amdhsa_user_sgpr_kernarg_preload_offset 0
		.amdhsa_user_sgpr_private_segment_size 0
		.amdhsa_wavefront_size32 1
		.amdhsa_uses_dynamic_stack 0
		.amdhsa_enable_private_segment 0
		.amdhsa_system_sgpr_workgroup_id_x 1
		.amdhsa_system_sgpr_workgroup_id_y 1
		.amdhsa_system_sgpr_workgroup_id_z 1
		.amdhsa_system_sgpr_workgroup_info 0
		.amdhsa_system_vgpr_workitem_id 0
		.amdhsa_next_free_vgpr 12
		.amdhsa_next_free_sgpr 21
		.amdhsa_named_barrier_count 0
		.amdhsa_reserve_vcc 1
		.amdhsa_float_round_mode_32 0
		.amdhsa_float_round_mode_16_64 0
		.amdhsa_float_denorm_mode_32 3
		.amdhsa_float_denorm_mode_16_64 3
		.amdhsa_fp16_overflow 0
		.amdhsa_memory_ordered 1
		.amdhsa_forward_progress 1
		.amdhsa_inst_pref_size 9
		.amdhsa_round_robin_scheduling 0
		.amdhsa_exception_fp_ieee_invalid_op 0
		.amdhsa_exception_fp_denorm_src 0
		.amdhsa_exception_fp_ieee_div_zero 0
		.amdhsa_exception_fp_ieee_overflow 0
		.amdhsa_exception_fp_ieee_underflow 0
		.amdhsa_exception_fp_ieee_inexact 0
		.amdhsa_exception_int_div_zero 0
	.end_amdhsa_kernel
	.section	.text._ZL33flash_attn_stream_k_fixup_uniformILi256ELi16ELi2EEvPfPK15HIP_vector_typeIfLj2EEiiiiiiS1_IjLj3EES5_S5_,"axG",@progbits,_ZL33flash_attn_stream_k_fixup_uniformILi256ELi16ELi2EEvPfPK15HIP_vector_typeIfLj2EEiiiiiiS1_IjLj3EES5_S5_,comdat
.Lfunc_end28:
	.size	_ZL33flash_attn_stream_k_fixup_uniformILi256ELi16ELi2EEvPfPK15HIP_vector_typeIfLj2EEiiiiiiS1_IjLj3EES5_S5_, .Lfunc_end28-_ZL33flash_attn_stream_k_fixup_uniformILi256ELi16ELi2EEvPfPK15HIP_vector_typeIfLj2EEiiiiiiS1_IjLj3EES5_S5_
                                        ; -- End function
	.set _ZL33flash_attn_stream_k_fixup_uniformILi256ELi16ELi2EEvPfPK15HIP_vector_typeIfLj2EEiiiiiiS1_IjLj3EES5_S5_.num_vgpr, 12
	.set _ZL33flash_attn_stream_k_fixup_uniformILi256ELi16ELi2EEvPfPK15HIP_vector_typeIfLj2EEiiiiiiS1_IjLj3EES5_S5_.num_agpr, 0
	.set _ZL33flash_attn_stream_k_fixup_uniformILi256ELi16ELi2EEvPfPK15HIP_vector_typeIfLj2EEiiiiiiS1_IjLj3EES5_S5_.numbered_sgpr, 21
	.set _ZL33flash_attn_stream_k_fixup_uniformILi256ELi16ELi2EEvPfPK15HIP_vector_typeIfLj2EEiiiiiiS1_IjLj3EES5_S5_.num_named_barrier, 0
	.set _ZL33flash_attn_stream_k_fixup_uniformILi256ELi16ELi2EEvPfPK15HIP_vector_typeIfLj2EEiiiiiiS1_IjLj3EES5_S5_.private_seg_size, 0
	.set _ZL33flash_attn_stream_k_fixup_uniformILi256ELi16ELi2EEvPfPK15HIP_vector_typeIfLj2EEiiiiiiS1_IjLj3EES5_S5_.uses_vcc, 1
	.set _ZL33flash_attn_stream_k_fixup_uniformILi256ELi16ELi2EEvPfPK15HIP_vector_typeIfLj2EEiiiiiiS1_IjLj3EES5_S5_.uses_flat_scratch, 0
	.set _ZL33flash_attn_stream_k_fixup_uniformILi256ELi16ELi2EEvPfPK15HIP_vector_typeIfLj2EEiiiiiiS1_IjLj3EES5_S5_.has_dyn_sized_stack, 0
	.set _ZL33flash_attn_stream_k_fixup_uniformILi256ELi16ELi2EEvPfPK15HIP_vector_typeIfLj2EEiiiiiiS1_IjLj3EES5_S5_.has_recursion, 0
	.set _ZL33flash_attn_stream_k_fixup_uniformILi256ELi16ELi2EEvPfPK15HIP_vector_typeIfLj2EEiiiiiiS1_IjLj3EES5_S5_.has_indirect_call, 0
	.section	.AMDGPU.csdata,"",@progbits
; Kernel info:
; codeLenInByte = 1092
; TotalNumSgprs: 23
; NumVgprs: 12
; ScratchSize: 0
; MemoryBound: 0
; FloatMode: 240
; IeeeMode: 1
; LDSByteSize: 0 bytes/workgroup (compile time only)
; SGPRBlocks: 0
; VGPRBlocks: 0
; NumSGPRsForWavesPerEU: 23
; NumVGPRsForWavesPerEU: 12
; NamedBarCnt: 0
; Occupancy: 16
; WaveLimiterHint : 0
; COMPUTE_PGM_RSRC2:SCRATCH_EN: 0
; COMPUTE_PGM_RSRC2:USER_SGPR: 2
; COMPUTE_PGM_RSRC2:TRAP_HANDLER: 0
; COMPUTE_PGM_RSRC2:TGID_X_EN: 1
; COMPUTE_PGM_RSRC2:TGID_Y_EN: 1
; COMPUTE_PGM_RSRC2:TGID_Z_EN: 1
; COMPUTE_PGM_RSRC2:TIDIG_COMP_CNT: 0
	.section	.text._ZL33flash_attn_stream_k_fixup_generalILi256ELi16ELi2EEvPfPK15HIP_vector_typeIfLj2EEiiiiS1_IjLj3EES5_S5_S5_,"axG",@progbits,_ZL33flash_attn_stream_k_fixup_generalILi256ELi16ELi2EEvPfPK15HIP_vector_typeIfLj2EEiiiiS1_IjLj3EES5_S5_S5_,comdat
	.globl	_ZL33flash_attn_stream_k_fixup_generalILi256ELi16ELi2EEvPfPK15HIP_vector_typeIfLj2EEiiiiS1_IjLj3EES5_S5_S5_ ; -- Begin function _ZL33flash_attn_stream_k_fixup_generalILi256ELi16ELi2EEvPfPK15HIP_vector_typeIfLj2EEiiiiS1_IjLj3EES5_S5_S5_
	.p2align	8
	.type	_ZL33flash_attn_stream_k_fixup_generalILi256ELi16ELi2EEvPfPK15HIP_vector_typeIfLj2EEiiiiS1_IjLj3EES5_S5_S5_,@function
_ZL33flash_attn_stream_k_fixup_generalILi256ELi16ELi2EEvPfPK15HIP_vector_typeIfLj2EEiiiiS1_IjLj3EES5_S5_S5_: ; @_ZL33flash_attn_stream_k_fixup_generalILi256ELi16ELi2EEvPfPK15HIP_vector_typeIfLj2EEiiiiS1_IjLj3EES5_S5_S5_
; %bb.0:
	s_clause 0x1
	s_load_b128 s[4:7], s[0:1], 0x10
	s_load_b32 s16, s[0:1], 0x50
	s_bfe_u32 s2, ttmp6, 0x4000c
	s_and_b32 s3, ttmp6, 15
	s_add_co_i32 s2, s2, 1
	s_getreg_b32 s15, hwreg(HW_REG_IB_STS2, 6, 4)
	s_mul_i32 s2, ttmp9, s2
	s_mov_b32 s17, 0
	s_add_co_i32 s3, s3, s2
	s_cmp_eq_u32 s15, 0
	s_cselect_b32 s2, ttmp9, s3
	s_delay_alu instid0(SALU_CYCLE_1) | instskip(SKIP_3) | instid1(SALU_CYCLE_1)
	s_ashr_i32 s3, s2, 31
	s_wait_kmcnt 0x0
	s_ashr_i32 s19, s7, 31
	s_mov_b32 s18, s7
	s_mul_u64 s[8:9], s[18:19], s[2:3]
	s_delay_alu instid0(SALU_CYCLE_1) | instskip(NEXT) | instid1(SALU_CYCLE_1)
	s_and_b64 s[10:11], s[8:9], 0xffffffff00000000
	s_cmp_lg_u64 s[10:11], 0
	s_cbranch_scc0 .LBB29_21
; %bb.1:
	s_add_nc_u64 s[10:11], s[16:17], 0
	s_mov_b32 s23, s17
	s_xor_b64 s[10:11], s[10:11], 0
	s_mov_b32 s27, s17
	s_cvt_f32_u32 s3, s10
	s_cvt_f32_u32 s7, s11
	s_sub_nc_u64 s[20:21], 0, s[10:11]
	s_delay_alu instid0(SALU_CYCLE_2) | instskip(NEXT) | instid1(SALU_CYCLE_3)
	s_fmamk_f32 s3, s7, 0x4f800000, s3
	v_s_rcp_f32 s3, s3
	s_delay_alu instid0(TRANS32_DEP_1) | instskip(NEXT) | instid1(SALU_CYCLE_3)
	s_mul_f32 s3, s3, 0x5f7ffffc
	s_mul_f32 s7, s3, 0x2f800000
	s_delay_alu instid0(SALU_CYCLE_3) | instskip(NEXT) | instid1(SALU_CYCLE_3)
	s_trunc_f32 s7, s7
	s_fmamk_f32 s3, s7, 0xcf800000, s3
	s_cvt_u32_f32 s13, s7
	s_delay_alu instid0(SALU_CYCLE_2) | instskip(NEXT) | instid1(SALU_CYCLE_3)
	s_cvt_u32_f32 s12, s3
	s_mul_u64 s[24:25], s[20:21], s[12:13]
	s_delay_alu instid0(SALU_CYCLE_1)
	s_mul_hi_u32 s29, s12, s25
	s_mul_i32 s28, s12, s25
	s_mul_hi_u32 s22, s12, s24
	s_mul_i32 s7, s13, s24
	s_add_nc_u64 s[22:23], s[22:23], s[28:29]
	s_mul_hi_u32 s3, s13, s24
	s_mul_hi_u32 s14, s13, s25
	s_add_co_u32 s7, s22, s7
	s_add_co_ci_u32 s26, s23, s3
	s_mul_i32 s24, s13, s25
	s_add_co_ci_u32 s25, s14, 0
	s_delay_alu instid0(SALU_CYCLE_1) | instskip(SKIP_3) | instid1(SALU_CYCLE_1)
	s_add_nc_u64 s[22:23], s[26:27], s[24:25]
	s_mov_b32 s25, s17
	s_add_co_u32 s12, s12, s22
	s_cselect_b32 s3, -1, 0
	s_cmp_lg_u32 s3, 0
	s_add_co_ci_u32 s13, s13, s23
	s_mov_b32 s23, s17
	s_mul_u64 s[20:21], s[20:21], s[12:13]
	s_delay_alu instid0(SALU_CYCLE_1)
	s_mul_hi_u32 s27, s12, s21
	s_mul_i32 s26, s12, s21
	s_mul_hi_u32 s22, s12, s20
	s_mul_i32 s7, s13, s20
	s_add_nc_u64 s[22:23], s[22:23], s[26:27]
	s_mul_hi_u32 s3, s13, s20
	s_mul_hi_u32 s14, s13, s21
	s_add_co_u32 s7, s22, s7
	s_add_co_ci_u32 s24, s23, s3
	s_mul_i32 s20, s13, s21
	s_add_co_ci_u32 s21, s14, 0
	s_mov_b32 s23, s17
	s_add_nc_u64 s[20:21], s[24:25], s[20:21]
	s_delay_alu instid0(SALU_CYCLE_1) | instskip(SKIP_1) | instid1(SALU_CYCLE_1)
	s_add_co_u32 s3, s12, s20
	s_cselect_b32 s7, -1, 0
	s_cmp_lg_u32 s7, 0
	s_add_co_ci_u32 s7, s13, s21
	s_ashr_i32 s12, s9, 31
	s_delay_alu instid0(SALU_CYCLE_1) | instskip(NEXT) | instid1(SALU_CYCLE_1)
	s_mov_b32 s13, s12
	s_add_nc_u64 s[20:21], s[8:9], s[12:13]
	s_delay_alu instid0(SALU_CYCLE_1) | instskip(NEXT) | instid1(SALU_CYCLE_1)
	s_xor_b64 s[20:21], s[20:21], s[12:13]
	s_mul_hi_u32 s27, s20, s7
	s_mul_i32 s26, s20, s7
	s_mul_hi_u32 s22, s20, s3
	s_mul_hi_u32 s14, s21, s3
	s_mul_i32 s3, s21, s3
	s_add_nc_u64 s[22:23], s[22:23], s[26:27]
	s_mul_hi_u32 s9, s21, s7
	s_add_co_u32 s3, s22, s3
	s_add_co_ci_u32 s24, s23, s14
	s_mul_i32 s26, s21, s7
	s_add_co_ci_u32 s27, s9, 0
	s_delay_alu instid0(SALU_CYCLE_1) | instskip(NEXT) | instid1(SALU_CYCLE_1)
	s_add_nc_u64 s[22:23], s[24:25], s[26:27]
	s_and_b64 s[24:25], s[22:23], 0xffffffff00000000
	s_delay_alu instid0(SALU_CYCLE_1) | instskip(NEXT) | instid1(SALU_CYCLE_1)
	s_or_b32 s24, s24, s22
	s_mul_u64 s[22:23], s[10:11], s[24:25]
	s_add_nc_u64 s[26:27], s[24:25], 1
	s_sub_co_u32 s3, s20, s22
	s_cselect_b32 s7, -1, 0
	s_sub_co_i32 s9, s21, s23
	s_cmp_lg_u32 s7, 0
	s_add_nc_u64 s[28:29], s[24:25], 2
	s_sub_co_ci_u32 s9, s9, s11
	s_sub_co_u32 s14, s3, s10
	s_cselect_b32 s20, -1, 0
	s_delay_alu instid0(SALU_CYCLE_1) | instskip(SKIP_1) | instid1(SALU_CYCLE_1)
	s_cmp_lg_u32 s20, 0
	s_sub_co_ci_u32 s9, s9, 0
	s_cmp_ge_u32 s9, s11
	s_cselect_b32 s20, -1, 0
	s_cmp_ge_u32 s14, s10
	s_cselect_b32 s14, -1, 0
	s_cmp_eq_u32 s9, s11
	s_cselect_b32 s9, s14, s20
	s_delay_alu instid0(SALU_CYCLE_1) | instskip(SKIP_4) | instid1(SALU_CYCLE_1)
	s_cmp_lg_u32 s9, 0
	s_cselect_b32 s9, s28, s26
	s_cselect_b32 s14, s29, s27
	s_cmp_lg_u32 s7, 0
	s_sub_co_ci_u32 s7, s21, s23
	s_cmp_ge_u32 s7, s11
	s_cselect_b32 s20, -1, 0
	s_cmp_ge_u32 s3, s10
	s_cselect_b32 s3, -1, 0
	s_cmp_eq_u32 s7, s11
	s_cselect_b32 s3, s3, s20
	s_delay_alu instid0(SALU_CYCLE_1) | instskip(SKIP_4) | instid1(SALU_CYCLE_1)
	s_cmp_lg_u32 s3, 0
	s_mov_b32 s3, s17
	s_cselect_b32 s11, s14, s25
	s_cselect_b32 s10, s9, s24
	s_xor_b64 s[12:13], s[12:13], 0
	s_xor_b64 s[10:11], s[10:11], s[12:13]
	s_delay_alu instid0(SALU_CYCLE_1)
	s_sub_nc_u64 s[20:21], s[10:11], s[12:13]
	s_and_not1_b32 vcc_lo, exec_lo, s3
	s_cbranch_vccnz .LBB29_3
.LBB29_2:
	v_cvt_f32_u32_e32 v1, s16
	s_sub_co_i32 s7, 0, s16
	s_mov_b32 s21, 0
	s_delay_alu instid0(VALU_DEP_1) | instskip(SKIP_1) | instid1(TRANS32_DEP_1)
	v_rcp_iflag_f32_e32 v1, v1
	v_nop
	v_mul_f32_e32 v1, 0x4f7ffffe, v1
	s_delay_alu instid0(VALU_DEP_1) | instskip(NEXT) | instid1(VALU_DEP_1)
	v_cvt_u32_f32_e32 v1, v1
	v_readfirstlane_b32 s3, v1
	s_mul_i32 s7, s7, s3
	s_delay_alu instid0(SALU_CYCLE_1) | instskip(NEXT) | instid1(SALU_CYCLE_1)
	s_mul_hi_u32 s7, s3, s7
	s_add_co_i32 s3, s3, s7
	s_delay_alu instid0(SALU_CYCLE_1) | instskip(NEXT) | instid1(SALU_CYCLE_1)
	s_mul_hi_u32 s3, s8, s3
	s_mul_i32 s7, s3, s16
	s_delay_alu instid0(SALU_CYCLE_1)
	s_sub_co_i32 s7, s8, s7
	s_add_co_i32 s8, s3, 1
	s_sub_co_i32 s9, s7, s16
	s_cmp_ge_u32 s7, s16
	s_cselect_b32 s3, s8, s3
	s_cselect_b32 s7, s9, s7
	s_add_co_i32 s8, s3, 1
	s_cmp_ge_u32 s7, s16
	s_cselect_b32 s20, s8, s3
.LBB29_3:
	s_add_co_i32 s8, s2, 1
	s_delay_alu instid0(SALU_CYCLE_1) | instskip(NEXT) | instid1(SALU_CYCLE_1)
	s_ashr_i32 s9, s8, 31
	s_mul_u64 s[8:9], s[18:19], s[8:9]
	s_delay_alu instid0(SALU_CYCLE_1) | instskip(NEXT) | instid1(SALU_CYCLE_1)
	s_and_b64 s[10:11], s[8:9], 0xffffffff00000000
	s_cmp_lg_u64 s[10:11], 0
	s_cbranch_scc0 .LBB29_22
; %bb.4:
	s_add_nc_u64 s[10:11], s[16:17], 0
	s_delay_alu instid0(SALU_CYCLE_1) | instskip(SKIP_4) | instid1(SALU_CYCLE_2)
	s_xor_b64 s[12:13], s[10:11], 0
	s_mov_b32 s11, 0
	s_cvt_f32_u32 s3, s12
	s_cvt_f32_u32 s7, s13
	s_sub_nc_u64 s[24:25], 0, s[12:13]
	s_fmamk_f32 s3, s7, 0x4f800000, s3
	s_delay_alu instid0(SALU_CYCLE_3) | instskip(NEXT) | instid1(TRANS32_DEP_1)
	v_s_rcp_f32 s3, s3
	s_mul_f32 s3, s3, 0x5f7ffffc
	s_delay_alu instid0(SALU_CYCLE_3) | instskip(NEXT) | instid1(SALU_CYCLE_3)
	s_mul_f32 s7, s3, 0x2f800000
	s_trunc_f32 s7, s7
	s_delay_alu instid0(SALU_CYCLE_3) | instskip(SKIP_1) | instid1(SALU_CYCLE_2)
	s_fmamk_f32 s3, s7, 0xcf800000, s3
	s_cvt_u32_f32 s23, s7
	s_cvt_u32_f32 s22, s3
	s_delay_alu instid0(SALU_CYCLE_3) | instskip(NEXT) | instid1(SALU_CYCLE_1)
	s_mul_u64 s[26:27], s[24:25], s[22:23]
	s_mul_hi_u32 s29, s22, s27
	s_mul_i32 s28, s22, s27
	s_mul_hi_u32 s10, s22, s26
	s_mul_i32 s7, s23, s26
	s_add_nc_u64 s[28:29], s[10:11], s[28:29]
	s_mul_hi_u32 s3, s23, s26
	s_mul_hi_u32 s14, s23, s27
	s_add_co_u32 s7, s28, s7
	s_add_co_ci_u32 s10, s29, s3
	s_mul_i32 s26, s23, s27
	s_add_co_ci_u32 s27, s14, 0
	s_delay_alu instid0(SALU_CYCLE_1) | instskip(NEXT) | instid1(SALU_CYCLE_1)
	s_add_nc_u64 s[26:27], s[10:11], s[26:27]
	s_add_co_u32 s22, s22, s26
	s_cselect_b32 s3, -1, 0
	s_delay_alu instid0(SALU_CYCLE_1) | instskip(SKIP_1) | instid1(SALU_CYCLE_1)
	s_cmp_lg_u32 s3, 0
	s_add_co_ci_u32 s23, s23, s27
	s_mul_u64 s[24:25], s[24:25], s[22:23]
	s_delay_alu instid0(SALU_CYCLE_1)
	s_mul_hi_u32 s27, s22, s25
	s_mul_i32 s26, s22, s25
	s_mul_hi_u32 s10, s22, s24
	s_mul_i32 s7, s23, s24
	s_add_nc_u64 s[26:27], s[10:11], s[26:27]
	s_mul_hi_u32 s3, s23, s24
	s_mul_hi_u32 s14, s23, s25
	s_add_co_u32 s7, s26, s7
	s_add_co_ci_u32 s10, s27, s3
	s_mul_i32 s24, s23, s25
	s_add_co_ci_u32 s25, s14, 0
	s_delay_alu instid0(SALU_CYCLE_1) | instskip(NEXT) | instid1(SALU_CYCLE_1)
	s_add_nc_u64 s[24:25], s[10:11], s[24:25]
	s_add_co_u32 s3, s22, s24
	s_cselect_b32 s7, -1, 0
	s_delay_alu instid0(SALU_CYCLE_1) | instskip(SKIP_2) | instid1(SALU_CYCLE_1)
	s_cmp_lg_u32 s7, 0
	s_add_co_ci_u32 s7, s23, s25
	s_ashr_i32 s22, s9, 31
	s_mov_b32 s23, s22
	s_delay_alu instid0(SALU_CYCLE_1) | instskip(NEXT) | instid1(SALU_CYCLE_1)
	s_add_nc_u64 s[24:25], s[8:9], s[22:23]
	s_xor_b64 s[24:25], s[24:25], s[22:23]
	s_delay_alu instid0(SALU_CYCLE_1)
	s_mul_hi_u32 s27, s24, s7
	s_mul_i32 s26, s24, s7
	s_mul_hi_u32 s10, s24, s3
	s_mul_hi_u32 s14, s25, s3
	s_mul_i32 s3, s25, s3
	s_add_nc_u64 s[26:27], s[10:11], s[26:27]
	s_mul_hi_u32 s9, s25, s7
	s_add_co_u32 s3, s26, s3
	s_add_co_ci_u32 s10, s27, s14
	s_mul_i32 s28, s25, s7
	s_add_co_ci_u32 s29, s9, 0
	s_delay_alu instid0(SALU_CYCLE_1) | instskip(NEXT) | instid1(SALU_CYCLE_1)
	s_add_nc_u64 s[26:27], s[10:11], s[28:29]
	s_and_b64 s[28:29], s[26:27], 0xffffffff00000000
	s_delay_alu instid0(SALU_CYCLE_1) | instskip(NEXT) | instid1(SALU_CYCLE_1)
	s_or_b32 s28, s28, s26
	s_mul_u64 s[26:27], s[12:13], s[28:29]
	s_add_nc_u64 s[30:31], s[28:29], 1
	s_sub_co_u32 s3, s24, s26
	s_cselect_b32 s7, -1, 0
	s_sub_co_i32 s9, s25, s27
	s_cmp_lg_u32 s7, 0
	s_add_nc_u64 s[34:35], s[28:29], 2
	s_sub_co_ci_u32 s9, s9, s13
	s_sub_co_u32 s10, s3, s12
	s_cselect_b32 s14, -1, 0
	s_delay_alu instid0(SALU_CYCLE_1) | instskip(SKIP_1) | instid1(SALU_CYCLE_1)
	s_cmp_lg_u32 s14, 0
	s_sub_co_ci_u32 s9, s9, 0
	s_cmp_ge_u32 s9, s13
	s_cselect_b32 s14, -1, 0
	s_cmp_ge_u32 s10, s12
	s_cselect_b32 s10, -1, 0
	s_cmp_eq_u32 s9, s13
	s_cselect_b32 s9, s10, s14
	s_delay_alu instid0(SALU_CYCLE_1) | instskip(SKIP_4) | instid1(SALU_CYCLE_1)
	s_cmp_lg_u32 s9, 0
	s_cselect_b32 s9, s34, s30
	s_cselect_b32 s10, s35, s31
	s_cmp_lg_u32 s7, 0
	s_sub_co_ci_u32 s7, s25, s27
	s_cmp_ge_u32 s7, s13
	s_cselect_b32 s14, -1, 0
	s_cmp_ge_u32 s3, s12
	s_cselect_b32 s3, -1, 0
	s_cmp_eq_u32 s7, s13
	s_cselect_b32 s3, s3, s14
	s_delay_alu instid0(SALU_CYCLE_1) | instskip(SKIP_3) | instid1(SALU_CYCLE_1)
	s_cmp_lg_u32 s3, 0
	s_cselect_b32 s13, s10, s29
	s_cselect_b32 s12, s9, s28
	s_xor_b64 s[22:23], s[22:23], 0
	s_xor_b64 s[12:13], s[12:13], s[22:23]
	s_delay_alu instid0(SALU_CYCLE_1)
	s_sub_nc_u64 s[24:25], s[12:13], s[22:23]
	s_load_b96 s[12:14], s[0:1], 0x44
	s_cbranch_execnz .LBB29_6
.LBB29_5:
	v_cvt_f32_u32_e32 v1, s16
	s_sub_co_i32 s7, 0, s16
	s_delay_alu instid0(VALU_DEP_1) | instskip(SKIP_1) | instid1(TRANS32_DEP_1)
	v_rcp_iflag_f32_e32 v1, v1
	v_nop
	v_mul_f32_e32 v1, 0x4f7ffffe, v1
	s_delay_alu instid0(VALU_DEP_1) | instskip(NEXT) | instid1(VALU_DEP_1)
	v_cvt_u32_f32_e32 v1, v1
	v_readfirstlane_b32 s3, v1
	s_mul_i32 s7, s7, s3
	s_delay_alu instid0(SALU_CYCLE_1) | instskip(NEXT) | instid1(SALU_CYCLE_1)
	s_mul_hi_u32 s7, s3, s7
	s_add_co_i32 s3, s3, s7
	s_delay_alu instid0(SALU_CYCLE_1) | instskip(NEXT) | instid1(SALU_CYCLE_1)
	s_mul_hi_u32 s3, s8, s3
	s_mul_i32 s7, s3, s16
	s_delay_alu instid0(SALU_CYCLE_1)
	s_sub_co_i32 s7, s8, s7
	s_add_co_i32 s8, s3, 1
	s_sub_co_i32 s9, s7, s16
	s_cmp_ge_u32 s7, s16
	s_cselect_b32 s3, s8, s3
	s_cselect_b32 s7, s9, s7
	s_add_co_i32 s8, s3, 1
	s_cmp_ge_u32 s7, s16
	s_cselect_b32 s24, s8, s3
.LBB29_6:
	s_delay_alu instid0(SALU_CYCLE_1)
	s_cmp_eq_u32 s20, s24
	s_mov_b64 s[8:9], 0xffffffff
	s_cselect_b32 s3, -1, 0
	s_and_b64 s[8:9], s[20:21], s[8:9]
	s_mov_b32 s23, 0
	s_wait_kmcnt 0x0
	s_mov_b32 s22, s12
	s_mov_b32 s25, s23
	s_mul_u64 s[10:11], s[8:9], s[22:23]
	s_delay_alu instid0(SALU_CYCLE_1) | instskip(SKIP_2) | instid1(SALU_CYCLE_1)
	s_add_co_i32 s7, s11, s20
	s_mul_u64 s[10:11], s[24:25], s[22:23]
	s_lshr_b32 s12, s7, s13
	s_mul_i32 s7, s12, s14
	s_delay_alu instid0(SALU_CYCLE_1) | instskip(SKIP_2) | instid1(SALU_CYCLE_1)
	s_cmp_eq_u32 s7, s20
	s_cselect_b32 s7, -1, 0
	s_add_co_i32 s10, s11, s24
	s_lshr_b32 s10, s10, s13
	s_delay_alu instid0(SALU_CYCLE_1)
	s_cmp_eq_u32 s12, s10
	s_mul_i32 s10, s10, s14
	s_cselect_b32 s11, -1, 0
	s_cmp_lg_u32 s10, s24
	s_cselect_b32 s10, -1, 0
	s_or_b32 s3, s3, s7
	s_and_b32 s10, s11, s10
	s_delay_alu instid0(SALU_CYCLE_1) | instskip(NEXT) | instid1(SALU_CYCLE_1)
	s_or_b32 s3, s3, s10
	s_and_b32 vcc_lo, exec_lo, s3
	s_cbranch_vccnz .LBB29_24
; %bb.7:
	s_load_b256 s[24:31], s[0:1], 0x20
	s_bfe_u32 s7, ttmp6, 0x40014
	s_bfe_u32 s33, ttmp6, 0x40010
	s_lshr_b32 s3, ttmp7, 16
	s_add_co_i32 s7, s7, 1
	s_and_b32 s21, ttmp7, 0xffff
	s_add_co_i32 s33, s33, 1
	s_bfe_u32 s10, ttmp6, 0x40008
	s_mul_i32 s7, s3, s7
	s_bfe_u32 s34, ttmp6, 0x40004
	s_mul_i32 s33, s21, s33
	s_mov_b32 s11, s23
	s_add_co_i32 s35, s10, s7
	s_add_co_i32 s34, s34, s33
	s_cmp_eq_u32 s15, 0
	s_cselect_b32 s7, s21, s34
	s_cselect_b32 s3, s3, s35
	s_wait_kmcnt 0x0
	s_mov_b32 s10, s24
	s_delay_alu instid0(SALU_CYCLE_1) | instskip(NEXT) | instid1(SALU_CYCLE_1)
	s_mul_u64 s[8:9], s[8:9], s[10:11]
	s_add_co_i32 s8, s9, s20
	s_load_b32 s9, s[0:1], 0x40
	s_lshr_b32 s8, s8, s25
	s_delay_alu instid0(SALU_CYCLE_1) | instskip(NEXT) | instid1(SALU_CYCLE_1)
	s_mul_i32 s10, s8, s26
	s_sub_co_i32 s10, s20, s10
	s_delay_alu instid0(SALU_CYCLE_1) | instskip(NEXT) | instid1(SALU_CYCLE_1)
	s_mul_hi_u32 s11, s10, s27
	s_add_co_i32 s11, s10, s11
	s_delay_alu instid0(SALU_CYCLE_1) | instskip(NEXT) | instid1(SALU_CYCLE_1)
	s_lshr_b32 s15, s11, s28
	s_mul_i32 s11, s15, s29
	s_delay_alu instid0(SALU_CYCLE_1) | instskip(NEXT) | instid1(SALU_CYCLE_1)
	s_sub_co_i32 s10, s10, s11
	s_mul_hi_u32 s11, s10, s30
	s_delay_alu instid0(SALU_CYCLE_1) | instskip(NEXT) | instid1(SALU_CYCLE_1)
	s_add_co_i32 s11, s10, s11
	s_lshr_b32 s26, s11, s31
	s_mov_b32 s11, s23
	s_wait_kmcnt 0x0
	s_mul_i32 s9, s26, s9
	s_delay_alu instid0(SALU_CYCLE_1) | instskip(NEXT) | instid1(SALU_CYCLE_1)
	s_sub_co_i32 s10, s10, s9
	s_mul_u64 s[24:25], s[10:11], s[22:23]
	s_lshl_b32 s24, s26, 1
	s_add_co_i32 s9, s10, s25
	s_delay_alu instid0(SALU_CYCLE_1) | instskip(NEXT) | instid1(SALU_CYCLE_1)
	s_lshr_b32 s21, s9, s13
	s_lshl_b32 s9, s21, 4
	s_delay_alu instid0(SALU_CYCLE_1) | instskip(NEXT) | instid1(SALU_CYCLE_1)
	s_add_co_i32 s9, s9, s7
	s_cmp_lt_i32 s9, s4
	s_cselect_b32 s9, -1, 0
	s_add_co_i32 s10, s24, s3
	s_delay_alu instid0(SALU_CYCLE_1) | instskip(SKIP_1) | instid1(SALU_CYCLE_1)
	s_cmp_lt_i32 s10, s6
	s_cselect_b32 s10, -1, 0
	s_and_b32 s9, s9, s10
	s_delay_alu instid0(SALU_CYCLE_1)
	s_and_not1_b32 vcc_lo, exec_lo, s9
	s_cbranch_vccnz .LBB29_24
; %bb.8:
	s_mul_i32 s4, s8, s4
	s_load_b128 s[8:11], s[0:1], 0x0
	s_wait_xcnt 0x0
	s_add_co_i32 s0, s4, s7
	s_mul_i32 s15, s15, s6
	s_mul_i32 s0, s0, s5
	;; [unrolled: 1-line block ×3, first 2 shown]
	s_add_co_i32 s0, s0, s3
	s_lshl_b32 s1, s1, 12
	s_add_co_i32 s0, s0, s15
	s_lshl_b32 s15, s7, 1
	s_add_co_i32 s0, s0, s24
	s_add_co_i32 s15, s15, s3
	s_lshl_b32 s0, s0, 8
	v_lshl_or_b32 v6, s15, 8, v0
	s_add_co_i32 s1, s1, s0
	v_cvt_f32_u32_e32 v4, s16
	v_or_b32_e32 v2, s1, v0
	s_add_nc_u64 s[0:1], s[16:17], 0
	s_lshl_b32 s24, s16, 7
	s_xor_b64 s[6:7], s[0:1], 0
	s_lshl_b32 s0, s2, 5
	s_cvt_f32_u32 s3, s6
	s_add_co_i32 s0, s15, s0
	s_cvt_f32_u32 s4, s7
	s_ashr_i32 s1, s0, 31
	v_rcp_iflag_f32_e32 v4, v4
	s_lshl_b64 s[0:1], s[0:1], 3
	s_fmamk_f32 s3, s4, 0x4f800000, s3
	s_wait_kmcnt 0x0
	s_add_nc_u64 s[0:1], s[10:11], s[0:1]
	s_mov_b32 s25, 0
	s_load_b64 s[28:29], s[0:1], 0x0
	v_s_rcp_f32 s3, s3
	s_wait_xcnt 0x0
	s_lshl_b64 s[0:1], s[24:25], 2
	s_add_co_i32 s36, s2, -1
	s_add_nc_u64 s[26:27], s[10:11], s[0:1]
	s_sub_nc_u64 s[34:35], 0, s[6:7]
	v_mul_f32_e32 v4, 0x4f7ffffe, v4
	s_delay_alu instid0(TRANS32_DEP_1) | instskip(NEXT) | instid1(VALU_DEP_1)
	s_mul_f32 s3, s3, 0x5f7ffffc
	v_cvt_u32_f32_e32 v7, v4
	s_delay_alu instid0(SALU_CYCLE_2) | instskip(NEXT) | instid1(SALU_CYCLE_3)
	s_mul_f32 s4, s3, 0x2f800000
	s_trunc_f32 s4, s4
	s_wait_kmcnt 0x0
	v_mov_b32_e32 v0, s29
	global_load_b32 v1, v2, s[8:9] scale_offset
	v_ashrrev_i32_e32 v3, 31, v2
	s_fmamk_f32 s0, s4, 0xcf800000, s3
	s_cvt_u32_f32 s31, s4
	s_wait_xcnt 0x0
	s_delay_alu instid0(VALU_DEP_1)
	v_lshl_add_u64 v[2:3], v[2:3], 2, s[8:9]
	s_cvt_u32_f32 s30, s0
	s_mov_b64 s[8:9], 0xffffffff
.LBB29_9:                               ; =>This Inner Loop Header: Depth=1
	s_ashr_i32 s37, s36, 31
                                        ; implicit-def: $sgpr40_sgpr41
	s_delay_alu instid0(SALU_CYCLE_1) | instskip(NEXT) | instid1(SALU_CYCLE_1)
	s_mul_u64 s[0:1], s[36:37], s[18:19]
	s_and_b64 s[2:3], s[0:1], 0xffffffff00000000
	s_delay_alu instid0(SALU_CYCLE_1)
	s_cmp_lg_u64 s[2:3], 0
	s_mov_b32 s2, -1
	s_cbranch_scc0 .LBB29_11
; %bb.10:                               ;   in Loop: Header=BB29_9 Depth=1
	s_mul_u64 s[2:3], s[34:35], s[30:31]
	s_delay_alu instid0(SALU_CYCLE_1)
	s_mul_hi_u32 s5, s30, s3
	s_mul_i32 s4, s30, s3
	s_mul_hi_u32 s24, s30, s2
	s_mul_hi_u32 s17, s31, s2
	s_add_nc_u64 s[4:5], s[24:25], s[4:5]
	s_mul_i32 s2, s31, s2
	s_mul_hi_u32 s21, s31, s3
	s_add_co_u32 s2, s4, s2
	s_add_co_ci_u32 s24, s5, s17
	s_add_co_ci_u32 s5, s21, 0
	s_mul_i32 s4, s31, s3
	s_delay_alu instid0(SALU_CYCLE_1) | instskip(NEXT) | instid1(SALU_CYCLE_1)
	s_add_nc_u64 s[2:3], s[24:25], s[4:5]
	s_add_co_u32 s2, s30, s2
	s_cselect_b32 s4, -1, 0
	s_delay_alu instid0(SALU_CYCLE_1) | instskip(SKIP_1) | instid1(SALU_CYCLE_1)
	s_cmp_lg_u32 s4, 0
	s_add_co_ci_u32 s3, s31, s3
	s_mul_u64 s[4:5], s[34:35], s[2:3]
	s_delay_alu instid0(SALU_CYCLE_1)
	s_mul_hi_u32 s39, s2, s5
	s_mul_i32 s38, s2, s5
	s_mul_hi_u32 s24, s2, s4
	s_mul_hi_u32 s17, s3, s4
	s_mul_i32 s4, s3, s4
	s_add_nc_u64 s[38:39], s[24:25], s[38:39]
	s_mul_hi_u32 s21, s3, s5
	s_add_co_u32 s4, s38, s4
	s_add_co_ci_u32 s24, s39, s17
	s_mul_i32 s4, s3, s5
	s_add_co_ci_u32 s5, s21, 0
	s_delay_alu instid0(SALU_CYCLE_1) | instskip(NEXT) | instid1(SALU_CYCLE_1)
	s_add_nc_u64 s[4:5], s[24:25], s[4:5]
	s_add_co_u32 s17, s2, s4
	s_cselect_b32 s2, -1, 0
	s_delay_alu instid0(SALU_CYCLE_1) | instskip(SKIP_2) | instid1(SALU_CYCLE_1)
	s_cmp_lg_u32 s2, 0
	s_add_co_ci_u32 s21, s3, s5
	s_ashr_i32 s2, s1, 31
	s_mov_b32 s3, s2
	s_delay_alu instid0(SALU_CYCLE_1) | instskip(NEXT) | instid1(SALU_CYCLE_1)
	s_add_nc_u64 s[4:5], s[0:1], s[2:3]
	s_xor_b64 s[4:5], s[4:5], s[2:3]
	s_delay_alu instid0(SALU_CYCLE_1)
	s_mul_hi_u32 s39, s4, s21
	s_mul_i32 s38, s4, s21
	s_mul_hi_u32 s24, s4, s17
	s_mul_hi_u32 s29, s5, s17
	s_mul_i32 s17, s5, s17
	s_add_nc_u64 s[38:39], s[24:25], s[38:39]
	s_mul_hi_u32 s1, s5, s21
	s_add_co_u32 s17, s38, s17
	s_add_co_ci_u32 s24, s39, s29
	s_mul_i32 s40, s5, s21
	s_add_co_ci_u32 s41, s1, 0
	s_delay_alu instid0(SALU_CYCLE_1) | instskip(NEXT) | instid1(SALU_CYCLE_1)
	s_add_nc_u64 s[38:39], s[24:25], s[40:41]
	s_and_b64 s[40:41], s[38:39], 0xffffffff00000000
	s_delay_alu instid0(SALU_CYCLE_1) | instskip(NEXT) | instid1(SALU_CYCLE_1)
	s_or_b32 s40, s40, s38
	s_mul_u64 s[38:39], s[6:7], s[40:41]
	s_add_nc_u64 s[42:43], s[40:41], 1
	s_sub_co_u32 s1, s4, s38
	s_cselect_b32 s4, -1, 0
	s_sub_co_i32 s17, s5, s39
	s_cmp_lg_u32 s4, 0
	s_add_nc_u64 s[44:45], s[40:41], 2
	s_sub_co_ci_u32 s17, s17, s7
	s_sub_co_u32 s21, s1, s6
	s_cselect_b32 s24, -1, 0
	s_delay_alu instid0(SALU_CYCLE_1) | instskip(SKIP_1) | instid1(SALU_CYCLE_1)
	s_cmp_lg_u32 s24, 0
	s_sub_co_ci_u32 s17, s17, 0
	s_cmp_ge_u32 s17, s7
	s_cselect_b32 s24, -1, 0
	s_cmp_ge_u32 s21, s6
	s_cselect_b32 s21, -1, 0
	s_cmp_eq_u32 s17, s7
	s_cselect_b32 s17, s21, s24
	s_delay_alu instid0(SALU_CYCLE_1) | instskip(SKIP_4) | instid1(SALU_CYCLE_1)
	s_cmp_lg_u32 s17, 0
	s_cselect_b32 s17, s44, s42
	s_cselect_b32 s21, s45, s43
	s_cmp_lg_u32 s4, 0
	s_sub_co_ci_u32 s4, s5, s39
	s_cmp_ge_u32 s4, s7
	s_cselect_b32 s5, -1, 0
	s_cmp_ge_u32 s1, s6
	s_cselect_b32 s1, -1, 0
	s_cmp_eq_u32 s4, s7
	s_cselect_b32 s1, s1, s5
	s_delay_alu instid0(SALU_CYCLE_1) | instskip(SKIP_3) | instid1(SALU_CYCLE_1)
	s_cmp_lg_u32 s1, 0
	s_cselect_b32 s5, s21, s41
	s_cselect_b32 s4, s17, s40
	s_xor_b64 s[2:3], s[2:3], 0
	s_xor_b64 s[4:5], s[4:5], s[2:3]
	s_delay_alu instid0(SALU_CYCLE_1)
	s_sub_nc_u64 s[40:41], s[4:5], s[2:3]
	s_mov_b32 s2, 0
.LBB29_11:                              ;   in Loop: Header=BB29_9 Depth=1
	s_delay_alu instid0(SALU_CYCLE_1)
	s_and_not1_b32 vcc_lo, exec_lo, s2
	s_cbranch_vccnz .LBB29_13
; %bb.12:                               ;   in Loop: Header=BB29_9 Depth=1
	v_readfirstlane_b32 s1, v7
	s_sub_co_i32 s2, 0, s16
	s_delay_alu instid0(SALU_CYCLE_1) | instskip(NEXT) | instid1(SALU_CYCLE_1)
	s_mul_i32 s2, s2, s1
	s_mul_hi_u32 s2, s1, s2
	s_delay_alu instid0(SALU_CYCLE_1) | instskip(NEXT) | instid1(SALU_CYCLE_1)
	s_add_co_i32 s1, s1, s2
	s_mul_hi_u32 s1, s0, s1
	s_delay_alu instid0(SALU_CYCLE_1) | instskip(NEXT) | instid1(SALU_CYCLE_1)
	s_mul_i32 s2, s1, s16
	s_sub_co_i32 s0, s0, s2
	s_add_co_i32 s2, s1, 1
	s_sub_co_i32 s3, s0, s16
	s_cmp_ge_u32 s0, s16
	s_cselect_b32 s1, s2, s1
	s_cselect_b32 s0, s3, s0
	s_add_co_i32 s2, s1, 1
	s_cmp_ge_u32 s0, s16
	s_cselect_b32 s24, s2, s1
	s_delay_alu instid0(SALU_CYCLE_1)
	s_mov_b64 s[40:41], s[24:25]
.LBB29_13:                              ;   in Loop: Header=BB29_9 Depth=1
	s_delay_alu instid0(SALU_CYCLE_1)
	s_cmp_lg_u32 s20, s40
	s_mov_b32 s0, -1
                                        ; implicit-def: $vgpr4_vgpr5
                                        ; implicit-def: $sgpr24
                                        ; implicit-def: $sgpr17
                                        ; implicit-def: $sgpr21
                                        ; implicit-def: $sgpr29
	s_cbranch_scc0 .LBB29_18
; %bb.14:                               ;   in Loop: Header=BB29_9 Depth=1
	s_add_co_i32 s0, s36, s16
	v_max_num_f32_e64 v4, s28, s28
	s_lshl_b32 s0, s0, 5
	s_mov_b32 s29, s20
	s_add_co_i32 s0, s0, s15
	s_load_b64 s[38:39], s[10:11], s0 offset:0x0 scale_offset
	s_wait_xcnt 0x0
	v_readfirstlane_b32 s0, v4
	s_wait_kmcnt 0x0
	v_max_num_f32_e64 v5, s38, s38
	s_delay_alu instid0(VALU_DEP_1) | instskip(SKIP_1) | instid1(SALU_CYCLE_3)
	v_readfirstlane_b32 s1, v5
	s_max_num_f32 s17, s0, s1
	s_sub_f32 s33, s28, s17
	s_sub_f32 s37, s38, s17
	s_delay_alu instid0(SALU_CYCLE_2)
	s_cmp_nlt_f32 s33, 0xc2ce8ed0
	s_cselect_b32 s1, -1, 0
	s_cmp_ngt_f32 s33, 0x42b17218
	s_cselect_b32 s2, -1, 0
	s_cmp_ge_f32 s33, 0xc1a00000
	s_cselect_b32 s0, -1, 0
	s_cmp_nlt_f32 s37, 0xc2ce8ed0
	s_cselect_b32 s3, -1, 0
	s_cmp_ngt_f32 s37, 0x42b17218
	s_cselect_b32 s4, -1, 0
	s_cmp_ge_f32 s37, 0xc1a00000
	s_cselect_b32 s5, -1, 0
	s_and_b64 s[42:43], s[40:41], s[8:9]
	s_delay_alu instid0(SALU_CYCLE_1) | instskip(NEXT) | instid1(SALU_CYCLE_1)
	s_mul_u64 s[42:43], s[42:43], s[22:23]
	s_add_co_i32 s21, s43, s40
	s_delay_alu instid0(SALU_CYCLE_1) | instskip(NEXT) | instid1(SALU_CYCLE_1)
	s_lshr_b32 s21, s21, s13
	s_mul_i32 s24, s21, s14
	s_delay_alu instid0(SALU_CYCLE_1) | instskip(SKIP_3) | instid1(SALU_CYCLE_1)
	s_cmp_eq_u32 s24, s40
	s_cselect_b32 s24, -1, 0
	s_cmp_lt_u32 s21, s12
	s_cselect_b32 s21, -1, 0
	s_or_b32 s21, s21, s24
	s_mov_b32 s24, -1
	s_and_b32 vcc_lo, exec_lo, s21
	s_mov_b32 s21, s36
	s_cbranch_vccnz .LBB29_16
; %bb.15:                               ;   in Loop: Header=BB29_9 Depth=1
	s_add_co_i32 s21, s36, -1
	s_mov_b32 s24, 0
	s_mov_b32 s29, s40
.LBB29_16:                              ;   in Loop: Header=BB29_9 Depth=1
	v_lshl_add_u32 v4, s36, 13, v6
	s_mul_f32 s40, s33, 0x3fb8aa3b
	s_mul_f32 s38, s37, 0x3fb8aa3b
	s_delay_alu instid0(SALU_CYCLE_2)
	s_xor_b32 s42, s40, 0x80000000
	global_load_b32 v5, v4, s[26:27] scale_offset
	s_fmamk_f32 s42, s33, 0x3fb8aa3b, s42
	s_rndne_f32 s44, s40
	s_xor_b32 s41, s38, 0x80000000
	s_rndne_f32 s43, s38
	s_fmamk_f32 s33, s33, 0x32a5705f, s42
	s_sub_f32 s40, s40, s44
	s_fmamk_f32 s41, s37, 0x3fb8aa3b, s41
	s_sub_f32 s38, s38, s43
	s_delay_alu instid0(SALU_CYCLE_1) | instskip(NEXT) | instid1(SALU_CYCLE_1)
	s_add_f32 s33, s40, s33
	s_fmamk_f32 s37, s37, 0x32a5705f, s41
	s_cvt_i32_f32 s40, s44
	s_delay_alu instid0(SALU_CYCLE_1) | instskip(NEXT) | instid1(SALU_CYCLE_1)
	v_s_exp_f32 s33, s33
	s_add_f32 s37, s38, s37
	s_cvt_i32_f32 s38, s43
	s_delay_alu instid0(SALU_CYCLE_2) | instskip(NEXT) | instid1(TRANS32_DEP_2)
	v_s_exp_f32 s37, s37
	v_ldexp_f32 v8, s33, s40
	s_wait_xcnt 0x0
	s_delay_alu instid0(TRANS32_DEP_1) | instskip(NEXT) | instid1(VALU_DEP_2)
	v_ldexp_f32 v4, s37, s38
	v_cndmask_b32_e64 v8, 0, v8, s1
	s_delay_alu instid0(VALU_DEP_1) | instskip(NEXT) | instid1(VALU_DEP_1)
	v_cndmask_b32_e64 v9, 0x7f800000, v8, s2
	v_dual_cndmask_b32 v4, 0, v4, s3 :: v_dual_cndmask_b32 v10, 0, v9, s0
	s_delay_alu instid0(VALU_DEP_1) | instskip(NEXT) | instid1(VALU_DEP_1)
	v_cndmask_b32_e64 v4, 0x7f800000, v4, s4
	v_dual_cndmask_b32 v8, 0, v4, s5 :: v_dual_mov_b32 v4, s39
	s_wait_loadcnt 0x0
	s_delay_alu instid0(VALU_DEP_1) | instskip(NEXT) | instid1(VALU_DEP_1)
	v_pk_mul_f32 v[4:5], v[4:5], v[8:9] op_sel_hi:[1,0]
	v_pk_fma_f32 v[4:5], v[0:1], v[10:11], v[4:5] op_sel_hi:[1,0,1]
	s_cbranch_execz .LBB29_19
.LBB29_17:                              ;   in Loop: Header=BB29_9 Depth=1
	s_and_not1_b32 vcc_lo, exec_lo, s24
	s_cbranch_vccnz .LBB29_20
	s_branch .LBB29_23
.LBB29_18:                              ;   in Loop: Header=BB29_9 Depth=1
	s_and_not1_b32 vcc_lo, exec_lo, s0
	s_cbranch_vccnz .LBB29_17
.LBB29_19:                              ;   in Loop: Header=BB29_9 Depth=1
	s_wait_loadcnt 0x0
	v_mov_b64_e32 v[4:5], v[0:1]
	s_add_co_i32 s21, s36, -1
	s_mov_b32 s29, s20
	s_mov_b32 s17, s28
	s_cbranch_execz .LBB29_23
.LBB29_20:                              ;   in Loop: Header=BB29_9 Depth=1
	s_wait_loadcnt 0x0
	s_delay_alu instid0(VALU_DEP_1)
	v_mov_b64_e32 v[0:1], v[4:5]
	s_mov_b32 s20, s29
	s_mov_b32 s36, s21
	s_mov_b32 s28, s17
	s_branch .LBB29_9
.LBB29_21:
                                        ; implicit-def: $sgpr20_sgpr21
	s_branch .LBB29_2
.LBB29_22:
                                        ; implicit-def: $sgpr24_sgpr25
	s_load_b96 s[12:14], s[0:1], 0x44
	s_branch .LBB29_5
.LBB29_23:
	s_delay_alu instid0(VALU_DEP_1) | instskip(SKIP_1) | instid1(VALU_DEP_1)
	v_div_scale_f32 v0, null, v4, v4, v5
	s_wait_loadcnt 0x0
	v_rcp_f32_e32 v1, v0
	v_nop
	s_delay_alu instid0(TRANS32_DEP_1) | instskip(NEXT) | instid1(VALU_DEP_1)
	v_fma_f32 v6, -v0, v1, 1.0
	v_fmac_f32_e32 v1, v6, v1
	v_div_scale_f32 v6, vcc_lo, v5, v4, v5
	s_delay_alu instid0(VALU_DEP_1) | instskip(NEXT) | instid1(VALU_DEP_1)
	v_mul_f32_e32 v7, v6, v1
	v_fma_f32 v8, -v0, v7, v6
	s_delay_alu instid0(VALU_DEP_1) | instskip(NEXT) | instid1(VALU_DEP_1)
	v_fmac_f32_e32 v7, v8, v1
	v_fma_f32 v0, -v0, v7, v6
	s_delay_alu instid0(VALU_DEP_1) | instskip(NEXT) | instid1(VALU_DEP_1)
	v_div_fmas_f32 v0, v0, v1, v7
	v_div_fixup_f32 v0, v0, v4, v5
	global_store_b32 v[2:3], v0, off
.LBB29_24:
	s_endpgm
	.section	.rodata,"a",@progbits
	.p2align	6, 0x0
	.amdhsa_kernel _ZL33flash_attn_stream_k_fixup_generalILi256ELi16ELi2EEvPfPK15HIP_vector_typeIfLj2EEiiiiS1_IjLj3EES5_S5_S5_
		.amdhsa_group_segment_fixed_size 0
		.amdhsa_private_segment_fixed_size 0
		.amdhsa_kernarg_size 336
		.amdhsa_user_sgpr_count 2
		.amdhsa_user_sgpr_dispatch_ptr 0
		.amdhsa_user_sgpr_queue_ptr 0
		.amdhsa_user_sgpr_kernarg_segment_ptr 1
		.amdhsa_user_sgpr_dispatch_id 0
		.amdhsa_user_sgpr_kernarg_preload_length 0
		.amdhsa_user_sgpr_kernarg_preload_offset 0
		.amdhsa_user_sgpr_private_segment_size 0
		.amdhsa_wavefront_size32 1
		.amdhsa_uses_dynamic_stack 0
		.amdhsa_enable_private_segment 0
		.amdhsa_system_sgpr_workgroup_id_x 1
		.amdhsa_system_sgpr_workgroup_id_y 1
		.amdhsa_system_sgpr_workgroup_id_z 1
		.amdhsa_system_sgpr_workgroup_info 0
		.amdhsa_system_vgpr_workitem_id 0
		.amdhsa_next_free_vgpr 12
		.amdhsa_next_free_sgpr 46
		.amdhsa_named_barrier_count 0
		.amdhsa_reserve_vcc 1
		.amdhsa_float_round_mode_32 0
		.amdhsa_float_round_mode_16_64 0
		.amdhsa_float_denorm_mode_32 3
		.amdhsa_float_denorm_mode_16_64 3
		.amdhsa_fp16_overflow 0
		.amdhsa_memory_ordered 1
		.amdhsa_forward_progress 1
		.amdhsa_inst_pref_size 27
		.amdhsa_round_robin_scheduling 0
		.amdhsa_exception_fp_ieee_invalid_op 0
		.amdhsa_exception_fp_denorm_src 0
		.amdhsa_exception_fp_ieee_div_zero 0
		.amdhsa_exception_fp_ieee_overflow 0
		.amdhsa_exception_fp_ieee_underflow 0
		.amdhsa_exception_fp_ieee_inexact 0
		.amdhsa_exception_int_div_zero 0
	.end_amdhsa_kernel
	.section	.text._ZL33flash_attn_stream_k_fixup_generalILi256ELi16ELi2EEvPfPK15HIP_vector_typeIfLj2EEiiiiS1_IjLj3EES5_S5_S5_,"axG",@progbits,_ZL33flash_attn_stream_k_fixup_generalILi256ELi16ELi2EEvPfPK15HIP_vector_typeIfLj2EEiiiiS1_IjLj3EES5_S5_S5_,comdat
.Lfunc_end29:
	.size	_ZL33flash_attn_stream_k_fixup_generalILi256ELi16ELi2EEvPfPK15HIP_vector_typeIfLj2EEiiiiS1_IjLj3EES5_S5_S5_, .Lfunc_end29-_ZL33flash_attn_stream_k_fixup_generalILi256ELi16ELi2EEvPfPK15HIP_vector_typeIfLj2EEiiiiS1_IjLj3EES5_S5_S5_
                                        ; -- End function
	.set _ZL33flash_attn_stream_k_fixup_generalILi256ELi16ELi2EEvPfPK15HIP_vector_typeIfLj2EEiiiiS1_IjLj3EES5_S5_S5_.num_vgpr, 12
	.set _ZL33flash_attn_stream_k_fixup_generalILi256ELi16ELi2EEvPfPK15HIP_vector_typeIfLj2EEiiiiS1_IjLj3EES5_S5_S5_.num_agpr, 0
	.set _ZL33flash_attn_stream_k_fixup_generalILi256ELi16ELi2EEvPfPK15HIP_vector_typeIfLj2EEiiiiS1_IjLj3EES5_S5_S5_.numbered_sgpr, 46
	.set _ZL33flash_attn_stream_k_fixup_generalILi256ELi16ELi2EEvPfPK15HIP_vector_typeIfLj2EEiiiiS1_IjLj3EES5_S5_S5_.num_named_barrier, 0
	.set _ZL33flash_attn_stream_k_fixup_generalILi256ELi16ELi2EEvPfPK15HIP_vector_typeIfLj2EEiiiiS1_IjLj3EES5_S5_S5_.private_seg_size, 0
	.set _ZL33flash_attn_stream_k_fixup_generalILi256ELi16ELi2EEvPfPK15HIP_vector_typeIfLj2EEiiiiS1_IjLj3EES5_S5_S5_.uses_vcc, 1
	.set _ZL33flash_attn_stream_k_fixup_generalILi256ELi16ELi2EEvPfPK15HIP_vector_typeIfLj2EEiiiiS1_IjLj3EES5_S5_S5_.uses_flat_scratch, 0
	.set _ZL33flash_attn_stream_k_fixup_generalILi256ELi16ELi2EEvPfPK15HIP_vector_typeIfLj2EEiiiiS1_IjLj3EES5_S5_S5_.has_dyn_sized_stack, 0
	.set _ZL33flash_attn_stream_k_fixup_generalILi256ELi16ELi2EEvPfPK15HIP_vector_typeIfLj2EEiiiiS1_IjLj3EES5_S5_S5_.has_recursion, 0
	.set _ZL33flash_attn_stream_k_fixup_generalILi256ELi16ELi2EEvPfPK15HIP_vector_typeIfLj2EEiiiiS1_IjLj3EES5_S5_S5_.has_indirect_call, 0
	.section	.AMDGPU.csdata,"",@progbits
; Kernel info:
; codeLenInByte = 3360
; TotalNumSgprs: 48
; NumVgprs: 12
; ScratchSize: 0
; MemoryBound: 0
; FloatMode: 240
; IeeeMode: 1
; LDSByteSize: 0 bytes/workgroup (compile time only)
; SGPRBlocks: 0
; VGPRBlocks: 0
; NumSGPRsForWavesPerEU: 48
; NumVGPRsForWavesPerEU: 12
; NamedBarCnt: 0
; Occupancy: 16
; WaveLimiterHint : 0
; COMPUTE_PGM_RSRC2:SCRATCH_EN: 0
; COMPUTE_PGM_RSRC2:USER_SGPR: 2
; COMPUTE_PGM_RSRC2:TRAP_HANDLER: 0
; COMPUTE_PGM_RSRC2:TGID_X_EN: 1
; COMPUTE_PGM_RSRC2:TGID_Y_EN: 1
; COMPUTE_PGM_RSRC2:TGID_Z_EN: 1
; COMPUTE_PGM_RSRC2:TIDIG_COMP_CNT: 0
	.section	.text._ZL15flash_attn_tileILi256ELi256ELi8ELi2ELb0EEvPKcS1_S1_S1_S1_PKiPfP15HIP_vector_typeIfLj2EEffffjfiS5_IjLj3EEiiiiiiiiiiiliiliiiiil,"axG",@progbits,_ZL15flash_attn_tileILi256ELi256ELi8ELi2ELb0EEvPKcS1_S1_S1_S1_PKiPfP15HIP_vector_typeIfLj2EEffffjfiS5_IjLj3EEiiiiiiiiiiiliiliiiiil,comdat
	.globl	_ZL15flash_attn_tileILi256ELi256ELi8ELi2ELb0EEvPKcS1_S1_S1_S1_PKiPfP15HIP_vector_typeIfLj2EEffffjfiS5_IjLj3EEiiiiiiiiiiiliiliiiiil ; -- Begin function _ZL15flash_attn_tileILi256ELi256ELi8ELi2ELb0EEvPKcS1_S1_S1_S1_PKiPfP15HIP_vector_typeIfLj2EEffffjfiS5_IjLj3EEiiiiiiiiiiiliiliiiiil
	.p2align	8
	.type	_ZL15flash_attn_tileILi256ELi256ELi8ELi2ELb0EEvPKcS1_S1_S1_S1_PKiPfP15HIP_vector_typeIfLj2EEffffjfiS5_IjLj3EEiiiiiiiiiiiliiliiiiil,@function
_ZL15flash_attn_tileILi256ELi256ELi8ELi2ELb0EEvPKcS1_S1_S1_S1_PKiPfP15HIP_vector_typeIfLj2EEffffjfiS5_IjLj3EEiiiiiiiiiiiliiliiiiil: ; @_ZL15flash_attn_tileILi256ELi256ELi8ELi2ELb0EEvPKcS1_S1_S1_S1_PKiPfP15HIP_vector_typeIfLj2EEffffjfiS5_IjLj3EEiiiiiiiiiiiliiliiiiil
; %bb.0:
	s_clause 0x1
	s_load_b128 s[20:23], s[0:1], 0x5c
	s_load_b64 s[34:35], s[0:1], 0x80
	s_bfe_u32 s5, ttmp6, 0x40014
	s_lshr_b32 s4, ttmp7, 16
	s_add_co_i32 s5, s5, 1
	s_bfe_u32 s6, ttmp6, 0x40008
	s_mul_i32 s5, s4, s5
	s_getreg_b32 s24, hwreg(HW_REG_IB_STS2, 6, 4)
	s_add_co_i32 s6, s6, s5
	s_load_b64 s[38:39], s[0:1], 0xb8
	s_mov_b64 s[36:37], 0
	s_wait_kmcnt 0x0
	s_lshr_b32 s2, s23, 31
	s_delay_alu instid0(SALU_CYCLE_1) | instskip(NEXT) | instid1(SALU_CYCLE_1)
	s_add_co_i32 s2, s23, s2
	s_ashr_i32 s2, s2, 1
	s_delay_alu instid0(SALU_CYCLE_1) | instskip(SKIP_1) | instid1(SALU_CYCLE_2)
	s_cvt_f32_u32 s3, s2
	s_sub_co_i32 s7, 0, s2
	v_rcp_iflag_f32_e32 v1, s3
	v_nop
	s_delay_alu instid0(TRANS32_DEP_1) | instskip(SKIP_1) | instid1(SALU_CYCLE_3)
	v_readfirstlane_b32 s3, v1
	s_mul_f32 s3, s3, 0x4f7ffffe
	s_cvt_u32_f32 s3, s3
	s_delay_alu instid0(SALU_CYCLE_3) | instskip(NEXT) | instid1(SALU_CYCLE_1)
	s_mul_i32 s7, s7, s3
	s_mul_hi_u32 s7, s3, s7
	s_delay_alu instid0(SALU_CYCLE_1) | instskip(SKIP_2) | instid1(SALU_CYCLE_1)
	s_add_co_i32 s3, s3, s7
	s_cmp_eq_u32 s24, 0
	s_cselect_b32 s4, s4, s6
	s_mul_hi_u32 s3, s4, s3
	s_delay_alu instid0(SALU_CYCLE_1) | instskip(SKIP_2) | instid1(SALU_CYCLE_1)
	s_mul_i32 s5, s3, s2
	s_add_co_i32 s6, s3, 1
	s_sub_co_i32 s5, s4, s5
	s_sub_co_i32 s7, s5, s2
	s_cmp_ge_u32 s5, s2
	s_cselect_b32 s3, s6, s3
	s_cselect_b32 s5, s7, s5
	s_add_co_i32 s6, s3, 1
	s_cmp_ge_u32 s5, s2
	s_cselect_b32 s28, s6, s3
	s_abs_i32 s2, s35
	s_abs_i32 s7, s23
	s_cvt_f32_u32 s3, s2
	s_sub_co_i32 s5, 0, s2
	s_lshl_b32 s4, s4, 1
	s_mul_i32 s6, s28, s23
	v_rcp_iflag_f32_e32 v1, s3
	s_sub_co_i32 s30, s4, s6
	s_xor_b32 s4, s23, s35
	s_delay_alu instid0(SALU_CYCLE_1) | instskip(SKIP_1) | instid1(TRANS32_DEP_1)
	s_ashr_i32 s25, s4, 31
	v_nop
	v_readfirstlane_b32 s3, v1
	s_mul_f32 s3, s3, 0x4f7ffffe
	s_delay_alu instid0(SALU_CYCLE_3) | instskip(NEXT) | instid1(SALU_CYCLE_3)
	s_cvt_u32_f32 s3, s3
	s_mul_i32 s5, s5, s3
	s_delay_alu instid0(SALU_CYCLE_1) | instskip(NEXT) | instid1(SALU_CYCLE_1)
	s_mul_hi_u32 s5, s3, s5
	s_add_co_i32 s3, s3, s5
	s_delay_alu instid0(SALU_CYCLE_1) | instskip(NEXT) | instid1(SALU_CYCLE_1)
	s_mul_hi_u32 s3, s7, s3
	s_mul_i32 s5, s3, s2
	s_delay_alu instid0(SALU_CYCLE_1)
	s_sub_co_i32 s4, s7, s5
	s_add_co_i32 s5, s3, 1
	s_sub_co_i32 s6, s4, s2
	s_cmp_ge_u32 s4, s2
	s_cselect_b32 s3, s5, s3
	s_cselect_b32 s4, s6, s4
	s_add_co_i32 s5, s3, 1
	s_cmp_ge_u32 s4, s2
	s_cselect_b32 s2, s5, s3
	s_load_b512 s[4:19], s[0:1], 0x0
	s_xor_b32 s2, s2, s25
	s_mov_b32 s3, 0
	s_sub_co_i32 s29, s2, s25
	s_delay_alu instid0(SALU_CYCLE_1) | instskip(NEXT) | instid1(SALU_CYCLE_1)
	s_abs_i32 s31, s29
	s_cvt_f32_u32 s2, s31
	s_delay_alu instid0(SALU_CYCLE_3) | instskip(SKIP_1) | instid1(TRANS32_DEP_1)
	v_rcp_iflag_f32_e32 v1, s2
	v_nop
	v_readfirstlane_b32 s2, v1
	s_wait_kmcnt 0x0
	s_cmp_eq_u64 s[10:11], 0
	s_cbranch_scc1 .LBB30_2
; %bb.1:
	s_abs_i32 s25, s38
	s_abs_i32 s33, s28
	s_cvt_f32_u32 s26, s25
	s_sub_co_i32 s27, 0, s25
	s_delay_alu instid0(SALU_CYCLE_2) | instskip(SKIP_1) | instid1(TRANS32_DEP_1)
	v_rcp_iflag_f32_e32 v1, s26
	v_nop
	v_readfirstlane_b32 s26, v1
	s_mul_f32 s26, s26, 0x4f7ffffe
	s_delay_alu instid0(SALU_CYCLE_3) | instskip(NEXT) | instid1(SALU_CYCLE_3)
	s_cvt_u32_f32 s26, s26
	s_mul_i32 s27, s27, s26
	s_delay_alu instid0(SALU_CYCLE_1) | instskip(NEXT) | instid1(SALU_CYCLE_1)
	s_mul_hi_u32 s27, s26, s27
	s_add_co_i32 s26, s26, s27
	s_delay_alu instid0(SALU_CYCLE_1) | instskip(SKIP_2) | instid1(SALU_CYCLE_1)
	s_mul_hi_u32 s35, s33, s26
	s_load_b64 s[26:27], s[0:1], 0xc8
	s_mul_i32 s35, s35, s25
	s_sub_co_i32 s33, s33, s35
	s_ashr_i32 s35, s28, 31
	s_sub_co_i32 s36, s33, s25
	s_cmp_ge_u32 s33, s25
	s_cselect_b32 s33, s36, s33
	s_delay_alu instid0(SALU_CYCLE_1) | instskip(SKIP_2) | instid1(SALU_CYCLE_1)
	s_sub_co_i32 s36, s33, s25
	s_cmp_ge_u32 s33, s25
	s_cselect_b32 s25, s36, s33
	s_xor_b32 s25, s25, s35
	s_delay_alu instid0(SALU_CYCLE_1) | instskip(NEXT) | instid1(SALU_CYCLE_1)
	s_sub_co_i32 s36, s25, s35
	s_ashr_i32 s37, s36, 31
	s_wait_kmcnt 0x0
	s_mul_u64 s[26:27], s[26:27], s[36:37]
	s_delay_alu instid0(SALU_CYCLE_1)
	s_add_nc_u64 s[36:37], s[10:11], s[26:27]
.LBB30_2:
	s_bfe_u32 s10, ttmp6, 0x4000c
	s_and_b32 s11, ttmp6, 15
	s_add_co_i32 s10, s10, 1
	v_bfe_u32 v1, v0, 10, 10
	s_mul_i32 s10, ttmp9, s10
	s_load_b96 s[40:42], s[0:1], 0x70
	s_add_co_i32 s11, s11, s10
	s_cmp_eq_u32 s24, 0
	v_and_b32_e32 v37, 0x3ff, v0
	s_cselect_b32 s10, ttmp9, s11
	v_lshl_add_u32 v39, v1, 10, 0x4200
	v_lshl_add_u32 v36, s10, 3, v1
	s_delay_alu instid0(VALU_DEP_3) | instskip(NEXT) | instid1(VALU_DEP_2)
	v_dual_mov_b32 v3, 0 :: v_dual_lshlrev_b32 v6, 4, v37
	v_mul_hi_u32 v2, s20, v36
	s_delay_alu instid0(VALU_DEP_2) | instskip(SKIP_3) | instid1(VALU_DEP_2)
	v_mov_b32_e32 v7, v3
	s_wait_kmcnt 0x0
	s_mul_i32 s20, s30, s41
	s_ashr_i32 s27, s41, 31
	v_add_nc_u32_e32 v2, v36, v2
	s_mov_b32 s26, s41
	s_ashr_i32 s41, s40, 31
	s_delay_alu instid0(SALU_CYCLE_1) | instskip(NEXT) | instid1(VALU_DEP_1)
	s_lshr_b64 s[40:41], s[40:41], 2
	v_lshrrev_b32_e32 v2, s21, v2
	s_ashr_i32 s21, s20, 31
	s_delay_alu instid0(VALU_DEP_1) | instskip(NEXT) | instid1(VALU_DEP_1)
	v_mul_lo_u32 v2, v2, s22
	v_sub_nc_u32_e32 v2, v36, v2
	s_delay_alu instid0(VALU_DEP_1) | instskip(SKIP_1) | instid1(SALU_CYCLE_1)
	v_mul_u64_e32 v[4:5], s[40:41], v[2:3]
	s_mul_i32 s40, s28, s42
	s_ashr_i32 s41, s40, 31
	s_delay_alu instid0(SALU_CYCLE_1) | instskip(NEXT) | instid1(SALU_CYCLE_1)
	s_add_nc_u64 s[4:5], s[4:5], s[40:41]
	s_add_nc_u64 s[4:5], s[4:5], s[20:21]
	s_delay_alu instid0(VALU_DEP_1) | instid1(SALU_CYCLE_1)
	v_lshl_add_u64 v[4:5], v[4:5], 2, s[4:5]
	s_and_b64 s[4:5], s[26:27], -4
	s_cmp_eq_u64 s[14:15], 0
	s_delay_alu instid0(VALU_DEP_1)
	v_add_nc_u64_e32 v[12:13], v[4:5], v[6:7]
	s_clause 0x1
	global_load_b128 v[4:7], v[12:13], off
	global_load_b128 v[8:11], v[12:13], off offset:512
	v_add_nc_u64_e32 v[20:21], s[4:5], v[12:13]
	s_load_b32 s4, s[0:1], 0x40
	s_clause 0x1
	global_load_b128 v[12:15], v[20:21], off
	global_load_b128 v[16:19], v[20:21], off offset:512
	s_wait_loadcnt 0x3
	s_wait_kmcnt 0x0
	v_fma_mixlo_f16 v3, s4, v4, 0
	v_fma_mixlo_f16 v4, s4, v5, 0
	v_lshlrev_b32_e32 v40, 3, v37
	v_fma_mixlo_f16 v5, s4, v6, 0
	v_fma_mixlo_f16 v6, s4, v7, 0
	s_wait_loadcnt 0x2
	v_fma_mixlo_f16 v7, s4, v8, 0
	v_fma_mixlo_f16 v8, s4, v9, 0
	;; [unrolled: 1-line block ×4, first 2 shown]
	v_lshlrev_b32_e32 v4, 16, v4
	v_dual_add_nc_u32 v0, v39, v40 :: v_dual_lshlrev_b32 v6, 16, v6
	v_and_b32_e32 v3, 0xffff, v3
	v_and_b32_e32 v5, 0xffff, v5
	v_dual_lshlrev_b32 v8, 16, v8 :: v_dual_lshlrev_b32 v10, 16, v10
	v_and_b32_e32 v7, 0xffff, v7
	v_and_b32_e32 v9, 0xffff, v9
	s_wait_loadcnt 0x1
	v_fma_mixlo_f16 v11, s4, v12, 0
	v_fma_mixlo_f16 v12, s4, v13, 0
	;; [unrolled: 1-line block ×4, first 2 shown]
	s_wait_loadcnt 0x0
	v_fma_mixlo_f16 v15, s4, v16, 0
	v_fma_mixlo_f16 v16, s4, v17, 0
	;; [unrolled: 1-line block ×4, first 2 shown]
	v_or_b32_e32 v3, v4, v3
	v_or3_b32 v5, v6, v5, 0
	v_or_b32_e32 v6, v8, v7
	v_or3_b32 v7, v10, v9, 0
	v_lshlrev_b32_e32 v8, 16, v12
	v_and_b32_e32 v9, 0xffff, v11
	v_and_b32_e32 v11, 0xffff, v13
	v_lshlrev_b32_e32 v12, 16, v16
	v_and_b32_e32 v13, 0xffff, v15
	v_lshlrev_b32_e32 v10, 16, v14
	v_lshlrev_b32_e32 v14, 16, v18
	v_and_b32_e32 v15, 0xffff, v17
	v_or3_b32 v4, 0, 0, v3
	v_or_b32_e32 v3, v8, v9
	v_or_b32_e32 v12, v12, v13
	v_or3_b32 v6, 0, 0, v6
	v_or3_b32 v9, v10, v11, 0
	;; [unrolled: 1-line block ×5, first 2 shown]
	ds_store_2addr_b64 v0, v[4:5], v[6:7] offset1:32
	ds_store_2addr_b64 v0, v[8:9], v[10:11] offset0:64 offset1:96
	s_wait_dscnt 0x0
	s_barrier_signal -1
	s_barrier_wait -1
	s_cbranch_scc1 .LBB30_4
; %bb.3:
	s_load_b32 s4, s[0:1], 0xd0
	s_wait_kmcnt 0x0
	s_mul_i32 s4, s4, s28
	s_delay_alu instid0(SALU_CYCLE_1)
	s_add_co_i32 s4, s4, s10
	s_load_b32 s34, s[14:15], s4 offset:0x0 scale_offset
.LBB30_4:
	s_wait_xcnt 0x0
	s_bfe_u32 s4, ttmp6, 0x40010
	s_and_b32 s5, ttmp7, 0xffff
	s_add_co_i32 s4, s4, 1
	s_bfe_u32 s10, ttmp6, 0x40004
	s_mul_i32 s4, s5, s4
	v_lshlrev_b32_e32 v38, 2, v37
	s_add_co_i32 s10, s10, s4
	s_cmp_eq_u32 s24, 0
	v_mbcnt_lo_u32_b32 v41, -1, 0
	s_cselect_b32 s5, s5, s10
	s_mov_b32 s4, 0
	s_lshl_b32 s10, s5, 5
	s_wait_kmcnt 0x0
	s_cmp_lt_i32 s10, s34
	s_cbranch_scc1 .LBB30_7
; %bb.5:
	v_mbcnt_lo_u32_b32 v0, -1, 0
	s_delay_alu instid0(VALU_DEP_1)
	v_dual_mov_b32 v42, 32 :: v_dual_bitop2_b32 v47, 16, v0 bitop3:0x14
	v_xor_b32_e32 v46, 8, v0
	v_xor_b32_e32 v45, 4, v0
	;; [unrolled: 1-line block ×4, first 2 shown]
	s_and_not1_b32 vcc_lo, exec_lo, s4
	s_cbranch_vccz .LBB30_8
; %bb.6:
	v_dual_mov_b32 v33, 0xfeffffff :: v_dual_mov_b32 v72, 0
	v_dual_mov_b32 v19, 0 :: v_dual_mov_b32 v69, 0
	;; [unrolled: 1-line block ×3, first 2 shown]
	s_delay_alu instid0(VALU_DEP_2)
	v_dual_mov_b32 v32, v33 :: v_dual_mov_b32 v18, v19
	v_dual_mov_b32 v65, 0 :: v_dual_mov_b32 v68, 0
	;; [unrolled: 1-line block ×3, first 2 shown]
	s_branch .LBB30_11
.LBB30_7:
                                        ; implicit-def: $vgpr0
                                        ; implicit-def: $vgpr42
                                        ; implicit-def: $vgpr47
                                        ; implicit-def: $vgpr46
                                        ; implicit-def: $vgpr45
                                        ; implicit-def: $vgpr44
                                        ; implicit-def: $vgpr43
.LBB30_8:
	s_clause 0x1
	s_load_b64 s[20:21], s[0:1], 0x8c
	s_load_b128 s[24:27], s[0:1], 0x98
	s_mul_f32 s2, s2, 0x4f7ffffe
	s_sub_co_i32 s4, 0, s31
	s_mov_b32 s15, s3
	s_ashr_i32 s33, s30, 31
	s_cvt_u32_f32 s11, s2
	s_abs_i32 s2, s30
	s_ashr_i32 s35, s29, 31
	s_ashr_i32 s29, s28, 31
	s_mul_i32 s4, s4, s11
	s_load_b64 s[40:41], s[0:1], 0xa8
	s_mul_hi_u32 s4, s11, s4
	v_lshl_add_u32 v53, v1, 7, 0x6200
	s_add_co_i32 s14, s11, s4
	s_ashr_i32 s4, s39, 1
	s_mul_u64 s[14:15], s[2:3], s[14:15]
	s_xor_b32 s11, s33, s35
	s_mul_i32 s3, s15, s31
	v_mad_u32 v52, v2, s4, v37
	s_sub_co_i32 s2, s2, s3
	s_wait_kmcnt 0x0
	s_ashr_i32 s14, s26, 2
	s_ashr_i32 s20, s20, 2
	s_add_co_i32 s3, s15, 1
	s_sub_co_i32 s26, s2, s31
	s_cmp_ge_u32 s2, s31
	v_mul_lo_u32 v12, s20, v1
	s_cselect_b32 s3, s3, s15
	s_cselect_b32 s2, s26, s2
	s_add_co_i32 s15, s3, 1
	s_cmp_ge_u32 s2, s31
	v_mul_lo_u32 v20, s14, v1
	s_cselect_b32 s2, s15, s3
	v_mul_u32_u24_e32 v50, 0x210, v37
	s_xor_b32 s15, s2, s11
	s_mul_u64 s[2:3], s[24:25], s[28:29]
	s_sub_co_i32 s11, s15, s11
	s_lshl_b32 s15, s20, 3
	s_delay_alu instid0(SALU_CYCLE_1) | instskip(SKIP_3) | instid1(VALU_DEP_1)
	v_dual_lshlrev_b32 v14, 2, v38 :: v_dual_add_nc_u32 v16, s15, v12
	s_mul_i32 s38, s11, s21
	s_add_nc_u64 s[2:3], s[6:7], s[2:3]
	s_ashr_i32 s39, s38, 31
	v_lshl_add_u32 v51, v1, 9, v14
	v_dual_add_nc_u32 v22, s15, v16 :: v_dual_ashrrev_i32 v17, 31, v16
	s_add_nc_u64 s[6:7], s[2:3], s[38:39]
	s_lshl_b32 s2, s14, 3
	s_delay_alu instid0(VALU_DEP_1) | instskip(SKIP_3) | instid1(VALU_DEP_3)
	v_dual_ashrrev_i32 v13, 31, v12 :: v_dual_add_nc_u32 v24, s15, v22
	v_dual_ashrrev_i32 v23, 31, v22 :: v_dual_add_nc_u32 v26, s2, v20
	v_mad_u32_u24 v48, 0x210, v1, v14
	v_dual_mov_b32 v15, 0 :: v_dual_add_nc_u32 v54, 0x1000, v51
	v_dual_ashrrev_i32 v25, 31, v24 :: v_dual_add_nc_u32 v28, s2, v26
	s_mul_u64 s[24:25], s[40:41], s[28:29]
	s_delay_alu instid0(VALU_DEP_3) | instskip(SKIP_1) | instid1(VALU_DEP_3)
	v_dual_mov_b32 v42, 32 :: v_dual_add_nc_u32 v49, 0x3180, v48
	v_mov_b32_e32 v32, 0xfeffffff
	v_dual_add_nc_u32 v30, s2, v28 :: v_dual_ashrrev_i32 v29, 31, v28
	s_add_nc_u64 s[8:9], s[8:9], s[24:25]
	s_mul_i32 s24, s11, s27
	v_dual_ashrrev_i32 v21, 31, v20 :: v_dual_ashrrev_i32 v27, 31, v26
	s_delay_alu instid0(VALU_DEP_2)
	v_ashrrev_i32_e32 v31, 31, v30
	v_dual_mov_b32 v66, v15 :: v_dual_add_nc_u32 v55, 0x2000, v51
	v_dual_mov_b32 v67, v15 :: v_dual_add_nc_u32 v56, 0x3000, v51
	v_dual_add_nc_u32 v57, v53, v38 :: v_dual_bitop2_b32 v47, 16, v41 bitop3:0x14
	v_dual_mov_b32 v68, v15 :: v_dual_bitop2_b32 v46, 8, v41 bitop3:0x14
	v_dual_mov_b32 v65, v15 :: v_dual_bitop2_b32 v45, 4, v41 bitop3:0x14
	;; [unrolled: 1-line block ×4, first 2 shown]
	v_dual_mov_b32 v69, v15 :: v_dual_add_nc_u32 v58, 0x800, v40
	v_dual_mov_b32 v72, v15 :: v_dual_add_nc_u32 v59, 0x1000, v40
	;; [unrolled: 1-line block ×5, first 2 shown]
	v_add_nc_u32_e32 v63, 0x3000, v40
	v_add_nc_u32_e32 v64, 0x3800, v40
	s_ashr_i32 s25, s24, 31
	s_ashr_i32 s21, s20, 31
	s_add_nc_u64 s[8:9], s[8:9], s[24:25]
	s_ashr_i32 s15, s14, 31
	s_add_nc_u64 s[24:25], s[0:1], 0xd0
.LBB30_9:                               ; =>This Inner Loop Header: Depth=1
	v_cmp_gt_i32_e64 s2, 32, v47
	v_dual_mov_b32 v9, v33 :: v_dual_mov_b32 v8, v32
	v_add_nc_u32_e32 v10, s10, v52
	s_ashr_i32 s11, s10, 31
	v_cndmask_b32_e64 v33, v41, v47, s2
	v_cmp_gt_i32_e64 s2, 32, v46
	v_cmp_gt_i32_e32 vcc_lo, 32, v43
	v_dual_mov_b32 v74, 0 :: v_dual_add_nc_u32 v35, 0x1080, v48
	s_delay_alu instid0(VALU_DEP_3) | instskip(SKIP_2) | instid1(VALU_DEP_2)
	v_dual_mov_b32 v75, 0 :: v_dual_cndmask_b32 v34, v41, v46, s2
	v_cmp_gt_i32_e64 s2, 32, v45
	v_dual_cndmask_b32 v73, v41, v43, vcc_lo :: v_dual_lshlrev_b32 v33, 2, v33
	v_cndmask_b32_e64 v11, v41, v45, s2
	v_cmp_gt_i32_e64 s2, 32, v44
	s_delay_alu instid0(VALU_DEP_3) | instskip(NEXT) | instid1(VALU_DEP_2)
	v_dual_lshlrev_b32 v34, 2, v34 :: v_dual_lshlrev_b32 v73, 2, v73
	v_dual_lshlrev_b32 v11, 2, v11 :: v_dual_cndmask_b32 v32, v41, v44, s2
	s_mul_u64 s[2:3], s[10:11], s[20:21]
	s_delay_alu instid0(SALU_CYCLE_1) | instskip(NEXT) | instid1(SALU_CYCLE_1)
	s_lshl_b64 s[2:3], s[2:3], 2
	s_add_nc_u64 s[2:3], s[6:7], s[2:3]
	s_delay_alu instid0(VALU_DEP_1)
	v_lshlrev_b32_e32 v32, 2, v32
	v_lshl_add_u64 v[0:1], v[12:13], 2, s[2:3]
	v_lshl_add_u64 v[2:3], v[16:17], 2, s[2:3]
	;; [unrolled: 1-line block ×4, first 2 shown]
	s_mul_u64 s[2:3], s[10:11], s[14:15]
	v_add_nc_u64_e32 v[76:77], v[0:1], v[14:15]
	v_add_nc_u64_e32 v[78:79], v[2:3], v[14:15]
	v_add_nc_u64_e32 v[80:81], v[4:5], v[14:15]
	v_add_nc_u64_e32 v[82:83], v[6:7], v[14:15]
	s_clause 0x1
	global_load_b128 v[0:3], v[76:77], off
	global_load_b128 v[4:7], v[78:79], off
	s_lshl_b64 s[2:3], s[2:3], 2
	s_delay_alu instid0(SALU_CYCLE_1)
	s_add_nc_u64 s[2:3], s[8:9], s[2:3]
	s_wait_loadcnt 0x1
	ds_store_b128 v48, v[0:3]
	s_clause 0x1
	global_load_b128 v[0:3], v[80:81], off
	global_load_b128 v[76:79], v[82:83], off
	s_wait_loadcnt 0x2
	ds_store_b128 v35, v[4:7]
	v_add_nc_u32_e32 v4, 0x2100, v48
	v_max_num_f32_e32 v35, v8, v8
	s_wait_loadcnt 0x1
	ds_store_b128 v4, v[0:3]
	s_wait_loadcnt 0x0
	ds_store_b128 v49, v[76:79]
	s_wait_dscnt 0x0
	s_barrier_signal -1
	s_barrier_wait -1
	ds_load_b128 v[0:3], v50
	ds_load_b128 v[4:7], v39
	ds_load_b128 v[76:79], v39 offset:512
	s_wait_dscnt 0x1
	;;#ASMSTART
	v_dot2_f32_f16 v74, v0, v4, v74
	;;#ASMEND
	;;#ASMSTART
	v_dot2_f32_f16 v74, v1, v5, v74
	;;#ASMEND
	;;#ASMSTART
	v_dot2_f32_f16 v74, v2, v6, v74
	;;#ASMEND
	;;#ASMSTART
	v_dot2_f32_f16 v74, v3, v7, v74
	;;#ASMEND
	s_wait_dscnt 0x0
	;;#ASMSTART
	v_dot2_f32_f16 v75, v0, v76, v75
	;;#ASMEND
	;;#ASMSTART
	v_dot2_f32_f16 v75, v1, v77, v75
	;;#ASMEND
	;;#ASMSTART
	v_dot2_f32_f16 v75, v2, v78, v75
	;;#ASMEND
	;;#ASMSTART
	v_dot2_f32_f16 v75, v3, v79, v75
	;;#ASMEND
	ds_load_b128 v[0:3], v50 offset:16
	ds_load_b128 v[4:7], v39 offset:16
	ds_load_b128 v[76:79], v39 offset:528
	s_wait_dscnt 0x1
	;;#ASMSTART
	v_dot2_f32_f16 v74, v0, v4, v74
	;;#ASMEND
	;;#ASMSTART
	v_dot2_f32_f16 v74, v1, v5, v74
	;;#ASMEND
	;;#ASMSTART
	v_dot2_f32_f16 v74, v2, v6, v74
	;;#ASMEND
	;;#ASMSTART
	v_dot2_f32_f16 v74, v3, v7, v74
	;;#ASMEND
	s_wait_dscnt 0x0
	;;#ASMSTART
	v_dot2_f32_f16 v75, v0, v76, v75
	;;#ASMEND
	;;#ASMSTART
	v_dot2_f32_f16 v75, v1, v77, v75
	;;#ASMEND
	;;#ASMSTART
	v_dot2_f32_f16 v75, v2, v78, v75
	;;#ASMEND
	;;#ASMSTART
	v_dot2_f32_f16 v75, v3, v79, v75
	;;#ASMEND
	ds_load_b128 v[0:3], v50 offset:32
	ds_load_b128 v[4:7], v39 offset:32
	;; [unrolled: 29-line block ×31, first 2 shown]
	ds_load_b128 v[4:7], v39 offset:1008
	s_wait_dscnt 0x1
	;;#ASMSTART
	v_dot2_f32_f16 v74, v0, v76, v74
	;;#ASMEND
	;;#ASMSTART
	v_dot2_f32_f16 v74, v1, v77, v74
	;;#ASMEND
	;; [unrolled: 3-line block ×4, first 2 shown]
	s_wait_dscnt 0x0
	;;#ASMSTART
	v_dot2_f32_f16 v75, v0, v4, v75
	;;#ASMEND
	;;#ASMSTART
	v_dot2_f32_f16 v75, v1, v5, v75
	;;#ASMEND
	;; [unrolled: 3-line block ×4, first 2 shown]
	global_load_u16 v6, v10, s[36:37] scale_offset
	v_max_num_f32_e32 v76, v9, v9
	v_lshl_add_u64 v[4:5], v[28:29], 2, s[2:3]
	v_lshl_add_u64 v[2:3], v[26:27], 2, s[2:3]
	v_lshl_add_u64 v[0:1], v[20:21], 2, s[2:3]
	s_wait_loadcnt 0x0
	s_barrier_signal -1
	s_barrier_wait -1
	s_delay_alu instid0(VALU_DEP_1) | instskip(SKIP_1) | instid1(VALU_DEP_1)
	v_add_nc_u64_e32 v[0:1], v[0:1], v[14:15]
	v_cvt_f32_f16_e32 v6, v6
	v_dual_add_f32 v7, v75, v6 :: v_dual_add_f32 v6, v74, v6
	s_delay_alu instid0(VALU_DEP_1) | instskip(SKIP_1) | instid1(VALU_DEP_1)
	v_add_f32_e32 v74, 0x40051340, v6
	s_wait_xcnt 0x0
	v_dual_add_f32 v10, 0x40051340, v7 :: v_dual_max_num_f32 v35, v35, v74
	s_delay_alu instid0(VALU_DEP_1) | instskip(SKIP_4) | instid1(VALU_DEP_1)
	v_max_num_f32_e32 v10, v76, v10
	ds_bpermute_b32 v74, v33, v10
	ds_bpermute_b32 v33, v33, v35
	s_wait_dscnt 0x0
	v_dual_max_num_f32 v74, v74, v74 :: v_dual_max_num_f32 v33, v33, v33
	v_dual_max_num_f32 v10, v10, v74 :: v_dual_max_num_f32 v33, v35, v33
	ds_bpermute_b32 v35, v34, v10
	ds_bpermute_b32 v34, v34, v33
	s_wait_dscnt 0x0
	v_dual_max_num_f32 v35, v35, v35 :: v_dual_max_num_f32 v34, v34, v34
	s_delay_alu instid0(VALU_DEP_1) | instskip(SKIP_4) | instid1(VALU_DEP_1)
	v_dual_max_num_f32 v10, v10, v35 :: v_dual_max_num_f32 v33, v33, v34
	ds_bpermute_b32 v34, v11, v10
	ds_bpermute_b32 v11, v11, v33
	s_wait_dscnt 0x0
	v_dual_max_num_f32 v34, v34, v34 :: v_dual_max_num_f32 v11, v11, v11
	v_dual_max_num_f32 v11, v33, v11 :: v_dual_max_num_f32 v10, v10, v34
	ds_bpermute_b32 v33, v32, v10
	ds_bpermute_b32 v32, v32, v11
	s_wait_dscnt 0x0
	v_dual_max_num_f32 v33, v33, v33 :: v_dual_max_num_f32 v32, v32, v32
	s_delay_alu instid0(VALU_DEP_1) | instskip(SKIP_4) | instid1(VALU_DEP_1)
	v_dual_max_num_f32 v11, v11, v32 :: v_dual_max_num_f32 v10, v10, v33
	ds_bpermute_b32 v33, v73, v11
	ds_bpermute_b32 v32, v73, v10
	s_wait_dscnt 0x0
	v_dual_max_num_f32 v32, v32, v32 :: v_dual_max_num_f32 v34, v33, v33
	v_dual_max_num_f32 v33, v10, v32 :: v_dual_max_num_f32 v32, v11, v34
	s_delay_alu instid0(VALU_DEP_1) | instskip(NEXT) | instid1(VALU_DEP_2)
	v_dual_sub_f32 v75, v9, v33 :: v_dual_sub_f32 v73, v7, v33
	v_dual_sub_f32 v74, v6, v32 :: v_dual_sub_f32 v76, v8, v32
	s_delay_alu instid0(VALU_DEP_2) | instskip(NEXT) | instid1(VALU_DEP_2)
	v_cmp_ngt_f32_e32 vcc_lo, 0xc2ce8ed0, v73
	v_dual_mul_f32 v7, 0x3fb8aa3b, v74 :: v_dual_mul_f32 v6, 0x3fb8aa3b, v73
	s_delay_alu instid0(VALU_DEP_3) | instskip(SKIP_1) | instid1(VALU_DEP_3)
	v_dual_mul_f32 v9, 0x3fb8aa3b, v76 :: v_dual_mul_f32 v8, 0x3fb8aa3b, v75
	v_cmp_ngt_f32_e64 s4, 0xc2ce8ed0, v74
	v_fma_f32 v11, 0x3fb8aa3b, v74, -v7
	s_delay_alu instid0(VALU_DEP_4)
	v_fma_f32 v10, 0x3fb8aa3b, v73, -v6
	v_rndne_f32_e32 v77, v6
	v_rndne_f32_e32 v34, v7
	v_fma_f32 v35, 0x3fb8aa3b, v76, -v9
	v_rndne_f32_e32 v79, v9
	v_dual_fmac_f32 v10, 0x32a5705f, v73 :: v_dual_fmac_f32 v11, 0x32a5705f, v74
	s_delay_alu instid0(VALU_DEP_3) | instskip(NEXT) | instid1(VALU_DEP_3)
	v_dual_sub_f32 v6, v6, v77 :: v_dual_fmac_f32 v35, 0x32a5705f, v76
	v_sub_f32_e32 v9, v9, v79
	v_rndne_f32_e32 v81, v8
	s_delay_alu instid0(VALU_DEP_3) | instskip(SKIP_2) | instid1(VALU_DEP_4)
	v_add_f32_e32 v78, v6, v10
	v_sub_f32_e32 v6, v7, v34
	v_fma_f32 v7, 0x3fb8aa3b, v75, -v8
	v_dual_add_f32 v80, v9, v35 :: v_dual_sub_f32 v8, v8, v81
	v_cvt_i32_f32_e32 v9, v34
	s_delay_alu instid0(VALU_DEP_4) | instskip(NEXT) | instid1(VALU_DEP_4)
	v_add_f32_e32 v6, v6, v11
	v_fmac_f32_e32 v7, 0x32a5705f, v75
	v_add_nc_u64_e32 v[10:11], v[4:5], v[14:15]
	v_exp_f32_e32 v5, v80
	v_exp_f32_e32 v4, v78
	;; [unrolled: 1-line block ×3, first 2 shown]
	v_add_f32_e32 v82, v8, v7
	s_delay_alu instid0(TRANS32_DEP_1)
	v_ldexp_f32 v83, v6, v9
	v_lshl_add_u64 v[6:7], v[30:31], 2, s[2:3]
	v_add_nc_u64_e32 v[8:9], v[2:3], v[14:15]
	v_cvt_i32_f32_e32 v3, v79
	v_cvt_i32_f32_e32 v2, v77
	v_cmp_ngt_f32_e64 s2, 0xc2ce8ed0, v76
	v_add_nc_u64_e32 v[34:35], v[6:7], v[14:15]
	v_exp_f32_e32 v6, v82
	v_ldexp_f32 v77, v5, v3
	v_cvt_i32_f32_e32 v5, v81
	v_ldexp_f32 v4, v4, v2
	v_cmp_ngt_f32_e64 s3, 0xc2ce8ed0, v75
	global_load_b128 v[0:3], v[0:1], off
	v_ldexp_f32 v78, v6, v5
	v_cndmask_b32_e32 v79, 0, v4, vcc_lo
	v_cmp_nlt_f32_e32 vcc_lo, 0x42b17218, v73
	s_clause 0x1
	global_load_b128 v[4:7], v[8:9], off
	global_load_b128 v[8:11], v[10:11], off
	v_cndmask_b32_e64 v73, 0, v78, s3
	v_cmp_nlt_f32_e64 s3, 0x42b17218, v75
	v_cndmask_b32_e64 v75, 0, v77, s2
	v_cmp_nlt_f32_e64 s2, 0x42b17218, v76
	;; [unrolled: 2-line block ×3, first 2 shown]
	v_cndmask_b32_e32 v77, 0x7f800000, v79, vcc_lo
	v_cndmask_b32_e64 v79, 0x7f800000, v73, s3
	v_cndmask_b32_e64 v78, 0x7f800000, v75, s2
	s_delay_alu instid0(VALU_DEP_4) | instskip(NEXT) | instid1(VALU_DEP_3)
	v_cndmask_b32_e64 v76, 0x7f800000, v76, s4
	v_cvt_f16_f32_e32 v74, v79
	s_delay_alu instid0(VALU_DEP_3) | instskip(NEXT) | instid1(VALU_DEP_3)
	v_cvt_f16_f32_e32 v73, v78
	v_cvt_pk_f16_f32 v75, v76, v77
	v_pk_fma_f32 v[18:19], v[18:19], v[78:79], v[76:77]
	global_load_b128 v[76:79], v[34:35], off
	s_wait_xcnt 0x0
	v_and_b32_e32 v34, 0xffff, v73
	v_and_b32_e32 v35, 0xffff, v74
	ds_store_b32 v57, v75
	s_wait_loadcnt 0x3
	ds_store_b128 v51, v[0:3]
	s_wait_loadcnt 0x2
	ds_store_b128 v54, v[4:7]
	;; [unrolled: 2-line block ×4, first 2 shown]
	s_wait_dscnt 0x0
	s_barrier_signal -1
	s_barrier_wait -1
	ds_load_b128 v[4:7], v53
	ds_load_2addr_b64 v[8:11], v40 offset1:32
	ds_load_b128 v[0:3], v53 offset:16
	v_mul_u32_u24_e32 v34, 0x10001, v34
	v_mul_u32_u24_e32 v35, 0x10001, v35
	s_delay_alu instid0(VALU_DEP_2) | instskip(SKIP_2) | instid1(VALU_DEP_4)
	v_pk_mul_f16 v72, v72, v34
	v_pk_mul_f16 v71, v71, v34
	;; [unrolled: 1-line block ×6, first 2 shown]
	s_wait_dscnt 0x2
	v_and_b32_e32 v73, 0xffff, v4
	v_dual_lshrrev_b32 v4, 16, v4 :: v_dual_lshrrev_b32 v77, 16, v7
	s_delay_alu instid0(VALU_DEP_2) | instskip(NEXT) | instid1(VALU_DEP_2)
	v_mul_u32_u24_e32 v73, 0x10001, v73
	v_mul_u32_u24_e32 v4, 0x10001, v4
	s_wait_dscnt 0x1
	s_delay_alu instid0(VALU_DEP_2)
	v_pk_fma_f16 v72, v9, v73, v72
	v_pk_fma_f16 v71, v10, v73, v71
	;; [unrolled: 1-line block ×3, first 2 shown]
	v_pk_mul_f16 v73, v8, v73
	v_pk_fma_f16 v74, v9, v4, v68
	v_pk_fma_f16 v75, v10, v4, v67
	;; [unrolled: 1-line block ×3, first 2 shown]
	v_pk_mul_f16 v4, v8, v4
	ds_load_2addr_b64 v[8:11], v40 offset0:64 offset1:96
	v_pk_fma_f16 v34, v69, v34, v73
	ds_load_2addr_b64 v[66:69], v40 offset0:128 offset1:160
	v_and_b32_e32 v73, 0xffff, v5
	v_lshrrev_b32_e32 v5, 16, v5
	v_pk_fma_f16 v4, v65, v35, v4
	s_delay_alu instid0(VALU_DEP_3) | instskip(NEXT) | instid1(VALU_DEP_3)
	v_mul_u32_u24_e32 v35, 0x10001, v73
	v_mul_u32_u24_e32 v5, 0x10001, v5
	s_wait_dscnt 0x1
	s_delay_alu instid0(VALU_DEP_2)
	v_pk_fma_f16 v65, v9, v35, v72
	v_pk_fma_f16 v71, v10, v35, v71
	;; [unrolled: 1-line block ×8, first 2 shown]
	ds_load_2addr_b64 v[8:11], v40 offset0:192 offset1:224
	v_and_b32_e32 v4, 0xffff, v6
	v_lshrrev_b32_e32 v75, 16, v6
	v_and_b32_e32 v76, 0xffff, v7
	s_delay_alu instid0(VALU_DEP_3) | instskip(NEXT) | instid1(VALU_DEP_3)
	v_mul_u32_u24_e32 v4, 0x10001, v4
	v_mul_u32_u24_e32 v75, 0x10001, v75
	s_wait_dscnt 0x1
	s_delay_alu instid0(VALU_DEP_2)
	v_pk_fma_f16 v65, v67, v4, v65
	v_pk_fma_f16 v71, v68, v4, v71
	;; [unrolled: 1-line block ×4, first 2 shown]
	ds_load_2addr_b64 v[4:7], v58 offset1:32
	v_pk_fma_f16 v72, v67, v75, v72
	v_pk_fma_f16 v73, v68, v75, v73
	;; [unrolled: 1-line block ×4, first 2 shown]
	v_mul_u32_u24_e32 v75, 0x10001, v76
	ds_load_2addr_b64 v[66:69], v58 offset0:64 offset1:96
	v_mul_u32_u24_e32 v76, 0x10001, v77
	s_wait_dscnt 0x2
	v_pk_fma_f16 v65, v9, v75, v65
	v_pk_fma_f16 v71, v10, v75, v71
	;; [unrolled: 1-line block ×4, first 2 shown]
	v_and_b32_e32 v75, 0xffff, v0
	v_lshrrev_b32_e32 v0, 16, v0
	v_pk_fma_f16 v72, v9, v76, v72
	v_pk_fma_f16 v73, v10, v76, v73
	;; [unrolled: 1-line block ×4, first 2 shown]
	v_mul_u32_u24_e32 v0, 0x10001, v0
	ds_load_2addr_b64 v[8:11], v58 offset0:128 offset1:160
	v_mul_u32_u24_e32 v75, 0x10001, v75
	s_wait_dscnt 0x2
	v_pk_fma_f16 v72, v5, v0, v72
	v_pk_fma_f16 v73, v6, v0, v73
	;; [unrolled: 1-line block ×4, first 2 shown]
	v_and_b32_e32 v35, 0xffff, v1
	v_lshrrev_b32_e32 v1, 16, v1
	v_pk_fma_f16 v65, v5, v75, v65
	v_pk_fma_f16 v71, v6, v75, v71
	;; [unrolled: 1-line block ×4, first 2 shown]
	v_mul_u32_u24_e32 v35, 0x10001, v35
	v_mul_u32_u24_e32 v1, 0x10001, v1
	ds_load_2addr_b64 v[4:7], v58 offset0:192 offset1:224
	s_wait_dscnt 0x2
	v_pk_fma_f16 v65, v67, v35, v65
	v_pk_fma_f16 v71, v68, v35, v71
	;; [unrolled: 1-line block ×8, first 2 shown]
	ds_load_b128 v[66:69], v53 offset:32
	v_and_b32_e32 v1, 0xffff, v2
	v_lshrrev_b32_e32 v2, 16, v2
	v_and_b32_e32 v35, 0xffff, v3
	v_lshrrev_b32_e32 v3, 16, v3
	s_delay_alu instid0(VALU_DEP_4) | instskip(NEXT) | instid1(VALU_DEP_4)
	v_mul_u32_u24_e32 v1, 0x10001, v1
	v_mul_u32_u24_e32 v2, 0x10001, v2
	s_delay_alu instid0(VALU_DEP_3) | instskip(SKIP_1) | instid1(VALU_DEP_3)
	v_mul_u32_u24_e32 v3, 0x10001, v3
	s_wait_dscnt 0x2
	v_pk_fma_f16 v77, v10, v1, v71
	v_pk_fma_f16 v78, v11, v1, v70
	ds_load_2addr_b64 v[70:73], v59 offset1:32
	v_pk_fma_f16 v65, v9, v1, v65
	v_pk_fma_f16 v1, v8, v1, v34
	;; [unrolled: 1-line block ×6, first 2 shown]
	v_mul_u32_u24_e32 v2, 0x10001, v35
	ds_load_2addr_b64 v[8:11], v59 offset0:64 offset1:96
	s_wait_dscnt 0x3
	v_pk_fma_f16 v35, v5, v2, v65
	v_pk_fma_f16 v65, v6, v2, v77
	;; [unrolled: 1-line block ×8, first 2 shown]
	ds_load_b128 v[0:3], v53 offset:48
	s_wait_dscnt 0x3
	v_and_b32_e32 v74, 0xffff, v66
	v_dual_lshrrev_b32 v66, 16, v66 :: v_dual_lshrrev_b32 v77, 16, v69
	s_delay_alu instid0(VALU_DEP_2) | instskip(NEXT) | instid1(VALU_DEP_2)
	v_mul_u32_u24_e32 v74, 0x10001, v74
	v_mul_u32_u24_e32 v66, 0x10001, v66
	s_wait_dscnt 0x2
	s_delay_alu instid0(VALU_DEP_2)
	v_pk_fma_f16 v35, v71, v74, v35
	v_pk_fma_f16 v65, v72, v74, v65
	;; [unrolled: 1-line block ×8, first 2 shown]
	ds_load_2addr_b64 v[4:7], v59 offset0:128 offset1:160
	v_and_b32_e32 v70, 0xffff, v67
	v_lshrrev_b32_e32 v67, 16, v67
	v_and_b32_e32 v76, 0xffff, v69
	s_wait_dscnt 0x1
	v_and_b32_e32 v78, 0xffff, v3
	v_lshrrev_b32_e32 v3, 16, v3
	v_mul_u32_u24_e32 v70, 0x10001, v70
	v_mul_u32_u24_e32 v67, 0x10001, v67
	s_delay_alu instid0(VALU_DEP_3) | instskip(NEXT) | instid1(VALU_DEP_3)
	v_mul_u32_u24_e32 v3, 0x10001, v3
	v_pk_fma_f16 v35, v9, v70, v35
	v_pk_fma_f16 v65, v10, v70, v65
	;; [unrolled: 1-line block ×8, first 2 shown]
	ds_load_2addr_b64 v[8:11], v59 offset0:192 offset1:224
	v_and_b32_e32 v66, 0xffff, v68
	v_lshrrev_b32_e32 v75, 16, v68
	s_delay_alu instid0(VALU_DEP_2) | instskip(NEXT) | instid1(VALU_DEP_2)
	v_mul_u32_u24_e32 v66, 0x10001, v66
	v_mul_u32_u24_e32 v75, 0x10001, v75
	s_wait_dscnt 0x1
	s_delay_alu instid0(VALU_DEP_2)
	v_pk_fma_f16 v35, v5, v66, v35
	v_pk_fma_f16 v65, v6, v66, v65
	;; [unrolled: 1-line block ×4, first 2 shown]
	ds_load_2addr_b64 v[66:69], v60 offset1:32
	v_pk_fma_f16 v71, v5, v75, v71
	v_pk_fma_f16 v72, v6, v75, v72
	;; [unrolled: 1-line block ×4, first 2 shown]
	v_mul_u32_u24_e32 v75, 0x10001, v76
	ds_load_2addr_b64 v[4:7], v60 offset0:64 offset1:96
	v_mul_u32_u24_e32 v76, 0x10001, v77
	s_wait_dscnt 0x2
	v_pk_fma_f16 v35, v9, v75, v35
	v_pk_fma_f16 v65, v10, v75, v65
	;; [unrolled: 1-line block ×4, first 2 shown]
	v_and_b32_e32 v75, 0xffff, v0
	v_lshrrev_b32_e32 v0, 16, v0
	v_pk_fma_f16 v71, v9, v76, v71
	v_pk_fma_f16 v72, v10, v76, v72
	;; [unrolled: 1-line block ×4, first 2 shown]
	v_mul_u32_u24_e32 v0, 0x10001, v0
	v_mul_u32_u24_e32 v75, 0x10001, v75
	ds_load_2addr_b64 v[8:11], v60 offset0:128 offset1:160
	s_wait_dscnt 0x2
	v_pk_fma_f16 v71, v67, v0, v71
	v_pk_fma_f16 v72, v68, v0, v72
	;; [unrolled: 1-line block ×4, first 2 shown]
	v_and_b32_e32 v70, 0xffff, v1
	v_lshrrev_b32_e32 v1, 16, v1
	v_pk_fma_f16 v35, v67, v75, v35
	v_pk_fma_f16 v65, v68, v75, v65
	v_pk_fma_f16 v74, v69, v75, v74
	v_pk_fma_f16 v34, v66, v75, v34
	v_mul_u32_u24_e32 v70, 0x10001, v70
	v_mul_u32_u24_e32 v1, 0x10001, v1
	ds_load_2addr_b64 v[66:69], v60 offset0:192 offset1:224
	s_wait_dscnt 0x2
	v_pk_fma_f16 v35, v5, v70, v35
	v_pk_fma_f16 v65, v6, v70, v65
	v_pk_fma_f16 v74, v7, v70, v74
	v_pk_fma_f16 v75, v5, v1, v71
	v_pk_fma_f16 v76, v6, v1, v72
	v_pk_fma_f16 v77, v7, v1, v73
	v_pk_fma_f16 v34, v4, v70, v34
	v_pk_fma_f16 v0, v4, v1, v0
	ds_load_b128 v[4:7], v53 offset:64
	v_and_b32_e32 v1, 0xffff, v2
	v_lshrrev_b32_e32 v2, 16, v2
	ds_load_2addr_b64 v[70:73], v61 offset1:32
	v_mul_u32_u24_e32 v1, 0x10001, v1
	v_mul_u32_u24_e32 v2, 0x10001, v2
	s_wait_dscnt 0x3
	s_delay_alu instid0(VALU_DEP_2)
	v_pk_fma_f16 v35, v9, v1, v35
	v_pk_fma_f16 v65, v10, v1, v65
	;; [unrolled: 1-line block ×8, first 2 shown]
	v_mul_u32_u24_e32 v2, 0x10001, v78
	ds_load_2addr_b64 v[8:11], v61 offset0:64 offset1:96
	s_wait_dscnt 0x3
	v_pk_fma_f16 v34, v67, v3, v34
	v_pk_fma_f16 v35, v67, v2, v35
	;; [unrolled: 1-line block ×8, first 2 shown]
	ds_load_b128 v[0:3], v53 offset:80
	s_wait_dscnt 0x3
	v_and_b32_e32 v75, 0xffff, v4
	v_lshrrev_b32_e32 v4, 16, v4
	v_and_b32_e32 v76, 0xffff, v7
	v_lshrrev_b32_e32 v77, 16, v7
	s_delay_alu instid0(VALU_DEP_4) | instskip(NEXT) | instid1(VALU_DEP_4)
	v_mul_u32_u24_e32 v75, 0x10001, v75
	v_mul_u32_u24_e32 v4, 0x10001, v4
	s_wait_dscnt 0x2
	s_delay_alu instid0(VALU_DEP_2)
	v_pk_fma_f16 v35, v71, v75, v35
	v_pk_fma_f16 v65, v72, v75, v65
	v_pk_fma_f16 v74, v73, v75, v74
	v_pk_fma_f16 v34, v71, v4, v34
	v_pk_fma_f16 v71, v72, v4, v67
	v_pk_fma_f16 v72, v73, v4, v68
	v_pk_fma_f16 v73, v70, v75, v69
	v_pk_fma_f16 v4, v70, v4, v66
	ds_load_2addr_b64 v[66:69], v61 offset0:128 offset1:160
	v_and_b32_e32 v70, 0xffff, v5
	v_dual_lshrrev_b32 v5, 16, v5 :: v_dual_lshrrev_b32 v75, 16, v6
	s_delay_alu instid0(VALU_DEP_2) | instskip(NEXT) | instid1(VALU_DEP_2)
	v_mul_u32_u24_e32 v70, 0x10001, v70
	v_mul_u32_u24_e32 v5, 0x10001, v5
	s_delay_alu instid0(VALU_DEP_3) | instskip(SKIP_1) | instid1(VALU_DEP_3)
	v_mul_u32_u24_e32 v75, 0x10001, v75
	s_wait_dscnt 0x2
	v_pk_fma_f16 v35, v9, v70, v35
	v_pk_fma_f16 v65, v10, v70, v65
	;; [unrolled: 1-line block ×8, first 2 shown]
	ds_load_2addr_b64 v[8:11], v61 offset0:192 offset1:224
	v_and_b32_e32 v4, 0xffff, v6
	s_wait_dscnt 0x1
	v_pk_fma_f16 v34, v67, v75, v34
	v_pk_fma_f16 v71, v68, v75, v71
	;; [unrolled: 1-line block ×4, first 2 shown]
	v_mul_u32_u24_e32 v4, 0x10001, v4
	v_mul_u32_u24_e32 v75, 0x10001, v76
	;; [unrolled: 1-line block ×3, first 2 shown]
	v_lshrrev_b32_e32 v77, 16, v3
	s_delay_alu instid0(VALU_DEP_4)
	v_pk_fma_f16 v35, v67, v4, v35
	v_pk_fma_f16 v65, v68, v4, v65
	;; [unrolled: 1-line block ×4, first 2 shown]
	ds_load_2addr_b64 v[4:7], v62 offset1:32
	ds_load_2addr_b64 v[66:69], v62 offset0:64 offset1:96
	s_wait_dscnt 0x2
	v_pk_fma_f16 v35, v9, v75, v35
	v_pk_fma_f16 v65, v10, v75, v65
	v_pk_fma_f16 v74, v11, v75, v74
	v_pk_fma_f16 v70, v8, v75, v70
	v_and_b32_e32 v75, 0xffff, v0
	v_lshrrev_b32_e32 v0, 16, v0
	v_pk_fma_f16 v34, v9, v76, v34
	v_pk_fma_f16 v71, v10, v76, v71
	;; [unrolled: 1-line block ×4, first 2 shown]
	v_mul_u32_u24_e32 v0, 0x10001, v0
	ds_load_2addr_b64 v[8:11], v62 offset0:128 offset1:160
	v_mul_u32_u24_e32 v75, 0x10001, v75
	v_and_b32_e32 v76, 0xffff, v3
	s_wait_dscnt 0x2
	v_pk_fma_f16 v34, v5, v0, v34
	v_pk_fma_f16 v71, v6, v0, v71
	;; [unrolled: 1-line block ×4, first 2 shown]
	v_and_b32_e32 v73, 0xffff, v1
	v_lshrrev_b32_e32 v1, 16, v1
	v_pk_fma_f16 v35, v5, v75, v35
	v_pk_fma_f16 v65, v6, v75, v65
	;; [unrolled: 1-line block ×4, first 2 shown]
	v_mul_u32_u24_e32 v73, 0x10001, v73
	v_mul_u32_u24_e32 v1, 0x10001, v1
	ds_load_2addr_b64 v[4:7], v62 offset0:192 offset1:224
	v_lshrrev_b32_e32 v75, 16, v2
	s_wait_dscnt 0x2
	v_pk_fma_f16 v35, v67, v73, v35
	v_pk_fma_f16 v65, v68, v73, v65
	;; [unrolled: 1-line block ×8, first 2 shown]
	ds_load_b128 v[66:69], v53 offset:96
	v_and_b32_e32 v0, 0xffff, v2
	v_mul_u32_u24_e32 v75, 0x10001, v75
	s_delay_alu instid0(VALU_DEP_2) | instskip(SKIP_1) | instid1(VALU_DEP_2)
	v_mul_u32_u24_e32 v0, 0x10001, v0
	s_wait_dscnt 0x2
	v_pk_fma_f16 v34, v9, v75, v34
	v_pk_fma_f16 v71, v10, v75, v71
	;; [unrolled: 1-line block ×8, first 2 shown]
	ds_load_2addr_b64 v[0:3], v63 offset1:32
	v_mul_u32_u24_e32 v75, 0x10001, v76
	v_mul_u32_u24_e32 v76, 0x10001, v77
	ds_load_2addr_b64 v[8:11], v63 offset0:64 offset1:96
	s_wait_dscnt 0x3
	v_pk_fma_f16 v35, v5, v75, v35
	v_pk_fma_f16 v65, v6, v75, v65
	v_pk_fma_f16 v74, v7, v75, v74
	v_pk_fma_f16 v34, v5, v76, v34
	v_pk_fma_f16 v71, v6, v76, v71
	v_pk_fma_f16 v72, v7, v76, v72
	v_pk_fma_f16 v70, v4, v75, v70
	v_pk_fma_f16 v73, v4, v76, v73
	ds_load_b128 v[4:7], v53 offset:112
	s_wait_dscnt 0x3
	v_and_b32_e32 v75, 0xffff, v66
	v_lshrrev_b32_e32 v66, 16, v66
	v_and_b32_e32 v76, 0xffff, v69
	v_lshrrev_b32_e32 v77, 16, v69
	s_delay_alu instid0(VALU_DEP_4) | instskip(NEXT) | instid1(VALU_DEP_4)
	v_mul_u32_u24_e32 v75, 0x10001, v75
	v_mul_u32_u24_e32 v66, 0x10001, v66
	s_delay_alu instid0(VALU_DEP_4) | instskip(SKIP_1) | instid1(VALU_DEP_3)
	v_mul_u32_u24_e32 v76, 0x10001, v76
	s_wait_dscnt 0x2
	v_pk_fma_f16 v35, v1, v75, v35
	v_pk_fma_f16 v65, v2, v75, v65
	;; [unrolled: 1-line block ×8, first 2 shown]
	ds_load_2addr_b64 v[0:3], v63 offset0:128 offset1:160
	v_and_b32_e32 v73, 0xffff, v67
	v_dual_lshrrev_b32 v67, 16, v67 :: v_dual_lshrrev_b32 v75, 16, v68
	s_wait_dscnt 0x1
	v_lshrrev_b32_e32 v78, 16, v7
	s_delay_alu instid0(VALU_DEP_3) | instskip(NEXT) | instid1(VALU_DEP_3)
	v_mul_u32_u24_e32 v73, 0x10001, v73
	v_mul_u32_u24_e32 v67, 0x10001, v67
	;; [unrolled: 1-line block ×3, first 2 shown]
	s_delay_alu instid0(VALU_DEP_3)
	v_pk_fma_f16 v35, v9, v73, v35
	v_pk_fma_f16 v65, v10, v73, v65
	;; [unrolled: 1-line block ×8, first 2 shown]
	ds_load_2addr_b64 v[8:11], v63 offset0:192 offset1:224
	v_and_b32_e32 v66, 0xffff, v68
	s_wait_dscnt 0x1
	v_pk_fma_f16 v34, v1, v75, v34
	v_pk_fma_f16 v71, v2, v75, v71
	;; [unrolled: 1-line block ×4, first 2 shown]
	v_mul_u32_u24_e32 v66, 0x10001, v66
	v_and_b32_e32 v75, 0xffff, v4
	s_delay_alu instid0(VALU_DEP_2)
	v_pk_fma_f16 v35, v1, v66, v35
	v_pk_fma_f16 v65, v2, v66, v65
	;; [unrolled: 1-line block ×4, first 2 shown]
	ds_load_2addr_b64 v[66:69], v64 offset1:32
	ds_load_2addr_b64 v[0:3], v64 offset0:64 offset1:96
	s_wait_dscnt 0x2
	v_pk_fma_f16 v35, v9, v76, v35
	v_pk_fma_f16 v65, v10, v76, v65
	;; [unrolled: 1-line block ×4, first 2 shown]
	v_lshrrev_b32_e32 v76, 16, v4
	v_mul_u32_u24_e32 v4, 0x10001, v77
	v_and_b32_e32 v77, 0xffff, v7
	s_delay_alu instid0(VALU_DEP_2)
	v_pk_fma_f16 v9, v9, v4, v34
	v_pk_fma_f16 v10, v10, v4, v71
	;; [unrolled: 1-line block ×4, first 2 shown]
	v_mul_u32_u24_e32 v4, 0x10001, v75
	v_lshrrev_b32_e32 v71, 16, v5
	v_mul_u32_u24_e32 v75, 0x10001, v76
	v_and_b32_e32 v34, 0xffff, v5
	v_and_b32_e32 v72, 0xffff, v6
	v_lshrrev_b32_e32 v73, 16, v6
	s_wait_dscnt 0x1
	v_pk_fma_f16 v35, v67, v4, v35
	v_pk_fma_f16 v65, v68, v4, v65
	v_pk_fma_f16 v74, v69, v4, v74
	v_pk_fma_f16 v70, v66, v4, v70
	ds_load_2addr_b64 v[4:7], v64 offset0:128 offset1:160
	v_pk_fma_f16 v67, v67, v75, v9
	v_pk_fma_f16 v68, v68, v75, v10
	;; [unrolled: 1-line block ×4, first 2 shown]
	ds_load_2addr_b64 v[8:11], v64 offset0:192 offset1:224
	s_wait_dscnt 0x0
	s_barrier_signal -1
	s_barrier_wait -1
	s_load_b32 s2, s[24:25], 0x4
	v_mul_u32_u24_e32 v34, 0x10001, v34
	v_mul_u32_u24_e32 v71, 0x10001, v71
	;; [unrolled: 1-line block ×5, first 2 shown]
	v_pk_fma_f16 v35, v1, v34, v35
	v_pk_fma_f16 v65, v2, v34, v65
	;; [unrolled: 1-line block ×8, first 2 shown]
	v_mul_u32_u24_e32 v76, 0x10001, v78
	v_pk_fma_f16 v35, v5, v72, v35
	v_pk_fma_f16 v65, v6, v72, v65
	;; [unrolled: 1-line block ×8, first 2 shown]
	s_wait_kmcnt 0x0
	s_lshl_b32 s2, s2, 5
	v_pk_fma_f16 v72, v9, v75, v35
	v_pk_fma_f16 v71, v10, v75, v65
	;; [unrolled: 1-line block ×8, first 2 shown]
	s_add_co_i32 s10, s2, s10
	s_delay_alu instid0(SALU_CYCLE_1)
	s_cmp_ge_i32 s10, s34
	s_cbranch_scc0 .LBB30_9
; %bb.10:
	v_mov_b32_e32 v0, v41
.LBB30_11:
	v_cmp_lt_i32_e32 vcc_lo, v47, v42
	s_cmp_lg_u64 s[12:13], 0
	s_cselect_b32 s2, -1, 0
	s_cmp_eq_u32 s5, 0
	v_cndmask_b32_e32 v1, v0, v47, vcc_lo
	v_cmp_lt_i32_e32 vcc_lo, v46, v42
	s_cselect_b32 s3, -1, 0
	s_delay_alu instid0(SALU_CYCLE_1) | instskip(NEXT) | instid1(VALU_DEP_2)
	s_and_b32 s2, s3, s2
	v_lshlrev_b32_e32 v1, 2, v1
	ds_bpermute_b32 v2, v1, v18
	ds_bpermute_b32 v3, v1, v19
	v_cndmask_b32_e32 v1, v0, v46, vcc_lo
	v_cmp_lt_i32_e32 vcc_lo, v45, v42
	s_delay_alu instid0(VALU_DEP_2)
	v_lshlrev_b32_e32 v1, 2, v1
	s_wait_dscnt 0x0
	v_pk_add_f32 v[2:3], v[18:19], v[2:3]
	ds_bpermute_b32 v4, v1, v2
	ds_bpermute_b32 v5, v1, v3
	v_cndmask_b32_e32 v1, v0, v45, vcc_lo
	v_cmp_lt_i32_e32 vcc_lo, v44, v42
	s_delay_alu instid0(VALU_DEP_2)
	v_lshlrev_b32_e32 v1, 2, v1
	s_wait_dscnt 0x0
	v_pk_add_f32 v[2:3], v[2:3], v[4:5]
	ds_bpermute_b32 v4, v1, v2
	ds_bpermute_b32 v5, v1, v3
	v_cndmask_b32_e32 v1, v0, v44, vcc_lo
	v_cmp_lt_i32_e32 vcc_lo, v43, v42
	s_delay_alu instid0(VALU_DEP_2) | instskip(SKIP_1) | instid1(VALU_DEP_1)
	v_dual_cndmask_b32 v0, v0, v43 :: v_dual_lshlrev_b32 v1, 2, v1
	s_and_b32 vcc_lo, exec_lo, s2
	v_lshlrev_b32_e32 v6, 2, v0
	s_wait_dscnt 0x0
	v_pk_add_f32 v[2:3], v[2:3], v[4:5]
	ds_bpermute_b32 v4, v1, v2
	ds_bpermute_b32 v5, v1, v3
	s_wait_dscnt 0x0
	v_pk_add_f32 v[0:1], v[2:3], v[4:5]
	ds_bpermute_b32 v2, v6, v0
	ds_bpermute_b32 v3, v6, v1
	s_wait_dscnt 0x0
	v_pk_add_f32 v[0:1], v[0:1], v[2:3]
	s_cbranch_vccz .LBB30_13
; %bb.12:
	s_ashr_i32 s31, s30, 31
	v_dual_mov_b32 v2, 0 :: v_dual_max_num_f32 v4, v32, v32
	s_lshl_b64 s[2:3], s[30:31], 2
	v_max_num_f32_e32 v6, v33, v33
	s_add_nc_u64 s[2:3], s[12:13], s[2:3]
	global_load_b64 v[2:3], v2, s[2:3]
	s_wait_loadcnt 0x0
	v_dual_max_num_f32 v5, v2, v2 :: v_dual_max_num_f32 v7, v3, v3
	s_delay_alu instid0(VALU_DEP_1) | instskip(NEXT) | instid1(VALU_DEP_1)
	v_dual_max_num_f32 v4, v4, v5 :: v_dual_max_num_f32 v5, v6, v7
	v_dual_sub_f32 v6, v32, v4 :: v_dual_sub_f32 v7, v2, v4
	s_delay_alu instid0(VALU_DEP_2) | instskip(SKIP_1) | instid1(VALU_DEP_3)
	v_dual_sub_f32 v8, v33, v5 :: v_dual_sub_f32 v9, v3, v5
	v_mov_b64_e32 v[32:33], v[4:5]
	v_dual_mul_f32 v2, 0x3fb8aa3b, v6 :: v_dual_mul_f32 v3, 0x3fb8aa3b, v7
	s_delay_alu instid0(VALU_DEP_3) | instskip(SKIP_1) | instid1(VALU_DEP_3)
	v_mul_f32_e32 v10, 0x3fb8aa3b, v8
	v_cmp_ngt_f32_e32 vcc_lo, 0xc2ce8ed0, v6
	v_fma_f32 v12, 0x3fb8aa3b, v6, -v2
	v_rndne_f32_e32 v13, v2
	v_rndne_f32_e32 v15, v3
	v_fma_f32 v14, 0x3fb8aa3b, v7, -v3
	v_fma_f32 v16, 0x3fb8aa3b, v8, -v10
	v_fmac_f32_e32 v12, 0x32a5705f, v6
	s_delay_alu instid0(VALU_DEP_4) | instskip(SKIP_3) | instid1(VALU_DEP_4)
	v_dual_sub_f32 v2, v2, v13 :: v_dual_sub_f32 v3, v3, v15
	v_mul_f32_e32 v11, 0x3fb8aa3b, v9
	v_rndne_f32_e32 v17, v10
	v_fmac_f32_e32 v14, 0x32a5705f, v7
	v_add_f32_e32 v2, v2, v12
	v_fmac_f32_e32 v16, 0x32a5705f, v8
	v_fma_f32 v18, 0x3fb8aa3b, v9, -v11
	v_rndne_f32_e32 v19, v11
	v_cvt_i32_f32_e32 v12, v13
	v_exp_f32_e32 v2, v2
	s_delay_alu instid0(VALU_DEP_3) | instskip(NEXT) | instid1(VALU_DEP_3)
	v_dual_add_f32 v3, v3, v14 :: v_dual_fmac_f32 v18, 0x32a5705f, v9
	v_dual_sub_f32 v11, v11, v19 :: v_dual_sub_f32 v10, v10, v17
	v_cvt_i32_f32_e32 v13, v17
	s_delay_alu instid0(VALU_DEP_3) | instskip(NEXT) | instid1(TRANS32_DEP_2)
	v_exp_f32_e32 v3, v3
	v_ldexp_f32 v2, v2, v12
	s_delay_alu instid0(VALU_DEP_3) | instskip(SKIP_2) | instid1(VALU_DEP_4)
	v_dual_add_f32 v11, v11, v18 :: v_dual_add_f32 v10, v10, v16
	v_cvt_i32_f32_e32 v14, v15
	v_cvt_i32_f32_e32 v12, v19
	v_cndmask_b32_e32 v2, 0, v2, vcc_lo
	v_cmp_ngt_f32_e32 vcc_lo, 0xc2ce8ed0, v8
	v_exp_f32_e32 v10, v10
	v_exp_f32_e32 v11, v11
	s_delay_alu instid0(TRANS32_DEP_2) | instskip(NEXT) | instid1(TRANS32_DEP_1)
	v_ldexp_f32 v10, v10, v13
	v_ldexp_f32 v11, v11, v12
	s_delay_alu instid0(VALU_DEP_2) | instskip(SKIP_4) | instid1(VALU_DEP_2)
	v_cndmask_b32_e32 v10, 0, v10, vcc_lo
	v_cmp_nlt_f32_e32 vcc_lo, 0x42b17218, v6
	v_ldexp_f32 v6, v3, v14
	v_cndmask_b32_e32 v2, 0x7f800000, v2, vcc_lo
	v_cmp_nlt_f32_e32 vcc_lo, 0x42b17218, v8
	v_cvt_f16_f32_e32 v8, v2
	v_cndmask_b32_e32 v3, 0x7f800000, v10, vcc_lo
	v_cmp_ngt_f32_e32 vcc_lo, 0xc2ce8ed0, v7
	s_delay_alu instid0(VALU_DEP_3) | instskip(SKIP_2) | instid1(VALU_DEP_3)
	v_and_b32_e32 v8, 0xffff, v8
	v_cndmask_b32_e32 v6, 0, v6, vcc_lo
	v_cmp_ngt_f32_e32 vcc_lo, 0xc2ce8ed0, v9
	v_mul_u32_u24_e32 v8, 0x10001, v8
	v_cndmask_b32_e32 v10, 0, v11, vcc_lo
	v_cmp_nlt_f32_e32 vcc_lo, 0x42b17218, v7
	v_cvt_f16_f32_e32 v11, v3
	s_delay_alu instid0(VALU_DEP_4)
	v_pk_mul_f16 v69, v69, v8
	v_pk_mul_f16 v72, v72, v8
	;; [unrolled: 1-line block ×3, first 2 shown]
	v_cndmask_b32_e32 v6, 0x7f800000, v6, vcc_lo
	v_cmp_nlt_f32_e32 vcc_lo, 0x42b17218, v9
	v_and_b32_e32 v9, 0xffff, v11
	v_pk_mul_f16 v70, v70, v8
	v_cndmask_b32_e32 v7, 0x7f800000, v10, vcc_lo
	s_delay_alu instid0(VALU_DEP_1) | instskip(NEXT) | instid1(VALU_DEP_4)
	v_pk_fma_f32 v[0:1], v[0:1], v[2:3], v[6:7]
	v_mul_u32_u24_e32 v2, 0x10001, v9
	s_delay_alu instid0(VALU_DEP_1)
	v_pk_mul_f16 v65, v65, v2
	v_pk_mul_f16 v68, v68, v2
	;; [unrolled: 1-line block ×4, first 2 shown]
.LBB30_13:
	s_mov_b32 s2, exec_lo
	v_cmpx_gt_i32_e64 s22, v36
	s_cbranch_execz .LBB30_22
; %bb.14:
	s_load_b32 s0, s[0:1], 0xd4
	v_mov_b32_e32 v2, 1.0
	s_wait_kmcnt 0x0
	s_cmp_lg_u32 s0, 1
	s_cselect_b32 s2, -1, 0
	s_cmp_eq_u32 s0, 1
	s_cselect_b32 s1, -1, 0
	s_and_b32 vcc_lo, exec_lo, s2
	s_cbranch_vccnz .LBB30_16
; %bb.15:
	v_div_scale_f32 v2, null, v0, v0, 1.0
	s_delay_alu instid0(VALU_DEP_1) | instskip(SKIP_1) | instid1(TRANS32_DEP_1)
	v_rcp_f32_e32 v3, v2
	v_nop
	v_fma_f32 v4, -v2, v3, 1.0
	s_delay_alu instid0(VALU_DEP_1) | instskip(SKIP_1) | instid1(VALU_DEP_1)
	v_fmac_f32_e32 v3, v4, v3
	v_div_scale_f32 v4, vcc_lo, 1.0, v0, 1.0
	v_mul_f32_e32 v5, v4, v3
	s_delay_alu instid0(VALU_DEP_1) | instskip(NEXT) | instid1(VALU_DEP_1)
	v_fma_f32 v6, -v2, v5, v4
	v_fmac_f32_e32 v5, v6, v3
	s_delay_alu instid0(VALU_DEP_1) | instskip(NEXT) | instid1(VALU_DEP_1)
	v_fma_f32 v2, -v2, v5, v4
	v_div_fmas_f32 v2, v2, v3, v5
	s_delay_alu instid0(VALU_DEP_1)
	v_div_fixup_f32 v2, v2, v0, 1.0
.LBB30_16:
	v_mad_u32 v3, s28, s22, v36
	v_dual_mov_b32 v11, 0 :: v_dual_lshrrev_b32 v5, 16, v69
	v_dual_lshrrev_b32 v7, 16, v72 :: v_dual_lshrrev_b32 v9, 16, v71
	v_lshrrev_b32_e32 v13, 16, v70
	v_cvt_f32_f16_e32 v4, v69
	v_cvt_f32_f16_e32 v6, v72
	;; [unrolled: 1-line block ×5, first 2 shown]
	v_mad_u32 v3, v3, s23, s30
	v_cvt_f32_f16_e32 v12, v70
	v_cvt_f32_f16_e32 v9, v9
	;; [unrolled: 1-line block ×3, first 2 shown]
	v_cmp_eq_u32_e32 vcc_lo, 0, v37
	s_and_b32 s2, vcc_lo, s2
	v_mad_u32 v3, s0, v3, s5
	s_delay_alu instid0(VALU_DEP_1) | instskip(SKIP_3) | instid1(VALU_DEP_4)
	v_lshl_add_u32 v10, v3, 8, v38
	v_pk_mul_f32 v[4:5], v[2:3], v[4:5] op_sel_hi:[0,1]
	v_pk_mul_f32 v[6:7], v[2:3], v[6:7] op_sel_hi:[0,1]
	;; [unrolled: 1-line block ×3, first 2 shown]
	v_lshl_add_u64 v[14:15], v[10:11], 2, s[16:17]
	v_add_nc_u32_e32 v10, 0x80, v10
	s_delay_alu instid0(VALU_DEP_1)
	v_lshl_add_u64 v[16:17], v[10:11], 2, s[16:17]
	v_pk_mul_f32 v[10:11], v[2:3], v[12:13] op_sel_hi:[0,1]
	s_clause 0x1
	global_store_b128 v[14:15], v[4:7], off
	global_store_b128 v[16:17], v[8:11], off
	s_wait_xcnt 0x0
	s_and_saveexec_b32 s3, s2
	s_cbranch_execz .LBB30_18
; %bb.17:
	v_dual_mov_b32 v4, v32 :: v_dual_mov_b32 v5, v0
	global_store_b64 v3, v[4:5], s[18:19] scale_offset
.LBB30_18:
	s_wait_xcnt 0x0
	s_or_b32 exec_lo, exec_lo, s3
	v_mov_b32_e32 v0, 1.0
	s_and_not1_b32 vcc_lo, exec_lo, s1
	s_cbranch_vccnz .LBB30_20
; %bb.19:
	v_div_scale_f32 v0, null, v1, v1, 1.0
	s_delay_alu instid0(VALU_DEP_1) | instskip(SKIP_1) | instid1(TRANS32_DEP_1)
	v_rcp_f32_e32 v2, v0
	v_nop
	v_fma_f32 v4, -v0, v2, 1.0
	s_delay_alu instid0(VALU_DEP_1) | instskip(SKIP_1) | instid1(VALU_DEP_1)
	v_fmac_f32_e32 v2, v4, v2
	v_div_scale_f32 v4, vcc_lo, 1.0, v1, 1.0
	v_mul_f32_e32 v5, v4, v2
	s_delay_alu instid0(VALU_DEP_1) | instskip(NEXT) | instid1(VALU_DEP_1)
	v_fma_f32 v6, -v0, v5, v4
	v_fmac_f32_e32 v5, v6, v2
	s_delay_alu instid0(VALU_DEP_1) | instskip(NEXT) | instid1(VALU_DEP_1)
	v_fma_f32 v0, -v0, v5, v4
	v_div_fmas_f32 v0, v0, v2, v5
	s_delay_alu instid0(VALU_DEP_1)
	v_div_fixup_f32 v0, v0, v1, 1.0
.LBB30_20:
	v_dual_mov_b32 v9, 0 :: v_dual_add_nc_u32 v2, s0, v3
	v_dual_lshrrev_b32 v3, 16, v65 :: v_dual_lshrrev_b32 v6, 16, v68
	v_dual_lshrrev_b32 v10, 16, v67 :: v_dual_lshrrev_b32 v14, 16, v66
	s_delay_alu instid0(VALU_DEP_3) | instskip(SKIP_1) | instid1(VALU_DEP_4)
	v_lshl_add_u32 v8, v2, 8, v38
	v_cvt_f32_f16_e32 v4, v65
	v_cvt_f32_f16_e32 v5, v3
	;; [unrolled: 1-line block ×4, first 2 shown]
	v_lshl_add_u64 v[12:13], v[8:9], 2, s[16:17]
	v_add_nc_u32_e32 v8, 0x80, v8
	v_cvt_f32_f16_e32 v11, v10
	v_cvt_f32_f16_e32 v10, v67
	;; [unrolled: 1-line block ×4, first 2 shown]
	v_pk_mul_f32 v[4:5], v[0:1], v[4:5] op_sel_hi:[0,1]
	v_pk_mul_f32 v[6:7], v[0:1], v[6:7] op_sel_hi:[0,1]
	v_lshl_add_u64 v[16:17], v[8:9], 2, s[16:17]
	v_pk_mul_f32 v[8:9], v[0:1], v[10:11] op_sel_hi:[0,1]
	v_pk_mul_f32 v[10:11], v[0:1], v[14:15] op_sel_hi:[0,1]
	s_clause 0x1
	global_store_b128 v[12:13], v[4:7], off
	global_store_b128 v[16:17], v[8:11], off
	s_wait_xcnt 0x0
	s_and_b32 exec_lo, exec_lo, s2
	s_cbranch_execz .LBB30_22
; %bb.21:
	v_mov_b32_e32 v0, v33
	global_store_b64 v2, v[0:1], s[18:19] scale_offset
.LBB30_22:
	s_sendmsg sendmsg(MSG_DEALLOC_VGPRS)
	s_endpgm
	.section	.rodata,"a",@progbits
	.p2align	6, 0x0
	.amdhsa_kernel _ZL15flash_attn_tileILi256ELi256ELi8ELi2ELb0EEvPKcS1_S1_S1_S1_PKiPfP15HIP_vector_typeIfLj2EEffffjfiS5_IjLj3EEiiiiiiiiiiiliiliiiiil
		.amdhsa_group_segment_fixed_size 26112
		.amdhsa_private_segment_fixed_size 0
		.amdhsa_kernarg_size 464
		.amdhsa_user_sgpr_count 2
		.amdhsa_user_sgpr_dispatch_ptr 0
		.amdhsa_user_sgpr_queue_ptr 0
		.amdhsa_user_sgpr_kernarg_segment_ptr 1
		.amdhsa_user_sgpr_dispatch_id 0
		.amdhsa_user_sgpr_kernarg_preload_length 0
		.amdhsa_user_sgpr_kernarg_preload_offset 0
		.amdhsa_user_sgpr_private_segment_size 0
		.amdhsa_wavefront_size32 1
		.amdhsa_uses_dynamic_stack 0
		.amdhsa_enable_private_segment 0
		.amdhsa_system_sgpr_workgroup_id_x 1
		.amdhsa_system_sgpr_workgroup_id_y 1
		.amdhsa_system_sgpr_workgroup_id_z 1
		.amdhsa_system_sgpr_workgroup_info 0
		.amdhsa_system_vgpr_workitem_id 1
		.amdhsa_next_free_vgpr 84
		.amdhsa_next_free_sgpr 43
		.amdhsa_named_barrier_count 0
		.amdhsa_reserve_vcc 1
		.amdhsa_float_round_mode_32 0
		.amdhsa_float_round_mode_16_64 0
		.amdhsa_float_denorm_mode_32 3
		.amdhsa_float_denorm_mode_16_64 3
		.amdhsa_fp16_overflow 0
		.amdhsa_memory_ordered 1
		.amdhsa_forward_progress 1
		.amdhsa_inst_pref_size 74
		.amdhsa_round_robin_scheduling 0
		.amdhsa_exception_fp_ieee_invalid_op 0
		.amdhsa_exception_fp_denorm_src 0
		.amdhsa_exception_fp_ieee_div_zero 0
		.amdhsa_exception_fp_ieee_overflow 0
		.amdhsa_exception_fp_ieee_underflow 0
		.amdhsa_exception_fp_ieee_inexact 0
		.amdhsa_exception_int_div_zero 0
	.end_amdhsa_kernel
	.section	.text._ZL15flash_attn_tileILi256ELi256ELi8ELi2ELb0EEvPKcS1_S1_S1_S1_PKiPfP15HIP_vector_typeIfLj2EEffffjfiS5_IjLj3EEiiiiiiiiiiiliiliiiiil,"axG",@progbits,_ZL15flash_attn_tileILi256ELi256ELi8ELi2ELb0EEvPKcS1_S1_S1_S1_PKiPfP15HIP_vector_typeIfLj2EEffffjfiS5_IjLj3EEiiiiiiiiiiiliiliiiiil,comdat
.Lfunc_end30:
	.size	_ZL15flash_attn_tileILi256ELi256ELi8ELi2ELb0EEvPKcS1_S1_S1_S1_PKiPfP15HIP_vector_typeIfLj2EEffffjfiS5_IjLj3EEiiiiiiiiiiiliiliiiiil, .Lfunc_end30-_ZL15flash_attn_tileILi256ELi256ELi8ELi2ELb0EEvPKcS1_S1_S1_S1_PKiPfP15HIP_vector_typeIfLj2EEffffjfiS5_IjLj3EEiiiiiiiiiiiliiliiiiil
                                        ; -- End function
	.set _ZL15flash_attn_tileILi256ELi256ELi8ELi2ELb0EEvPKcS1_S1_S1_S1_PKiPfP15HIP_vector_typeIfLj2EEffffjfiS5_IjLj3EEiiiiiiiiiiiliiliiiiil.num_vgpr, 84
	.set _ZL15flash_attn_tileILi256ELi256ELi8ELi2ELb0EEvPKcS1_S1_S1_S1_PKiPfP15HIP_vector_typeIfLj2EEffffjfiS5_IjLj3EEiiiiiiiiiiiliiliiiiil.num_agpr, 0
	.set _ZL15flash_attn_tileILi256ELi256ELi8ELi2ELb0EEvPKcS1_S1_S1_S1_PKiPfP15HIP_vector_typeIfLj2EEffffjfiS5_IjLj3EEiiiiiiiiiiiliiliiiiil.numbered_sgpr, 43
	.set _ZL15flash_attn_tileILi256ELi256ELi8ELi2ELb0EEvPKcS1_S1_S1_S1_PKiPfP15HIP_vector_typeIfLj2EEffffjfiS5_IjLj3EEiiiiiiiiiiiliiliiiiil.num_named_barrier, 0
	.set _ZL15flash_attn_tileILi256ELi256ELi8ELi2ELb0EEvPKcS1_S1_S1_S1_PKiPfP15HIP_vector_typeIfLj2EEffffjfiS5_IjLj3EEiiiiiiiiiiiliiliiiiil.private_seg_size, 0
	.set _ZL15flash_attn_tileILi256ELi256ELi8ELi2ELb0EEvPKcS1_S1_S1_S1_PKiPfP15HIP_vector_typeIfLj2EEffffjfiS5_IjLj3EEiiiiiiiiiiiliiliiiiil.uses_vcc, 1
	.set _ZL15flash_attn_tileILi256ELi256ELi8ELi2ELb0EEvPKcS1_S1_S1_S1_PKiPfP15HIP_vector_typeIfLj2EEffffjfiS5_IjLj3EEiiiiiiiiiiiliiliiiiil.uses_flat_scratch, 0
	.set _ZL15flash_attn_tileILi256ELi256ELi8ELi2ELb0EEvPKcS1_S1_S1_S1_PKiPfP15HIP_vector_typeIfLj2EEffffjfiS5_IjLj3EEiiiiiiiiiiiliiliiiiil.has_dyn_sized_stack, 0
	.set _ZL15flash_attn_tileILi256ELi256ELi8ELi2ELb0EEvPKcS1_S1_S1_S1_PKiPfP15HIP_vector_typeIfLj2EEffffjfiS5_IjLj3EEiiiiiiiiiiiliiliiiiil.has_recursion, 0
	.set _ZL15flash_attn_tileILi256ELi256ELi8ELi2ELb0EEvPKcS1_S1_S1_S1_PKiPfP15HIP_vector_typeIfLj2EEffffjfiS5_IjLj3EEiiiiiiiiiiiliiliiiiil.has_indirect_call, 0
	.section	.AMDGPU.csdata,"",@progbits
; Kernel info:
; codeLenInByte = 9468
; TotalNumSgprs: 45
; NumVgprs: 84
; ScratchSize: 0
; MemoryBound: 0
; FloatMode: 240
; IeeeMode: 1
; LDSByteSize: 26112 bytes/workgroup (compile time only)
; SGPRBlocks: 0
; VGPRBlocks: 5
; NumSGPRsForWavesPerEU: 45
; NumVGPRsForWavesPerEU: 84
; NamedBarCnt: 0
; Occupancy: 10
; WaveLimiterHint : 1
; COMPUTE_PGM_RSRC2:SCRATCH_EN: 0
; COMPUTE_PGM_RSRC2:USER_SGPR: 2
; COMPUTE_PGM_RSRC2:TRAP_HANDLER: 0
; COMPUTE_PGM_RSRC2:TGID_X_EN: 1
; COMPUTE_PGM_RSRC2:TGID_Y_EN: 1
; COMPUTE_PGM_RSRC2:TGID_Z_EN: 1
; COMPUTE_PGM_RSRC2:TIDIG_COMP_CNT: 1
	.section	.text._ZL33flash_attn_stream_k_fixup_uniformILi256ELi8ELi2EEvPfPK15HIP_vector_typeIfLj2EEiiiiiiS1_IjLj3EES5_S5_,"axG",@progbits,_ZL33flash_attn_stream_k_fixup_uniformILi256ELi8ELi2EEvPfPK15HIP_vector_typeIfLj2EEiiiiiiS1_IjLj3EES5_S5_,comdat
	.globl	_ZL33flash_attn_stream_k_fixup_uniformILi256ELi8ELi2EEvPfPK15HIP_vector_typeIfLj2EEiiiiiiS1_IjLj3EES5_S5_ ; -- Begin function _ZL33flash_attn_stream_k_fixup_uniformILi256ELi8ELi2EEvPfPK15HIP_vector_typeIfLj2EEiiiiiiS1_IjLj3EES5_S5_
	.p2align	8
	.type	_ZL33flash_attn_stream_k_fixup_uniformILi256ELi8ELi2EEvPfPK15HIP_vector_typeIfLj2EEiiiiiiS1_IjLj3EES5_S5_,@function
_ZL33flash_attn_stream_k_fixup_uniformILi256ELi8ELi2EEvPfPK15HIP_vector_typeIfLj2EEiiiiiiS1_IjLj3EES5_S5_: ; @_ZL33flash_attn_stream_k_fixup_uniformILi256ELi8ELi2EEvPfPK15HIP_vector_typeIfLj2EEiiiiiiS1_IjLj3EES5_S5_
; %bb.0:
	s_load_b256 s[4:11], s[0:1], 0x1c
	s_bfe_u32 s2, ttmp6, 0x40014
	s_lshr_b32 s3, ttmp7, 16
	s_add_co_i32 s2, s2, 1
	s_bfe_u32 s13, ttmp6, 0x40010
	s_mul_i32 s2, s3, s2
	s_bfe_u32 s12, ttmp6, 0x40008
	s_and_b32 s15, ttmp7, 0xffff
	s_add_co_i32 s13, s13, 1
	s_bfe_u32 s14, ttmp6, 0x4000c
	s_add_co_i32 s12, s12, s2
	s_mul_i32 s2, s15, s13
	s_bfe_u32 s13, ttmp6, 0x40004
	s_add_co_i32 s14, s14, 1
	s_add_co_i32 s13, s13, s2
	s_and_b32 s2, ttmp6, 15
	s_mul_i32 s14, ttmp9, s14
	s_getreg_b32 s20, hwreg(HW_REG_IB_STS2, 6, 4)
	s_add_co_i32 s2, s2, s14
	s_load_b128 s[16:19], s[0:1], 0x3c
	s_cmp_eq_u32 s20, 0
	s_cselect_b32 s14, ttmp9, s2
	s_cselect_b32 s13, s15, s13
	s_wait_kmcnt 0x0
	s_mul_hi_u32 s2, s7, s14
	s_cselect_b32 s12, s3, s12
	s_add_co_i32 s2, s14, s2
	s_delay_alu instid0(SALU_CYCLE_1) | instskip(NEXT) | instid1(SALU_CYCLE_1)
	s_lshr_b32 s7, s2, s8
	s_mul_i32 s2, s7, s9
	s_delay_alu instid0(SALU_CYCLE_1) | instskip(NEXT) | instid1(SALU_CYCLE_1)
	s_sub_co_i32 s8, s14, s2
	s_mul_hi_u32 s2, s8, s10
	s_delay_alu instid0(SALU_CYCLE_1) | instskip(SKIP_2) | instid1(SALU_CYCLE_1)
	s_add_co_i32 s9, s8, s2
	s_load_b64 s[2:3], s[0:1], 0x10
	s_lshr_b32 s15, s9, s11
	s_mul_i32 s9, s15, s16
	s_delay_alu instid0(SALU_CYCLE_1) | instskip(NEXT) | instid1(SALU_CYCLE_1)
	s_sub_co_i32 s8, s8, s9
	s_mul_hi_u32 s9, s8, s17
	s_delay_alu instid0(SALU_CYCLE_1) | instskip(NEXT) | instid1(SALU_CYCLE_1)
	s_add_co_i32 s9, s8, s9
	s_lshr_b32 s9, s9, s18
	s_delay_alu instid0(SALU_CYCLE_1) | instskip(SKIP_2) | instid1(SALU_CYCLE_1)
	s_mul_i32 s10, s9, s19
	s_lshl_b32 s17, s9, 1
	s_sub_co_i32 s16, s8, s10
	s_lshl_b32 s8, s16, 3
	s_delay_alu instid0(SALU_CYCLE_1) | instskip(SKIP_4) | instid1(SALU_CYCLE_1)
	s_add_co_i32 s8, s8, s13
	s_wait_kmcnt 0x0
	s_cmp_lt_i32 s8, s2
	s_cselect_b32 s8, -1, 0
	s_add_co_i32 s9, s17, s12
	s_cmp_lt_i32 s9, s5
	s_cselect_b32 s9, -1, 0
	s_delay_alu instid0(SALU_CYCLE_1) | instskip(NEXT) | instid1(SALU_CYCLE_1)
	s_and_b32 s8, s8, s9
	s_and_not1_b32 vcc_lo, exec_lo, s8
	s_cbranch_vccnz .LBB31_6
; %bb.1:
	s_mul_i32 s2, s7, s2
	s_load_b128 s[8:11], s[0:1], 0x0
	s_wait_xcnt 0x0
	s_add_co_i32 s0, s2, s13
	s_mul_i32 s15, s15, s5
	s_mul_i32 s0, s0, s3
	;; [unrolled: 1-line block ×3, first 2 shown]
	s_add_co_i32 s0, s0, s12
	s_lshl_b32 s1, s1, 11
	s_add_co_i32 s0, s0, s15
	s_mul_i32 s7, s6, s14
	s_add_co_i32 s0, s0, s17
	s_lshl_b32 s5, s13, 1
	s_lshl_b32 s0, s0, 8
	s_add_co_i32 s15, s7, s6
	s_add_co_i32 s1, s1, s0
	s_add_co_i32 s0, s5, s12
	v_or_b32_e32 v4, s1, v0
	s_lshl_b32 s1, s15, 4
	s_add_co_i32 s2, s15, -2
	s_add_co_i32 s0, s0, s1
	s_delay_alu instid0(SALU_CYCLE_1)
	s_add_co_i32 s0, s0, -16
	s_wait_kmcnt 0x0
	global_load_b32 v3, v4, s[8:9] scale_offset
	s_ashr_i32 s1, s0, 31
	v_ashrrev_i32_e32 v5, 31, v4
	s_lshl_b64 s[0:1], s[0:1], 3
	s_cmp_lt_i32 s2, s7
	s_add_nc_u64 s[0:1], s[10:11], s[0:1]
	s_load_b32 s16, s[0:1], 0x4
	s_cbranch_scc1 .LBB31_4
; %bb.2:
	s_wait_xcnt 0x0
	s_load_b32 s0, s[0:1], 0x0
	s_add_co_i32 s14, s14, 1
	s_lshl_b32 s3, s13, 9
	s_wait_xcnt 0x0
	s_mul_i32 s1, s6, s14
	s_lshl_b32 s6, s12, 8
	s_lshl_b32 s13, s1, 12
	s_add_co_i32 s6, s6, s3
	s_lshl_b32 s1, s1, 4
	s_add_co_i32 s6, s6, s13
	s_lshl_b32 s2, s4, 6
	s_wait_kmcnt 0x0
	v_dual_mov_b32 v2, s16 :: v_dual_bitop2_b32 v0, s6, v0 bitop3:0x54
	s_add_co_i32 s1, s12, s1
	s_lshl_b32 s4, s4, 4
	s_ashr_i32 s3, s2, 31
	s_add_co_i32 s1, s1, s4
	v_add_nc_u32_e32 v0, 0xffffe000, v0
	s_lshl_b64 s[2:3], s[2:3], 2
	s_add_co_i32 s4, s1, s5
	s_add_nc_u64 s[2:3], s[10:11], s[2:3]
	s_add_co_i32 s1, s15, -1
	s_sub_co_i32 s4, s4, 32
.LBB31_3:                               ; =>This Inner Loop Header: Depth=1
	global_load_b32 v7, v0, s[2:3] scale_offset
	s_ashr_i32 s5, s4, 31
	v_max_num_f32_e64 v1, s0, s0
	s_lshl_b64 s[12:13], s[4:5], 3
	s_delay_alu instid0(SALU_CYCLE_1) | instskip(SKIP_1) | instid1(VALU_DEP_1)
	s_add_nc_u64 s[12:13], s[10:11], s[12:13]
	s_load_b64 s[12:13], s[12:13], 0x0
	v_readfirstlane_b32 s5, v1
	v_add_nc_u32_e32 v0, 0xfffff000, v0
	s_wait_kmcnt 0x0
	v_max_num_f32_e64 v1, s12, s12
	s_delay_alu instid0(VALU_DEP_1) | instskip(SKIP_1) | instid1(SALU_CYCLE_3)
	v_readfirstlane_b32 s6, v1
	s_max_num_f32 s5, s5, s6
	s_sub_f32 s0, s0, s5
	s_sub_f32 s6, s12, s5
	s_delay_alu instid0(SALU_CYCLE_2) | instskip(NEXT) | instid1(SALU_CYCLE_2)
	s_mul_f32 s12, s0, 0x3fb8aa3b
	s_mul_f32 s14, s6, 0x3fb8aa3b
	s_delay_alu instid0(SALU_CYCLE_2)
	s_xor_b32 s15, s12, 0x80000000
	s_rndne_f32 s16, s12
	s_fmamk_f32 s15, s0, 0x3fb8aa3b, s15
	s_cmp_nlt_f32 s0, 0xc2ce8ed0
	s_rndne_f32 s17, s14
	s_sub_f32 s12, s12, s16
	s_fmamk_f32 s15, s0, 0x32a5705f, s15
	s_cselect_b32 vcc_lo, -1, 0
	s_cmp_ngt_f32 s0, 0x42b17218
	s_delay_alu instid0(SALU_CYCLE_1) | instskip(SKIP_2) | instid1(SALU_CYCLE_1)
	s_add_f32 s12, s12, s15
	s_cvt_i32_f32 s15, s16
	s_sub_f32 s16, s14, s17
	v_s_exp_f32 s12, s12
	v_nop
	s_delay_alu instid0(TRANS32_DEP_1) | instskip(SKIP_1) | instid1(VALU_DEP_1)
	v_ldexp_f32 v1, s12, s15
	s_cvt_i32_f32 s12, s17
	v_cndmask_b32_e32 v1, 0, v1, vcc_lo
	s_cselect_b32 vcc_lo, -1, 0
	s_cmp_ge_f32 s0, 0xc1a00000
	s_delay_alu instid0(VALU_DEP_1)
	v_cndmask_b32_e32 v1, 0x7f800000, v1, vcc_lo
	s_cselect_b32 vcc_lo, -1, 0
	s_xor_b32 s0, s14, 0x80000000
	s_cmp_nlt_f32 s6, 0xc2ce8ed0
	s_fmamk_f32 s0, s6, 0x3fb8aa3b, s0
	v_cndmask_b32_e32 v10, 0, v1, vcc_lo
	s_delay_alu instid0(SALU_CYCLE_2) | instskip(NEXT) | instid1(SALU_CYCLE_3)
	s_fmamk_f32 s0, s6, 0x32a5705f, s0
	s_add_f32 s0, s16, s0
	s_delay_alu instid0(SALU_CYCLE_3) | instskip(SKIP_1) | instid1(TRANS32_DEP_1)
	v_s_exp_f32 s0, s0
	v_nop
	v_ldexp_f32 v6, s0, s12
	s_cselect_b32 s0, -1, 0
	s_cmp_ngt_f32 s6, 0x42b17218
	s_delay_alu instid0(VALU_DEP_1) | instskip(SKIP_2) | instid1(VALU_DEP_1)
	v_cndmask_b32_e64 v6, 0, v6, s0
	s_cselect_b32 s0, -1, 0
	s_cmp_ge_f32 s6, 0xc1a00000
	v_cndmask_b32_e64 v8, 0x7f800000, v6, s0
	s_cselect_b32 s0, -1, 0
	v_mov_b32_e32 v6, s13
	s_add_co_i32 s1, s1, -1
	s_add_co_i32 s4, s4, -16
	v_cndmask_b32_e64 v8, 0, v8, s0
	s_cmp_le_i32 s1, s7
	s_mov_b32 s0, s5
	s_wait_loadcnt 0x0
	s_delay_alu instid0(VALU_DEP_1) | instskip(NEXT) | instid1(VALU_DEP_1)
	v_pk_mul_f32 v[6:7], v[6:7], v[8:9] op_sel_hi:[1,0]
	v_pk_fma_f32 v[2:3], v[2:3], v[10:11], v[6:7] op_sel_hi:[1,0,1]
	s_cbranch_scc0 .LBB31_3
	s_branch .LBB31_5
.LBB31_4:
	s_wait_kmcnt 0x0
	v_mov_b32_e32 v2, s16
.LBB31_5:
	v_lshl_add_u64 v[0:1], v[4:5], 2, s[8:9]
	s_wait_loadcnt 0x0
	s_delay_alu instid0(VALU_DEP_2) | instskip(NEXT) | instid1(VALU_DEP_1)
	v_div_scale_f32 v4, null, v2, v2, v3
	v_rcp_f32_e32 v5, v4
	v_nop
	s_delay_alu instid0(TRANS32_DEP_1) | instskip(NEXT) | instid1(VALU_DEP_1)
	v_fma_f32 v6, -v4, v5, 1.0
	v_fmac_f32_e32 v5, v6, v5
	v_div_scale_f32 v6, vcc_lo, v3, v2, v3
	s_delay_alu instid0(VALU_DEP_1) | instskip(NEXT) | instid1(VALU_DEP_1)
	v_mul_f32_e32 v7, v6, v5
	v_fma_f32 v8, -v4, v7, v6
	s_delay_alu instid0(VALU_DEP_1) | instskip(NEXT) | instid1(VALU_DEP_1)
	v_fmac_f32_e32 v7, v8, v5
	v_fma_f32 v4, -v4, v7, v6
	s_delay_alu instid0(VALU_DEP_1) | instskip(NEXT) | instid1(VALU_DEP_1)
	v_div_fmas_f32 v4, v4, v5, v7
	v_div_fixup_f32 v2, v4, v2, v3
	global_store_b32 v[0:1], v2, off
.LBB31_6:
	s_endpgm
	.section	.rodata,"a",@progbits
	.p2align	6, 0x0
	.amdhsa_kernel _ZL33flash_attn_stream_k_fixup_uniformILi256ELi8ELi2EEvPfPK15HIP_vector_typeIfLj2EEiiiiiiS1_IjLj3EES5_S5_
		.amdhsa_group_segment_fixed_size 0
		.amdhsa_private_segment_fixed_size 0
		.amdhsa_kernarg_size 76
		.amdhsa_user_sgpr_count 2
		.amdhsa_user_sgpr_dispatch_ptr 0
		.amdhsa_user_sgpr_queue_ptr 0
		.amdhsa_user_sgpr_kernarg_segment_ptr 1
		.amdhsa_user_sgpr_dispatch_id 0
		.amdhsa_user_sgpr_kernarg_preload_length 0
		.amdhsa_user_sgpr_kernarg_preload_offset 0
		.amdhsa_user_sgpr_private_segment_size 0
		.amdhsa_wavefront_size32 1
		.amdhsa_uses_dynamic_stack 0
		.amdhsa_enable_private_segment 0
		.amdhsa_system_sgpr_workgroup_id_x 1
		.amdhsa_system_sgpr_workgroup_id_y 1
		.amdhsa_system_sgpr_workgroup_id_z 1
		.amdhsa_system_sgpr_workgroup_info 0
		.amdhsa_system_vgpr_workitem_id 0
		.amdhsa_next_free_vgpr 12
		.amdhsa_next_free_sgpr 21
		.amdhsa_named_barrier_count 0
		.amdhsa_reserve_vcc 1
		.amdhsa_float_round_mode_32 0
		.amdhsa_float_round_mode_16_64 0
		.amdhsa_float_denorm_mode_32 3
		.amdhsa_float_denorm_mode_16_64 3
		.amdhsa_fp16_overflow 0
		.amdhsa_memory_ordered 1
		.amdhsa_forward_progress 1
		.amdhsa_inst_pref_size 9
		.amdhsa_round_robin_scheduling 0
		.amdhsa_exception_fp_ieee_invalid_op 0
		.amdhsa_exception_fp_denorm_src 0
		.amdhsa_exception_fp_ieee_div_zero 0
		.amdhsa_exception_fp_ieee_overflow 0
		.amdhsa_exception_fp_ieee_underflow 0
		.amdhsa_exception_fp_ieee_inexact 0
		.amdhsa_exception_int_div_zero 0
	.end_amdhsa_kernel
	.section	.text._ZL33flash_attn_stream_k_fixup_uniformILi256ELi8ELi2EEvPfPK15HIP_vector_typeIfLj2EEiiiiiiS1_IjLj3EES5_S5_,"axG",@progbits,_ZL33flash_attn_stream_k_fixup_uniformILi256ELi8ELi2EEvPfPK15HIP_vector_typeIfLj2EEiiiiiiS1_IjLj3EES5_S5_,comdat
.Lfunc_end31:
	.size	_ZL33flash_attn_stream_k_fixup_uniformILi256ELi8ELi2EEvPfPK15HIP_vector_typeIfLj2EEiiiiiiS1_IjLj3EES5_S5_, .Lfunc_end31-_ZL33flash_attn_stream_k_fixup_uniformILi256ELi8ELi2EEvPfPK15HIP_vector_typeIfLj2EEiiiiiiS1_IjLj3EES5_S5_
                                        ; -- End function
	.set _ZL33flash_attn_stream_k_fixup_uniformILi256ELi8ELi2EEvPfPK15HIP_vector_typeIfLj2EEiiiiiiS1_IjLj3EES5_S5_.num_vgpr, 12
	.set _ZL33flash_attn_stream_k_fixup_uniformILi256ELi8ELi2EEvPfPK15HIP_vector_typeIfLj2EEiiiiiiS1_IjLj3EES5_S5_.num_agpr, 0
	.set _ZL33flash_attn_stream_k_fixup_uniformILi256ELi8ELi2EEvPfPK15HIP_vector_typeIfLj2EEiiiiiiS1_IjLj3EES5_S5_.numbered_sgpr, 21
	.set _ZL33flash_attn_stream_k_fixup_uniformILi256ELi8ELi2EEvPfPK15HIP_vector_typeIfLj2EEiiiiiiS1_IjLj3EES5_S5_.num_named_barrier, 0
	.set _ZL33flash_attn_stream_k_fixup_uniformILi256ELi8ELi2EEvPfPK15HIP_vector_typeIfLj2EEiiiiiiS1_IjLj3EES5_S5_.private_seg_size, 0
	.set _ZL33flash_attn_stream_k_fixup_uniformILi256ELi8ELi2EEvPfPK15HIP_vector_typeIfLj2EEiiiiiiS1_IjLj3EES5_S5_.uses_vcc, 1
	.set _ZL33flash_attn_stream_k_fixup_uniformILi256ELi8ELi2EEvPfPK15HIP_vector_typeIfLj2EEiiiiiiS1_IjLj3EES5_S5_.uses_flat_scratch, 0
	.set _ZL33flash_attn_stream_k_fixup_uniformILi256ELi8ELi2EEvPfPK15HIP_vector_typeIfLj2EEiiiiiiS1_IjLj3EES5_S5_.has_dyn_sized_stack, 0
	.set _ZL33flash_attn_stream_k_fixup_uniformILi256ELi8ELi2EEvPfPK15HIP_vector_typeIfLj2EEiiiiiiS1_IjLj3EES5_S5_.has_recursion, 0
	.set _ZL33flash_attn_stream_k_fixup_uniformILi256ELi8ELi2EEvPfPK15HIP_vector_typeIfLj2EEiiiiiiS1_IjLj3EES5_S5_.has_indirect_call, 0
	.section	.AMDGPU.csdata,"",@progbits
; Kernel info:
; codeLenInByte = 1092
; TotalNumSgprs: 23
; NumVgprs: 12
; ScratchSize: 0
; MemoryBound: 0
; FloatMode: 240
; IeeeMode: 1
; LDSByteSize: 0 bytes/workgroup (compile time only)
; SGPRBlocks: 0
; VGPRBlocks: 0
; NumSGPRsForWavesPerEU: 23
; NumVGPRsForWavesPerEU: 12
; NamedBarCnt: 0
; Occupancy: 16
; WaveLimiterHint : 0
; COMPUTE_PGM_RSRC2:SCRATCH_EN: 0
; COMPUTE_PGM_RSRC2:USER_SGPR: 2
; COMPUTE_PGM_RSRC2:TRAP_HANDLER: 0
; COMPUTE_PGM_RSRC2:TGID_X_EN: 1
; COMPUTE_PGM_RSRC2:TGID_Y_EN: 1
; COMPUTE_PGM_RSRC2:TGID_Z_EN: 1
; COMPUTE_PGM_RSRC2:TIDIG_COMP_CNT: 0
	.section	.text._ZL33flash_attn_stream_k_fixup_generalILi256ELi8ELi2EEvPfPK15HIP_vector_typeIfLj2EEiiiiS1_IjLj3EES5_S5_S5_,"axG",@progbits,_ZL33flash_attn_stream_k_fixup_generalILi256ELi8ELi2EEvPfPK15HIP_vector_typeIfLj2EEiiiiS1_IjLj3EES5_S5_S5_,comdat
	.globl	_ZL33flash_attn_stream_k_fixup_generalILi256ELi8ELi2EEvPfPK15HIP_vector_typeIfLj2EEiiiiS1_IjLj3EES5_S5_S5_ ; -- Begin function _ZL33flash_attn_stream_k_fixup_generalILi256ELi8ELi2EEvPfPK15HIP_vector_typeIfLj2EEiiiiS1_IjLj3EES5_S5_S5_
	.p2align	8
	.type	_ZL33flash_attn_stream_k_fixup_generalILi256ELi8ELi2EEvPfPK15HIP_vector_typeIfLj2EEiiiiS1_IjLj3EES5_S5_S5_,@function
_ZL33flash_attn_stream_k_fixup_generalILi256ELi8ELi2EEvPfPK15HIP_vector_typeIfLj2EEiiiiS1_IjLj3EES5_S5_S5_: ; @_ZL33flash_attn_stream_k_fixup_generalILi256ELi8ELi2EEvPfPK15HIP_vector_typeIfLj2EEiiiiS1_IjLj3EES5_S5_S5_
; %bb.0:
	s_clause 0x1
	s_load_b128 s[4:7], s[0:1], 0x10
	s_load_b32 s16, s[0:1], 0x50
	s_bfe_u32 s2, ttmp6, 0x4000c
	s_and_b32 s3, ttmp6, 15
	s_add_co_i32 s2, s2, 1
	s_getreg_b32 s15, hwreg(HW_REG_IB_STS2, 6, 4)
	s_mul_i32 s2, ttmp9, s2
	s_mov_b32 s17, 0
	s_add_co_i32 s3, s3, s2
	s_cmp_eq_u32 s15, 0
	s_cselect_b32 s2, ttmp9, s3
	s_delay_alu instid0(SALU_CYCLE_1) | instskip(SKIP_3) | instid1(SALU_CYCLE_1)
	s_ashr_i32 s3, s2, 31
	s_wait_kmcnt 0x0
	s_ashr_i32 s19, s7, 31
	s_mov_b32 s18, s7
	s_mul_u64 s[8:9], s[18:19], s[2:3]
	s_delay_alu instid0(SALU_CYCLE_1) | instskip(NEXT) | instid1(SALU_CYCLE_1)
	s_and_b64 s[10:11], s[8:9], 0xffffffff00000000
	s_cmp_lg_u64 s[10:11], 0
	s_cbranch_scc0 .LBB32_21
; %bb.1:
	s_add_nc_u64 s[10:11], s[16:17], 0
	s_mov_b32 s23, s17
	s_xor_b64 s[10:11], s[10:11], 0
	s_mov_b32 s27, s17
	s_cvt_f32_u32 s3, s10
	s_cvt_f32_u32 s7, s11
	s_sub_nc_u64 s[20:21], 0, s[10:11]
	s_delay_alu instid0(SALU_CYCLE_2) | instskip(NEXT) | instid1(SALU_CYCLE_3)
	s_fmamk_f32 s3, s7, 0x4f800000, s3
	v_s_rcp_f32 s3, s3
	s_delay_alu instid0(TRANS32_DEP_1) | instskip(NEXT) | instid1(SALU_CYCLE_3)
	s_mul_f32 s3, s3, 0x5f7ffffc
	s_mul_f32 s7, s3, 0x2f800000
	s_delay_alu instid0(SALU_CYCLE_3) | instskip(NEXT) | instid1(SALU_CYCLE_3)
	s_trunc_f32 s7, s7
	s_fmamk_f32 s3, s7, 0xcf800000, s3
	s_cvt_u32_f32 s13, s7
	s_delay_alu instid0(SALU_CYCLE_2) | instskip(NEXT) | instid1(SALU_CYCLE_3)
	s_cvt_u32_f32 s12, s3
	s_mul_u64 s[24:25], s[20:21], s[12:13]
	s_delay_alu instid0(SALU_CYCLE_1)
	s_mul_hi_u32 s29, s12, s25
	s_mul_i32 s28, s12, s25
	s_mul_hi_u32 s22, s12, s24
	s_mul_i32 s7, s13, s24
	s_add_nc_u64 s[22:23], s[22:23], s[28:29]
	s_mul_hi_u32 s3, s13, s24
	s_mul_hi_u32 s14, s13, s25
	s_add_co_u32 s7, s22, s7
	s_add_co_ci_u32 s26, s23, s3
	s_mul_i32 s24, s13, s25
	s_add_co_ci_u32 s25, s14, 0
	s_delay_alu instid0(SALU_CYCLE_1) | instskip(SKIP_3) | instid1(SALU_CYCLE_1)
	s_add_nc_u64 s[22:23], s[26:27], s[24:25]
	s_mov_b32 s25, s17
	s_add_co_u32 s12, s12, s22
	s_cselect_b32 s3, -1, 0
	s_cmp_lg_u32 s3, 0
	s_add_co_ci_u32 s13, s13, s23
	s_mov_b32 s23, s17
	s_mul_u64 s[20:21], s[20:21], s[12:13]
	s_delay_alu instid0(SALU_CYCLE_1)
	s_mul_hi_u32 s27, s12, s21
	s_mul_i32 s26, s12, s21
	s_mul_hi_u32 s22, s12, s20
	s_mul_i32 s7, s13, s20
	s_add_nc_u64 s[22:23], s[22:23], s[26:27]
	s_mul_hi_u32 s3, s13, s20
	s_mul_hi_u32 s14, s13, s21
	s_add_co_u32 s7, s22, s7
	s_add_co_ci_u32 s24, s23, s3
	s_mul_i32 s20, s13, s21
	s_add_co_ci_u32 s21, s14, 0
	s_mov_b32 s23, s17
	s_add_nc_u64 s[20:21], s[24:25], s[20:21]
	s_delay_alu instid0(SALU_CYCLE_1) | instskip(SKIP_1) | instid1(SALU_CYCLE_1)
	s_add_co_u32 s3, s12, s20
	s_cselect_b32 s7, -1, 0
	s_cmp_lg_u32 s7, 0
	s_add_co_ci_u32 s7, s13, s21
	s_ashr_i32 s12, s9, 31
	s_delay_alu instid0(SALU_CYCLE_1) | instskip(NEXT) | instid1(SALU_CYCLE_1)
	s_mov_b32 s13, s12
	s_add_nc_u64 s[20:21], s[8:9], s[12:13]
	s_delay_alu instid0(SALU_CYCLE_1) | instskip(NEXT) | instid1(SALU_CYCLE_1)
	s_xor_b64 s[20:21], s[20:21], s[12:13]
	s_mul_hi_u32 s27, s20, s7
	s_mul_i32 s26, s20, s7
	s_mul_hi_u32 s22, s20, s3
	s_mul_hi_u32 s14, s21, s3
	s_mul_i32 s3, s21, s3
	s_add_nc_u64 s[22:23], s[22:23], s[26:27]
	s_mul_hi_u32 s9, s21, s7
	s_add_co_u32 s3, s22, s3
	s_add_co_ci_u32 s24, s23, s14
	s_mul_i32 s26, s21, s7
	s_add_co_ci_u32 s27, s9, 0
	s_delay_alu instid0(SALU_CYCLE_1) | instskip(NEXT) | instid1(SALU_CYCLE_1)
	s_add_nc_u64 s[22:23], s[24:25], s[26:27]
	s_and_b64 s[24:25], s[22:23], 0xffffffff00000000
	s_delay_alu instid0(SALU_CYCLE_1) | instskip(NEXT) | instid1(SALU_CYCLE_1)
	s_or_b32 s24, s24, s22
	s_mul_u64 s[22:23], s[10:11], s[24:25]
	s_add_nc_u64 s[26:27], s[24:25], 1
	s_sub_co_u32 s3, s20, s22
	s_cselect_b32 s7, -1, 0
	s_sub_co_i32 s9, s21, s23
	s_cmp_lg_u32 s7, 0
	s_add_nc_u64 s[28:29], s[24:25], 2
	s_sub_co_ci_u32 s9, s9, s11
	s_sub_co_u32 s14, s3, s10
	s_cselect_b32 s20, -1, 0
	s_delay_alu instid0(SALU_CYCLE_1) | instskip(SKIP_1) | instid1(SALU_CYCLE_1)
	s_cmp_lg_u32 s20, 0
	s_sub_co_ci_u32 s9, s9, 0
	s_cmp_ge_u32 s9, s11
	s_cselect_b32 s20, -1, 0
	s_cmp_ge_u32 s14, s10
	s_cselect_b32 s14, -1, 0
	s_cmp_eq_u32 s9, s11
	s_cselect_b32 s9, s14, s20
	s_delay_alu instid0(SALU_CYCLE_1) | instskip(SKIP_4) | instid1(SALU_CYCLE_1)
	s_cmp_lg_u32 s9, 0
	s_cselect_b32 s9, s28, s26
	s_cselect_b32 s14, s29, s27
	s_cmp_lg_u32 s7, 0
	s_sub_co_ci_u32 s7, s21, s23
	s_cmp_ge_u32 s7, s11
	s_cselect_b32 s20, -1, 0
	s_cmp_ge_u32 s3, s10
	s_cselect_b32 s3, -1, 0
	s_cmp_eq_u32 s7, s11
	s_cselect_b32 s3, s3, s20
	s_delay_alu instid0(SALU_CYCLE_1) | instskip(SKIP_4) | instid1(SALU_CYCLE_1)
	s_cmp_lg_u32 s3, 0
	s_mov_b32 s3, s17
	s_cselect_b32 s11, s14, s25
	s_cselect_b32 s10, s9, s24
	s_xor_b64 s[12:13], s[12:13], 0
	s_xor_b64 s[10:11], s[10:11], s[12:13]
	s_delay_alu instid0(SALU_CYCLE_1)
	s_sub_nc_u64 s[20:21], s[10:11], s[12:13]
	s_and_not1_b32 vcc_lo, exec_lo, s3
	s_cbranch_vccnz .LBB32_3
.LBB32_2:
	v_cvt_f32_u32_e32 v1, s16
	s_sub_co_i32 s7, 0, s16
	s_mov_b32 s21, 0
	s_delay_alu instid0(VALU_DEP_1) | instskip(SKIP_1) | instid1(TRANS32_DEP_1)
	v_rcp_iflag_f32_e32 v1, v1
	v_nop
	v_mul_f32_e32 v1, 0x4f7ffffe, v1
	s_delay_alu instid0(VALU_DEP_1) | instskip(NEXT) | instid1(VALU_DEP_1)
	v_cvt_u32_f32_e32 v1, v1
	v_readfirstlane_b32 s3, v1
	s_mul_i32 s7, s7, s3
	s_delay_alu instid0(SALU_CYCLE_1) | instskip(NEXT) | instid1(SALU_CYCLE_1)
	s_mul_hi_u32 s7, s3, s7
	s_add_co_i32 s3, s3, s7
	s_delay_alu instid0(SALU_CYCLE_1) | instskip(NEXT) | instid1(SALU_CYCLE_1)
	s_mul_hi_u32 s3, s8, s3
	s_mul_i32 s7, s3, s16
	s_delay_alu instid0(SALU_CYCLE_1)
	s_sub_co_i32 s7, s8, s7
	s_add_co_i32 s8, s3, 1
	s_sub_co_i32 s9, s7, s16
	s_cmp_ge_u32 s7, s16
	s_cselect_b32 s3, s8, s3
	s_cselect_b32 s7, s9, s7
	s_add_co_i32 s8, s3, 1
	s_cmp_ge_u32 s7, s16
	s_cselect_b32 s20, s8, s3
.LBB32_3:
	s_add_co_i32 s8, s2, 1
	s_delay_alu instid0(SALU_CYCLE_1) | instskip(NEXT) | instid1(SALU_CYCLE_1)
	s_ashr_i32 s9, s8, 31
	s_mul_u64 s[8:9], s[18:19], s[8:9]
	s_delay_alu instid0(SALU_CYCLE_1) | instskip(NEXT) | instid1(SALU_CYCLE_1)
	s_and_b64 s[10:11], s[8:9], 0xffffffff00000000
	s_cmp_lg_u64 s[10:11], 0
	s_cbranch_scc0 .LBB32_22
; %bb.4:
	s_add_nc_u64 s[10:11], s[16:17], 0
	s_delay_alu instid0(SALU_CYCLE_1) | instskip(SKIP_4) | instid1(SALU_CYCLE_2)
	s_xor_b64 s[12:13], s[10:11], 0
	s_mov_b32 s11, 0
	s_cvt_f32_u32 s3, s12
	s_cvt_f32_u32 s7, s13
	s_sub_nc_u64 s[24:25], 0, s[12:13]
	s_fmamk_f32 s3, s7, 0x4f800000, s3
	s_delay_alu instid0(SALU_CYCLE_3) | instskip(NEXT) | instid1(TRANS32_DEP_1)
	v_s_rcp_f32 s3, s3
	s_mul_f32 s3, s3, 0x5f7ffffc
	s_delay_alu instid0(SALU_CYCLE_3) | instskip(NEXT) | instid1(SALU_CYCLE_3)
	s_mul_f32 s7, s3, 0x2f800000
	s_trunc_f32 s7, s7
	s_delay_alu instid0(SALU_CYCLE_3) | instskip(SKIP_1) | instid1(SALU_CYCLE_2)
	s_fmamk_f32 s3, s7, 0xcf800000, s3
	s_cvt_u32_f32 s23, s7
	s_cvt_u32_f32 s22, s3
	s_delay_alu instid0(SALU_CYCLE_3) | instskip(NEXT) | instid1(SALU_CYCLE_1)
	s_mul_u64 s[26:27], s[24:25], s[22:23]
	s_mul_hi_u32 s29, s22, s27
	s_mul_i32 s28, s22, s27
	s_mul_hi_u32 s10, s22, s26
	s_mul_i32 s7, s23, s26
	s_add_nc_u64 s[28:29], s[10:11], s[28:29]
	s_mul_hi_u32 s3, s23, s26
	s_mul_hi_u32 s14, s23, s27
	s_add_co_u32 s7, s28, s7
	s_add_co_ci_u32 s10, s29, s3
	s_mul_i32 s26, s23, s27
	s_add_co_ci_u32 s27, s14, 0
	s_delay_alu instid0(SALU_CYCLE_1) | instskip(NEXT) | instid1(SALU_CYCLE_1)
	s_add_nc_u64 s[26:27], s[10:11], s[26:27]
	s_add_co_u32 s22, s22, s26
	s_cselect_b32 s3, -1, 0
	s_delay_alu instid0(SALU_CYCLE_1) | instskip(SKIP_1) | instid1(SALU_CYCLE_1)
	s_cmp_lg_u32 s3, 0
	s_add_co_ci_u32 s23, s23, s27
	s_mul_u64 s[24:25], s[24:25], s[22:23]
	s_delay_alu instid0(SALU_CYCLE_1)
	s_mul_hi_u32 s27, s22, s25
	s_mul_i32 s26, s22, s25
	s_mul_hi_u32 s10, s22, s24
	s_mul_i32 s7, s23, s24
	s_add_nc_u64 s[26:27], s[10:11], s[26:27]
	s_mul_hi_u32 s3, s23, s24
	s_mul_hi_u32 s14, s23, s25
	s_add_co_u32 s7, s26, s7
	s_add_co_ci_u32 s10, s27, s3
	s_mul_i32 s24, s23, s25
	s_add_co_ci_u32 s25, s14, 0
	s_delay_alu instid0(SALU_CYCLE_1) | instskip(NEXT) | instid1(SALU_CYCLE_1)
	s_add_nc_u64 s[24:25], s[10:11], s[24:25]
	s_add_co_u32 s3, s22, s24
	s_cselect_b32 s7, -1, 0
	s_delay_alu instid0(SALU_CYCLE_1) | instskip(SKIP_2) | instid1(SALU_CYCLE_1)
	s_cmp_lg_u32 s7, 0
	s_add_co_ci_u32 s7, s23, s25
	s_ashr_i32 s22, s9, 31
	s_mov_b32 s23, s22
	s_delay_alu instid0(SALU_CYCLE_1) | instskip(NEXT) | instid1(SALU_CYCLE_1)
	s_add_nc_u64 s[24:25], s[8:9], s[22:23]
	s_xor_b64 s[24:25], s[24:25], s[22:23]
	s_delay_alu instid0(SALU_CYCLE_1)
	s_mul_hi_u32 s27, s24, s7
	s_mul_i32 s26, s24, s7
	s_mul_hi_u32 s10, s24, s3
	s_mul_hi_u32 s14, s25, s3
	s_mul_i32 s3, s25, s3
	s_add_nc_u64 s[26:27], s[10:11], s[26:27]
	s_mul_hi_u32 s9, s25, s7
	s_add_co_u32 s3, s26, s3
	s_add_co_ci_u32 s10, s27, s14
	s_mul_i32 s28, s25, s7
	s_add_co_ci_u32 s29, s9, 0
	s_delay_alu instid0(SALU_CYCLE_1) | instskip(NEXT) | instid1(SALU_CYCLE_1)
	s_add_nc_u64 s[26:27], s[10:11], s[28:29]
	s_and_b64 s[28:29], s[26:27], 0xffffffff00000000
	s_delay_alu instid0(SALU_CYCLE_1) | instskip(NEXT) | instid1(SALU_CYCLE_1)
	s_or_b32 s28, s28, s26
	s_mul_u64 s[26:27], s[12:13], s[28:29]
	s_add_nc_u64 s[30:31], s[28:29], 1
	s_sub_co_u32 s3, s24, s26
	s_cselect_b32 s7, -1, 0
	s_sub_co_i32 s9, s25, s27
	s_cmp_lg_u32 s7, 0
	s_add_nc_u64 s[34:35], s[28:29], 2
	s_sub_co_ci_u32 s9, s9, s13
	s_sub_co_u32 s10, s3, s12
	s_cselect_b32 s14, -1, 0
	s_delay_alu instid0(SALU_CYCLE_1) | instskip(SKIP_1) | instid1(SALU_CYCLE_1)
	s_cmp_lg_u32 s14, 0
	s_sub_co_ci_u32 s9, s9, 0
	s_cmp_ge_u32 s9, s13
	s_cselect_b32 s14, -1, 0
	s_cmp_ge_u32 s10, s12
	s_cselect_b32 s10, -1, 0
	s_cmp_eq_u32 s9, s13
	s_cselect_b32 s9, s10, s14
	s_delay_alu instid0(SALU_CYCLE_1) | instskip(SKIP_4) | instid1(SALU_CYCLE_1)
	s_cmp_lg_u32 s9, 0
	s_cselect_b32 s9, s34, s30
	s_cselect_b32 s10, s35, s31
	s_cmp_lg_u32 s7, 0
	s_sub_co_ci_u32 s7, s25, s27
	s_cmp_ge_u32 s7, s13
	s_cselect_b32 s14, -1, 0
	s_cmp_ge_u32 s3, s12
	s_cselect_b32 s3, -1, 0
	s_cmp_eq_u32 s7, s13
	s_cselect_b32 s3, s3, s14
	s_delay_alu instid0(SALU_CYCLE_1) | instskip(SKIP_3) | instid1(SALU_CYCLE_1)
	s_cmp_lg_u32 s3, 0
	s_cselect_b32 s13, s10, s29
	s_cselect_b32 s12, s9, s28
	s_xor_b64 s[22:23], s[22:23], 0
	s_xor_b64 s[12:13], s[12:13], s[22:23]
	s_delay_alu instid0(SALU_CYCLE_1)
	s_sub_nc_u64 s[24:25], s[12:13], s[22:23]
	s_load_b96 s[12:14], s[0:1], 0x44
	s_cbranch_execnz .LBB32_6
.LBB32_5:
	v_cvt_f32_u32_e32 v1, s16
	s_sub_co_i32 s7, 0, s16
	s_delay_alu instid0(VALU_DEP_1) | instskip(SKIP_1) | instid1(TRANS32_DEP_1)
	v_rcp_iflag_f32_e32 v1, v1
	v_nop
	v_mul_f32_e32 v1, 0x4f7ffffe, v1
	s_delay_alu instid0(VALU_DEP_1) | instskip(NEXT) | instid1(VALU_DEP_1)
	v_cvt_u32_f32_e32 v1, v1
	v_readfirstlane_b32 s3, v1
	s_mul_i32 s7, s7, s3
	s_delay_alu instid0(SALU_CYCLE_1) | instskip(NEXT) | instid1(SALU_CYCLE_1)
	s_mul_hi_u32 s7, s3, s7
	s_add_co_i32 s3, s3, s7
	s_delay_alu instid0(SALU_CYCLE_1) | instskip(NEXT) | instid1(SALU_CYCLE_1)
	s_mul_hi_u32 s3, s8, s3
	s_mul_i32 s7, s3, s16
	s_delay_alu instid0(SALU_CYCLE_1)
	s_sub_co_i32 s7, s8, s7
	s_add_co_i32 s8, s3, 1
	s_sub_co_i32 s9, s7, s16
	s_cmp_ge_u32 s7, s16
	s_cselect_b32 s3, s8, s3
	s_cselect_b32 s7, s9, s7
	s_add_co_i32 s8, s3, 1
	s_cmp_ge_u32 s7, s16
	s_cselect_b32 s24, s8, s3
.LBB32_6:
	s_delay_alu instid0(SALU_CYCLE_1)
	s_cmp_eq_u32 s20, s24
	s_mov_b64 s[8:9], 0xffffffff
	s_cselect_b32 s3, -1, 0
	s_and_b64 s[8:9], s[20:21], s[8:9]
	s_mov_b32 s23, 0
	s_wait_kmcnt 0x0
	s_mov_b32 s22, s12
	s_mov_b32 s25, s23
	s_mul_u64 s[10:11], s[8:9], s[22:23]
	s_delay_alu instid0(SALU_CYCLE_1) | instskip(SKIP_2) | instid1(SALU_CYCLE_1)
	s_add_co_i32 s7, s11, s20
	s_mul_u64 s[10:11], s[24:25], s[22:23]
	s_lshr_b32 s12, s7, s13
	s_mul_i32 s7, s12, s14
	s_delay_alu instid0(SALU_CYCLE_1) | instskip(SKIP_2) | instid1(SALU_CYCLE_1)
	s_cmp_eq_u32 s7, s20
	s_cselect_b32 s7, -1, 0
	s_add_co_i32 s10, s11, s24
	s_lshr_b32 s10, s10, s13
	s_delay_alu instid0(SALU_CYCLE_1)
	s_cmp_eq_u32 s12, s10
	s_mul_i32 s10, s10, s14
	s_cselect_b32 s11, -1, 0
	s_cmp_lg_u32 s10, s24
	s_cselect_b32 s10, -1, 0
	s_or_b32 s3, s3, s7
	s_and_b32 s10, s11, s10
	s_delay_alu instid0(SALU_CYCLE_1) | instskip(NEXT) | instid1(SALU_CYCLE_1)
	s_or_b32 s3, s3, s10
	s_and_b32 vcc_lo, exec_lo, s3
	s_cbranch_vccnz .LBB32_24
; %bb.7:
	s_load_b256 s[24:31], s[0:1], 0x20
	s_bfe_u32 s7, ttmp6, 0x40014
	s_bfe_u32 s33, ttmp6, 0x40010
	s_lshr_b32 s3, ttmp7, 16
	s_add_co_i32 s7, s7, 1
	s_and_b32 s21, ttmp7, 0xffff
	s_add_co_i32 s33, s33, 1
	s_bfe_u32 s10, ttmp6, 0x40008
	s_mul_i32 s7, s3, s7
	s_bfe_u32 s34, ttmp6, 0x40004
	s_mul_i32 s33, s21, s33
	s_mov_b32 s11, s23
	s_add_co_i32 s35, s10, s7
	s_add_co_i32 s34, s34, s33
	s_cmp_eq_u32 s15, 0
	s_cselect_b32 s7, s21, s34
	s_cselect_b32 s3, s3, s35
	s_wait_kmcnt 0x0
	s_mov_b32 s10, s24
	s_delay_alu instid0(SALU_CYCLE_1) | instskip(NEXT) | instid1(SALU_CYCLE_1)
	s_mul_u64 s[8:9], s[8:9], s[10:11]
	s_add_co_i32 s8, s9, s20
	s_load_b32 s9, s[0:1], 0x40
	s_lshr_b32 s8, s8, s25
	s_delay_alu instid0(SALU_CYCLE_1) | instskip(NEXT) | instid1(SALU_CYCLE_1)
	s_mul_i32 s10, s8, s26
	s_sub_co_i32 s10, s20, s10
	s_delay_alu instid0(SALU_CYCLE_1) | instskip(NEXT) | instid1(SALU_CYCLE_1)
	s_mul_hi_u32 s11, s10, s27
	s_add_co_i32 s11, s10, s11
	s_delay_alu instid0(SALU_CYCLE_1) | instskip(NEXT) | instid1(SALU_CYCLE_1)
	s_lshr_b32 s15, s11, s28
	s_mul_i32 s11, s15, s29
	s_delay_alu instid0(SALU_CYCLE_1) | instskip(NEXT) | instid1(SALU_CYCLE_1)
	s_sub_co_i32 s10, s10, s11
	s_mul_hi_u32 s11, s10, s30
	s_delay_alu instid0(SALU_CYCLE_1) | instskip(NEXT) | instid1(SALU_CYCLE_1)
	s_add_co_i32 s11, s10, s11
	s_lshr_b32 s26, s11, s31
	s_mov_b32 s11, s23
	s_wait_kmcnt 0x0
	s_mul_i32 s9, s26, s9
	s_delay_alu instid0(SALU_CYCLE_1) | instskip(NEXT) | instid1(SALU_CYCLE_1)
	s_sub_co_i32 s10, s10, s9
	s_mul_u64 s[24:25], s[10:11], s[22:23]
	s_lshl_b32 s24, s26, 1
	s_add_co_i32 s9, s10, s25
	s_delay_alu instid0(SALU_CYCLE_1) | instskip(NEXT) | instid1(SALU_CYCLE_1)
	s_lshr_b32 s21, s9, s13
	s_lshl_b32 s9, s21, 3
	s_delay_alu instid0(SALU_CYCLE_1) | instskip(NEXT) | instid1(SALU_CYCLE_1)
	s_add_co_i32 s9, s9, s7
	s_cmp_lt_i32 s9, s4
	s_cselect_b32 s9, -1, 0
	s_add_co_i32 s10, s24, s3
	s_delay_alu instid0(SALU_CYCLE_1) | instskip(SKIP_1) | instid1(SALU_CYCLE_1)
	s_cmp_lt_i32 s10, s6
	s_cselect_b32 s10, -1, 0
	s_and_b32 s9, s9, s10
	s_delay_alu instid0(SALU_CYCLE_1)
	s_and_not1_b32 vcc_lo, exec_lo, s9
	s_cbranch_vccnz .LBB32_24
; %bb.8:
	s_mul_i32 s4, s8, s4
	s_load_b128 s[8:11], s[0:1], 0x0
	s_wait_xcnt 0x0
	s_add_co_i32 s0, s4, s7
	s_mul_i32 s15, s15, s6
	s_mul_i32 s0, s0, s5
	;; [unrolled: 1-line block ×3, first 2 shown]
	s_add_co_i32 s0, s0, s3
	s_lshl_b32 s1, s1, 11
	s_add_co_i32 s0, s0, s15
	s_lshl_b32 s15, s7, 1
	s_add_co_i32 s0, s0, s24
	s_add_co_i32 s15, s15, s3
	s_lshl_b32 s0, s0, 8
	v_lshl_or_b32 v6, s15, 8, v0
	s_add_co_i32 s1, s1, s0
	v_cvt_f32_u32_e32 v4, s16
	v_or_b32_e32 v2, s1, v0
	s_add_nc_u64 s[0:1], s[16:17], 0
	s_lshl_b32 s24, s16, 6
	s_xor_b64 s[6:7], s[0:1], 0
	s_lshl_b32 s0, s2, 4
	s_cvt_f32_u32 s3, s6
	s_add_co_i32 s0, s15, s0
	s_cvt_f32_u32 s4, s7
	s_ashr_i32 s1, s0, 31
	v_rcp_iflag_f32_e32 v4, v4
	s_lshl_b64 s[0:1], s[0:1], 3
	s_fmamk_f32 s3, s4, 0x4f800000, s3
	s_wait_kmcnt 0x0
	s_add_nc_u64 s[0:1], s[10:11], s[0:1]
	s_mov_b32 s25, 0
	s_load_b64 s[28:29], s[0:1], 0x0
	v_s_rcp_f32 s3, s3
	s_wait_xcnt 0x0
	s_lshl_b64 s[0:1], s[24:25], 2
	s_add_co_i32 s36, s2, -1
	s_add_nc_u64 s[26:27], s[10:11], s[0:1]
	s_sub_nc_u64 s[34:35], 0, s[6:7]
	v_mul_f32_e32 v4, 0x4f7ffffe, v4
	s_delay_alu instid0(TRANS32_DEP_1) | instskip(NEXT) | instid1(VALU_DEP_1)
	s_mul_f32 s3, s3, 0x5f7ffffc
	v_cvt_u32_f32_e32 v7, v4
	s_delay_alu instid0(SALU_CYCLE_2) | instskip(NEXT) | instid1(SALU_CYCLE_3)
	s_mul_f32 s4, s3, 0x2f800000
	s_trunc_f32 s4, s4
	s_wait_kmcnt 0x0
	v_mov_b32_e32 v0, s29
	global_load_b32 v1, v2, s[8:9] scale_offset
	v_ashrrev_i32_e32 v3, 31, v2
	s_fmamk_f32 s0, s4, 0xcf800000, s3
	s_cvt_u32_f32 s31, s4
	s_wait_xcnt 0x0
	s_delay_alu instid0(VALU_DEP_1)
	v_lshl_add_u64 v[2:3], v[2:3], 2, s[8:9]
	s_cvt_u32_f32 s30, s0
	s_mov_b64 s[8:9], 0xffffffff
.LBB32_9:                               ; =>This Inner Loop Header: Depth=1
	s_ashr_i32 s37, s36, 31
                                        ; implicit-def: $sgpr40_sgpr41
	s_delay_alu instid0(SALU_CYCLE_1) | instskip(NEXT) | instid1(SALU_CYCLE_1)
	s_mul_u64 s[0:1], s[36:37], s[18:19]
	s_and_b64 s[2:3], s[0:1], 0xffffffff00000000
	s_delay_alu instid0(SALU_CYCLE_1)
	s_cmp_lg_u64 s[2:3], 0
	s_mov_b32 s2, -1
	s_cbranch_scc0 .LBB32_11
; %bb.10:                               ;   in Loop: Header=BB32_9 Depth=1
	s_mul_u64 s[2:3], s[34:35], s[30:31]
	s_delay_alu instid0(SALU_CYCLE_1)
	s_mul_hi_u32 s5, s30, s3
	s_mul_i32 s4, s30, s3
	s_mul_hi_u32 s24, s30, s2
	s_mul_hi_u32 s17, s31, s2
	s_add_nc_u64 s[4:5], s[24:25], s[4:5]
	s_mul_i32 s2, s31, s2
	s_mul_hi_u32 s21, s31, s3
	s_add_co_u32 s2, s4, s2
	s_add_co_ci_u32 s24, s5, s17
	s_add_co_ci_u32 s5, s21, 0
	s_mul_i32 s4, s31, s3
	s_delay_alu instid0(SALU_CYCLE_1) | instskip(NEXT) | instid1(SALU_CYCLE_1)
	s_add_nc_u64 s[2:3], s[24:25], s[4:5]
	s_add_co_u32 s2, s30, s2
	s_cselect_b32 s4, -1, 0
	s_delay_alu instid0(SALU_CYCLE_1) | instskip(SKIP_1) | instid1(SALU_CYCLE_1)
	s_cmp_lg_u32 s4, 0
	s_add_co_ci_u32 s3, s31, s3
	s_mul_u64 s[4:5], s[34:35], s[2:3]
	s_delay_alu instid0(SALU_CYCLE_1)
	s_mul_hi_u32 s39, s2, s5
	s_mul_i32 s38, s2, s5
	s_mul_hi_u32 s24, s2, s4
	s_mul_hi_u32 s17, s3, s4
	s_mul_i32 s4, s3, s4
	s_add_nc_u64 s[38:39], s[24:25], s[38:39]
	s_mul_hi_u32 s21, s3, s5
	s_add_co_u32 s4, s38, s4
	s_add_co_ci_u32 s24, s39, s17
	s_mul_i32 s4, s3, s5
	s_add_co_ci_u32 s5, s21, 0
	s_delay_alu instid0(SALU_CYCLE_1) | instskip(NEXT) | instid1(SALU_CYCLE_1)
	s_add_nc_u64 s[4:5], s[24:25], s[4:5]
	s_add_co_u32 s17, s2, s4
	s_cselect_b32 s2, -1, 0
	s_delay_alu instid0(SALU_CYCLE_1) | instskip(SKIP_2) | instid1(SALU_CYCLE_1)
	s_cmp_lg_u32 s2, 0
	s_add_co_ci_u32 s21, s3, s5
	s_ashr_i32 s2, s1, 31
	s_mov_b32 s3, s2
	s_delay_alu instid0(SALU_CYCLE_1) | instskip(NEXT) | instid1(SALU_CYCLE_1)
	s_add_nc_u64 s[4:5], s[0:1], s[2:3]
	s_xor_b64 s[4:5], s[4:5], s[2:3]
	s_delay_alu instid0(SALU_CYCLE_1)
	s_mul_hi_u32 s39, s4, s21
	s_mul_i32 s38, s4, s21
	s_mul_hi_u32 s24, s4, s17
	s_mul_hi_u32 s29, s5, s17
	s_mul_i32 s17, s5, s17
	s_add_nc_u64 s[38:39], s[24:25], s[38:39]
	s_mul_hi_u32 s1, s5, s21
	s_add_co_u32 s17, s38, s17
	s_add_co_ci_u32 s24, s39, s29
	s_mul_i32 s40, s5, s21
	s_add_co_ci_u32 s41, s1, 0
	s_delay_alu instid0(SALU_CYCLE_1) | instskip(NEXT) | instid1(SALU_CYCLE_1)
	s_add_nc_u64 s[38:39], s[24:25], s[40:41]
	s_and_b64 s[40:41], s[38:39], 0xffffffff00000000
	s_delay_alu instid0(SALU_CYCLE_1) | instskip(NEXT) | instid1(SALU_CYCLE_1)
	s_or_b32 s40, s40, s38
	s_mul_u64 s[38:39], s[6:7], s[40:41]
	s_add_nc_u64 s[42:43], s[40:41], 1
	s_sub_co_u32 s1, s4, s38
	s_cselect_b32 s4, -1, 0
	s_sub_co_i32 s17, s5, s39
	s_cmp_lg_u32 s4, 0
	s_add_nc_u64 s[44:45], s[40:41], 2
	s_sub_co_ci_u32 s17, s17, s7
	s_sub_co_u32 s21, s1, s6
	s_cselect_b32 s24, -1, 0
	s_delay_alu instid0(SALU_CYCLE_1) | instskip(SKIP_1) | instid1(SALU_CYCLE_1)
	s_cmp_lg_u32 s24, 0
	s_sub_co_ci_u32 s17, s17, 0
	s_cmp_ge_u32 s17, s7
	s_cselect_b32 s24, -1, 0
	s_cmp_ge_u32 s21, s6
	s_cselect_b32 s21, -1, 0
	s_cmp_eq_u32 s17, s7
	s_cselect_b32 s17, s21, s24
	s_delay_alu instid0(SALU_CYCLE_1) | instskip(SKIP_4) | instid1(SALU_CYCLE_1)
	s_cmp_lg_u32 s17, 0
	s_cselect_b32 s17, s44, s42
	s_cselect_b32 s21, s45, s43
	s_cmp_lg_u32 s4, 0
	s_sub_co_ci_u32 s4, s5, s39
	s_cmp_ge_u32 s4, s7
	s_cselect_b32 s5, -1, 0
	s_cmp_ge_u32 s1, s6
	s_cselect_b32 s1, -1, 0
	s_cmp_eq_u32 s4, s7
	s_cselect_b32 s1, s1, s5
	s_delay_alu instid0(SALU_CYCLE_1) | instskip(SKIP_3) | instid1(SALU_CYCLE_1)
	s_cmp_lg_u32 s1, 0
	s_cselect_b32 s5, s21, s41
	s_cselect_b32 s4, s17, s40
	s_xor_b64 s[2:3], s[2:3], 0
	s_xor_b64 s[4:5], s[4:5], s[2:3]
	s_delay_alu instid0(SALU_CYCLE_1)
	s_sub_nc_u64 s[40:41], s[4:5], s[2:3]
	s_mov_b32 s2, 0
.LBB32_11:                              ;   in Loop: Header=BB32_9 Depth=1
	s_delay_alu instid0(SALU_CYCLE_1)
	s_and_not1_b32 vcc_lo, exec_lo, s2
	s_cbranch_vccnz .LBB32_13
; %bb.12:                               ;   in Loop: Header=BB32_9 Depth=1
	v_readfirstlane_b32 s1, v7
	s_sub_co_i32 s2, 0, s16
	s_delay_alu instid0(SALU_CYCLE_1) | instskip(NEXT) | instid1(SALU_CYCLE_1)
	s_mul_i32 s2, s2, s1
	s_mul_hi_u32 s2, s1, s2
	s_delay_alu instid0(SALU_CYCLE_1) | instskip(NEXT) | instid1(SALU_CYCLE_1)
	s_add_co_i32 s1, s1, s2
	s_mul_hi_u32 s1, s0, s1
	s_delay_alu instid0(SALU_CYCLE_1) | instskip(NEXT) | instid1(SALU_CYCLE_1)
	s_mul_i32 s2, s1, s16
	s_sub_co_i32 s0, s0, s2
	s_add_co_i32 s2, s1, 1
	s_sub_co_i32 s3, s0, s16
	s_cmp_ge_u32 s0, s16
	s_cselect_b32 s1, s2, s1
	s_cselect_b32 s0, s3, s0
	s_add_co_i32 s2, s1, 1
	s_cmp_ge_u32 s0, s16
	s_cselect_b32 s24, s2, s1
	s_delay_alu instid0(SALU_CYCLE_1)
	s_mov_b64 s[40:41], s[24:25]
.LBB32_13:                              ;   in Loop: Header=BB32_9 Depth=1
	s_delay_alu instid0(SALU_CYCLE_1)
	s_cmp_lg_u32 s20, s40
	s_mov_b32 s0, -1
                                        ; implicit-def: $vgpr4_vgpr5
                                        ; implicit-def: $sgpr24
                                        ; implicit-def: $sgpr17
                                        ; implicit-def: $sgpr21
                                        ; implicit-def: $sgpr29
	s_cbranch_scc0 .LBB32_18
; %bb.14:                               ;   in Loop: Header=BB32_9 Depth=1
	s_add_co_i32 s0, s36, s16
	v_max_num_f32_e64 v4, s28, s28
	s_lshl_b32 s0, s0, 4
	s_mov_b32 s29, s20
	s_add_co_i32 s0, s0, s15
	s_load_b64 s[38:39], s[10:11], s0 offset:0x0 scale_offset
	s_wait_xcnt 0x0
	v_readfirstlane_b32 s0, v4
	s_wait_kmcnt 0x0
	v_max_num_f32_e64 v5, s38, s38
	s_delay_alu instid0(VALU_DEP_1) | instskip(SKIP_1) | instid1(SALU_CYCLE_3)
	v_readfirstlane_b32 s1, v5
	s_max_num_f32 s17, s0, s1
	s_sub_f32 s33, s28, s17
	s_sub_f32 s37, s38, s17
	s_delay_alu instid0(SALU_CYCLE_2)
	s_cmp_nlt_f32 s33, 0xc2ce8ed0
	s_cselect_b32 s1, -1, 0
	s_cmp_ngt_f32 s33, 0x42b17218
	s_cselect_b32 s2, -1, 0
	s_cmp_ge_f32 s33, 0xc1a00000
	s_cselect_b32 s0, -1, 0
	s_cmp_nlt_f32 s37, 0xc2ce8ed0
	s_cselect_b32 s3, -1, 0
	s_cmp_ngt_f32 s37, 0x42b17218
	s_cselect_b32 s4, -1, 0
	s_cmp_ge_f32 s37, 0xc1a00000
	s_cselect_b32 s5, -1, 0
	s_and_b64 s[42:43], s[40:41], s[8:9]
	s_delay_alu instid0(SALU_CYCLE_1) | instskip(NEXT) | instid1(SALU_CYCLE_1)
	s_mul_u64 s[42:43], s[42:43], s[22:23]
	s_add_co_i32 s21, s43, s40
	s_delay_alu instid0(SALU_CYCLE_1) | instskip(NEXT) | instid1(SALU_CYCLE_1)
	s_lshr_b32 s21, s21, s13
	s_mul_i32 s24, s21, s14
	s_delay_alu instid0(SALU_CYCLE_1) | instskip(SKIP_3) | instid1(SALU_CYCLE_1)
	s_cmp_eq_u32 s24, s40
	s_cselect_b32 s24, -1, 0
	s_cmp_lt_u32 s21, s12
	s_cselect_b32 s21, -1, 0
	s_or_b32 s21, s21, s24
	s_mov_b32 s24, -1
	s_and_b32 vcc_lo, exec_lo, s21
	s_mov_b32 s21, s36
	s_cbranch_vccnz .LBB32_16
; %bb.15:                               ;   in Loop: Header=BB32_9 Depth=1
	s_add_co_i32 s21, s36, -1
	s_mov_b32 s24, 0
	s_mov_b32 s29, s40
.LBB32_16:                              ;   in Loop: Header=BB32_9 Depth=1
	v_lshl_add_u32 v4, s36, 12, v6
	s_mul_f32 s40, s33, 0x3fb8aa3b
	s_mul_f32 s38, s37, 0x3fb8aa3b
	s_delay_alu instid0(SALU_CYCLE_2)
	s_xor_b32 s42, s40, 0x80000000
	global_load_b32 v5, v4, s[26:27] scale_offset
	s_fmamk_f32 s42, s33, 0x3fb8aa3b, s42
	s_rndne_f32 s44, s40
	s_xor_b32 s41, s38, 0x80000000
	s_rndne_f32 s43, s38
	s_fmamk_f32 s33, s33, 0x32a5705f, s42
	s_sub_f32 s40, s40, s44
	s_fmamk_f32 s41, s37, 0x3fb8aa3b, s41
	s_sub_f32 s38, s38, s43
	s_delay_alu instid0(SALU_CYCLE_1) | instskip(NEXT) | instid1(SALU_CYCLE_1)
	s_add_f32 s33, s40, s33
	s_fmamk_f32 s37, s37, 0x32a5705f, s41
	s_cvt_i32_f32 s40, s44
	s_delay_alu instid0(SALU_CYCLE_1) | instskip(NEXT) | instid1(SALU_CYCLE_1)
	v_s_exp_f32 s33, s33
	s_add_f32 s37, s38, s37
	s_cvt_i32_f32 s38, s43
	s_delay_alu instid0(SALU_CYCLE_2) | instskip(NEXT) | instid1(TRANS32_DEP_2)
	v_s_exp_f32 s37, s37
	v_ldexp_f32 v8, s33, s40
	s_wait_xcnt 0x0
	s_delay_alu instid0(TRANS32_DEP_1) | instskip(NEXT) | instid1(VALU_DEP_2)
	v_ldexp_f32 v4, s37, s38
	v_cndmask_b32_e64 v8, 0, v8, s1
	s_delay_alu instid0(VALU_DEP_1) | instskip(NEXT) | instid1(VALU_DEP_1)
	v_cndmask_b32_e64 v9, 0x7f800000, v8, s2
	v_dual_cndmask_b32 v4, 0, v4, s3 :: v_dual_cndmask_b32 v10, 0, v9, s0
	s_delay_alu instid0(VALU_DEP_1) | instskip(NEXT) | instid1(VALU_DEP_1)
	v_cndmask_b32_e64 v4, 0x7f800000, v4, s4
	v_dual_cndmask_b32 v8, 0, v4, s5 :: v_dual_mov_b32 v4, s39
	s_wait_loadcnt 0x0
	s_delay_alu instid0(VALU_DEP_1) | instskip(NEXT) | instid1(VALU_DEP_1)
	v_pk_mul_f32 v[4:5], v[4:5], v[8:9] op_sel_hi:[1,0]
	v_pk_fma_f32 v[4:5], v[0:1], v[10:11], v[4:5] op_sel_hi:[1,0,1]
	s_cbranch_execz .LBB32_19
.LBB32_17:                              ;   in Loop: Header=BB32_9 Depth=1
	s_and_not1_b32 vcc_lo, exec_lo, s24
	s_cbranch_vccnz .LBB32_20
	s_branch .LBB32_23
.LBB32_18:                              ;   in Loop: Header=BB32_9 Depth=1
	s_and_not1_b32 vcc_lo, exec_lo, s0
	s_cbranch_vccnz .LBB32_17
.LBB32_19:                              ;   in Loop: Header=BB32_9 Depth=1
	s_wait_loadcnt 0x0
	v_mov_b64_e32 v[4:5], v[0:1]
	s_add_co_i32 s21, s36, -1
	s_mov_b32 s29, s20
	s_mov_b32 s17, s28
	s_cbranch_execz .LBB32_23
.LBB32_20:                              ;   in Loop: Header=BB32_9 Depth=1
	s_wait_loadcnt 0x0
	s_delay_alu instid0(VALU_DEP_1)
	v_mov_b64_e32 v[0:1], v[4:5]
	s_mov_b32 s20, s29
	s_mov_b32 s36, s21
	;; [unrolled: 1-line block ×3, first 2 shown]
	s_branch .LBB32_9
.LBB32_21:
                                        ; implicit-def: $sgpr20_sgpr21
	s_branch .LBB32_2
.LBB32_22:
                                        ; implicit-def: $sgpr24_sgpr25
	s_load_b96 s[12:14], s[0:1], 0x44
	s_branch .LBB32_5
.LBB32_23:
	s_delay_alu instid0(VALU_DEP_1) | instskip(SKIP_1) | instid1(VALU_DEP_1)
	v_div_scale_f32 v0, null, v4, v4, v5
	s_wait_loadcnt 0x0
	v_rcp_f32_e32 v1, v0
	v_nop
	s_delay_alu instid0(TRANS32_DEP_1) | instskip(NEXT) | instid1(VALU_DEP_1)
	v_fma_f32 v6, -v0, v1, 1.0
	v_fmac_f32_e32 v1, v6, v1
	v_div_scale_f32 v6, vcc_lo, v5, v4, v5
	s_delay_alu instid0(VALU_DEP_1) | instskip(NEXT) | instid1(VALU_DEP_1)
	v_mul_f32_e32 v7, v6, v1
	v_fma_f32 v8, -v0, v7, v6
	s_delay_alu instid0(VALU_DEP_1) | instskip(NEXT) | instid1(VALU_DEP_1)
	v_fmac_f32_e32 v7, v8, v1
	v_fma_f32 v0, -v0, v7, v6
	s_delay_alu instid0(VALU_DEP_1) | instskip(NEXT) | instid1(VALU_DEP_1)
	v_div_fmas_f32 v0, v0, v1, v7
	v_div_fixup_f32 v0, v0, v4, v5
	global_store_b32 v[2:3], v0, off
.LBB32_24:
	s_endpgm
	.section	.rodata,"a",@progbits
	.p2align	6, 0x0
	.amdhsa_kernel _ZL33flash_attn_stream_k_fixup_generalILi256ELi8ELi2EEvPfPK15HIP_vector_typeIfLj2EEiiiiS1_IjLj3EES5_S5_S5_
		.amdhsa_group_segment_fixed_size 0
		.amdhsa_private_segment_fixed_size 0
		.amdhsa_kernarg_size 336
		.amdhsa_user_sgpr_count 2
		.amdhsa_user_sgpr_dispatch_ptr 0
		.amdhsa_user_sgpr_queue_ptr 0
		.amdhsa_user_sgpr_kernarg_segment_ptr 1
		.amdhsa_user_sgpr_dispatch_id 0
		.amdhsa_user_sgpr_kernarg_preload_length 0
		.amdhsa_user_sgpr_kernarg_preload_offset 0
		.amdhsa_user_sgpr_private_segment_size 0
		.amdhsa_wavefront_size32 1
		.amdhsa_uses_dynamic_stack 0
		.amdhsa_enable_private_segment 0
		.amdhsa_system_sgpr_workgroup_id_x 1
		.amdhsa_system_sgpr_workgroup_id_y 1
		.amdhsa_system_sgpr_workgroup_id_z 1
		.amdhsa_system_sgpr_workgroup_info 0
		.amdhsa_system_vgpr_workitem_id 0
		.amdhsa_next_free_vgpr 12
		.amdhsa_next_free_sgpr 46
		.amdhsa_named_barrier_count 0
		.amdhsa_reserve_vcc 1
		.amdhsa_float_round_mode_32 0
		.amdhsa_float_round_mode_16_64 0
		.amdhsa_float_denorm_mode_32 3
		.amdhsa_float_denorm_mode_16_64 3
		.amdhsa_fp16_overflow 0
		.amdhsa_memory_ordered 1
		.amdhsa_forward_progress 1
		.amdhsa_inst_pref_size 27
		.amdhsa_round_robin_scheduling 0
		.amdhsa_exception_fp_ieee_invalid_op 0
		.amdhsa_exception_fp_denorm_src 0
		.amdhsa_exception_fp_ieee_div_zero 0
		.amdhsa_exception_fp_ieee_overflow 0
		.amdhsa_exception_fp_ieee_underflow 0
		.amdhsa_exception_fp_ieee_inexact 0
		.amdhsa_exception_int_div_zero 0
	.end_amdhsa_kernel
	.section	.text._ZL33flash_attn_stream_k_fixup_generalILi256ELi8ELi2EEvPfPK15HIP_vector_typeIfLj2EEiiiiS1_IjLj3EES5_S5_S5_,"axG",@progbits,_ZL33flash_attn_stream_k_fixup_generalILi256ELi8ELi2EEvPfPK15HIP_vector_typeIfLj2EEiiiiS1_IjLj3EES5_S5_S5_,comdat
.Lfunc_end32:
	.size	_ZL33flash_attn_stream_k_fixup_generalILi256ELi8ELi2EEvPfPK15HIP_vector_typeIfLj2EEiiiiS1_IjLj3EES5_S5_S5_, .Lfunc_end32-_ZL33flash_attn_stream_k_fixup_generalILi256ELi8ELi2EEvPfPK15HIP_vector_typeIfLj2EEiiiiS1_IjLj3EES5_S5_S5_
                                        ; -- End function
	.set _ZL33flash_attn_stream_k_fixup_generalILi256ELi8ELi2EEvPfPK15HIP_vector_typeIfLj2EEiiiiS1_IjLj3EES5_S5_S5_.num_vgpr, 12
	.set _ZL33flash_attn_stream_k_fixup_generalILi256ELi8ELi2EEvPfPK15HIP_vector_typeIfLj2EEiiiiS1_IjLj3EES5_S5_S5_.num_agpr, 0
	.set _ZL33flash_attn_stream_k_fixup_generalILi256ELi8ELi2EEvPfPK15HIP_vector_typeIfLj2EEiiiiS1_IjLj3EES5_S5_S5_.numbered_sgpr, 46
	.set _ZL33flash_attn_stream_k_fixup_generalILi256ELi8ELi2EEvPfPK15HIP_vector_typeIfLj2EEiiiiS1_IjLj3EES5_S5_S5_.num_named_barrier, 0
	.set _ZL33flash_attn_stream_k_fixup_generalILi256ELi8ELi2EEvPfPK15HIP_vector_typeIfLj2EEiiiiS1_IjLj3EES5_S5_S5_.private_seg_size, 0
	.set _ZL33flash_attn_stream_k_fixup_generalILi256ELi8ELi2EEvPfPK15HIP_vector_typeIfLj2EEiiiiS1_IjLj3EES5_S5_S5_.uses_vcc, 1
	.set _ZL33flash_attn_stream_k_fixup_generalILi256ELi8ELi2EEvPfPK15HIP_vector_typeIfLj2EEiiiiS1_IjLj3EES5_S5_S5_.uses_flat_scratch, 0
	.set _ZL33flash_attn_stream_k_fixup_generalILi256ELi8ELi2EEvPfPK15HIP_vector_typeIfLj2EEiiiiS1_IjLj3EES5_S5_S5_.has_dyn_sized_stack, 0
	.set _ZL33flash_attn_stream_k_fixup_generalILi256ELi8ELi2EEvPfPK15HIP_vector_typeIfLj2EEiiiiS1_IjLj3EES5_S5_S5_.has_recursion, 0
	.set _ZL33flash_attn_stream_k_fixup_generalILi256ELi8ELi2EEvPfPK15HIP_vector_typeIfLj2EEiiiiS1_IjLj3EES5_S5_S5_.has_indirect_call, 0
	.section	.AMDGPU.csdata,"",@progbits
; Kernel info:
; codeLenInByte = 3360
; TotalNumSgprs: 48
; NumVgprs: 12
; ScratchSize: 0
; MemoryBound: 0
; FloatMode: 240
; IeeeMode: 1
; LDSByteSize: 0 bytes/workgroup (compile time only)
; SGPRBlocks: 0
; VGPRBlocks: 0
; NumSGPRsForWavesPerEU: 48
; NumVGPRsForWavesPerEU: 12
; NamedBarCnt: 0
; Occupancy: 16
; WaveLimiterHint : 0
; COMPUTE_PGM_RSRC2:SCRATCH_EN: 0
; COMPUTE_PGM_RSRC2:USER_SGPR: 2
; COMPUTE_PGM_RSRC2:TRAP_HANDLER: 0
; COMPUTE_PGM_RSRC2:TGID_X_EN: 1
; COMPUTE_PGM_RSRC2:TGID_Y_EN: 1
; COMPUTE_PGM_RSRC2:TGID_Z_EN: 1
; COMPUTE_PGM_RSRC2:TIDIG_COMP_CNT: 0
	.section	.text._ZL15flash_attn_tileILi256ELi256ELi4ELi2ELb0EEvPKcS1_S1_S1_S1_PKiPfP15HIP_vector_typeIfLj2EEffffjfiS5_IjLj3EEiiiiiiiiiiiliiliiiiil,"axG",@progbits,_ZL15flash_attn_tileILi256ELi256ELi4ELi2ELb0EEvPKcS1_S1_S1_S1_PKiPfP15HIP_vector_typeIfLj2EEffffjfiS5_IjLj3EEiiiiiiiiiiiliiliiiiil,comdat
	.globl	_ZL15flash_attn_tileILi256ELi256ELi4ELi2ELb0EEvPKcS1_S1_S1_S1_PKiPfP15HIP_vector_typeIfLj2EEffffjfiS5_IjLj3EEiiiiiiiiiiiliiliiiiil ; -- Begin function _ZL15flash_attn_tileILi256ELi256ELi4ELi2ELb0EEvPKcS1_S1_S1_S1_PKiPfP15HIP_vector_typeIfLj2EEffffjfiS5_IjLj3EEiiiiiiiiiiiliiliiiiil
	.p2align	8
	.type	_ZL15flash_attn_tileILi256ELi256ELi4ELi2ELb0EEvPKcS1_S1_S1_S1_PKiPfP15HIP_vector_typeIfLj2EEffffjfiS5_IjLj3EEiiiiiiiiiiiliiliiiiil,@function
_ZL15flash_attn_tileILi256ELi256ELi4ELi2ELb0EEvPKcS1_S1_S1_S1_PKiPfP15HIP_vector_typeIfLj2EEffffjfiS5_IjLj3EEiiiiiiiiiiiliiliiiiil: ; @_ZL15flash_attn_tileILi256ELi256ELi4ELi2ELb0EEvPKcS1_S1_S1_S1_PKiPfP15HIP_vector_typeIfLj2EEffffjfiS5_IjLj3EEiiiiiiiiiiiliiliiiiil
; %bb.0:
	s_clause 0x1
	s_load_b128 s[20:23], s[0:1], 0x5c
	s_load_b64 s[34:35], s[0:1], 0x80
	s_bfe_u32 s5, ttmp6, 0x40014
	s_lshr_b32 s4, ttmp7, 16
	s_add_co_i32 s5, s5, 1
	s_bfe_u32 s6, ttmp6, 0x40008
	s_mul_i32 s5, s4, s5
	s_getreg_b32 s24, hwreg(HW_REG_IB_STS2, 6, 4)
	s_add_co_i32 s6, s6, s5
	s_load_b64 s[38:39], s[0:1], 0xb8
	s_mov_b64 s[36:37], 0
	s_wait_kmcnt 0x0
	s_lshr_b32 s2, s23, 31
	s_delay_alu instid0(SALU_CYCLE_1) | instskip(NEXT) | instid1(SALU_CYCLE_1)
	s_add_co_i32 s2, s23, s2
	s_ashr_i32 s2, s2, 1
	s_delay_alu instid0(SALU_CYCLE_1) | instskip(SKIP_1) | instid1(SALU_CYCLE_2)
	s_cvt_f32_u32 s3, s2
	s_sub_co_i32 s7, 0, s2
	v_rcp_iflag_f32_e32 v1, s3
	v_nop
	s_delay_alu instid0(TRANS32_DEP_1) | instskip(SKIP_1) | instid1(SALU_CYCLE_3)
	v_readfirstlane_b32 s3, v1
	s_mul_f32 s3, s3, 0x4f7ffffe
	s_cvt_u32_f32 s3, s3
	s_delay_alu instid0(SALU_CYCLE_3) | instskip(NEXT) | instid1(SALU_CYCLE_1)
	s_mul_i32 s7, s7, s3
	s_mul_hi_u32 s7, s3, s7
	s_delay_alu instid0(SALU_CYCLE_1) | instskip(SKIP_2) | instid1(SALU_CYCLE_1)
	s_add_co_i32 s3, s3, s7
	s_cmp_eq_u32 s24, 0
	s_cselect_b32 s4, s4, s6
	s_mul_hi_u32 s3, s4, s3
	s_delay_alu instid0(SALU_CYCLE_1) | instskip(SKIP_2) | instid1(SALU_CYCLE_1)
	s_mul_i32 s5, s3, s2
	s_add_co_i32 s6, s3, 1
	s_sub_co_i32 s5, s4, s5
	s_sub_co_i32 s7, s5, s2
	s_cmp_ge_u32 s5, s2
	s_cselect_b32 s3, s6, s3
	s_cselect_b32 s5, s7, s5
	s_add_co_i32 s6, s3, 1
	s_cmp_ge_u32 s5, s2
	s_cselect_b32 s28, s6, s3
	s_abs_i32 s2, s35
	s_abs_i32 s7, s23
	s_cvt_f32_u32 s3, s2
	s_sub_co_i32 s5, 0, s2
	s_lshl_b32 s4, s4, 1
	s_mul_i32 s6, s28, s23
	v_rcp_iflag_f32_e32 v1, s3
	s_sub_co_i32 s30, s4, s6
	s_xor_b32 s4, s23, s35
	s_delay_alu instid0(SALU_CYCLE_1) | instskip(SKIP_1) | instid1(TRANS32_DEP_1)
	s_ashr_i32 s25, s4, 31
	v_nop
	v_readfirstlane_b32 s3, v1
	s_mul_f32 s3, s3, 0x4f7ffffe
	s_delay_alu instid0(SALU_CYCLE_3) | instskip(NEXT) | instid1(SALU_CYCLE_3)
	s_cvt_u32_f32 s3, s3
	s_mul_i32 s5, s5, s3
	s_delay_alu instid0(SALU_CYCLE_1) | instskip(NEXT) | instid1(SALU_CYCLE_1)
	s_mul_hi_u32 s5, s3, s5
	s_add_co_i32 s3, s3, s5
	s_delay_alu instid0(SALU_CYCLE_1) | instskip(NEXT) | instid1(SALU_CYCLE_1)
	s_mul_hi_u32 s3, s7, s3
	s_mul_i32 s5, s3, s2
	s_delay_alu instid0(SALU_CYCLE_1)
	s_sub_co_i32 s4, s7, s5
	s_add_co_i32 s5, s3, 1
	s_sub_co_i32 s6, s4, s2
	s_cmp_ge_u32 s4, s2
	s_cselect_b32 s3, s5, s3
	s_cselect_b32 s4, s6, s4
	s_add_co_i32 s5, s3, 1
	s_cmp_ge_u32 s4, s2
	s_cselect_b32 s2, s5, s3
	s_load_b512 s[4:19], s[0:1], 0x0
	s_xor_b32 s2, s2, s25
	s_mov_b32 s3, 0
	s_sub_co_i32 s29, s2, s25
	s_delay_alu instid0(SALU_CYCLE_1) | instskip(NEXT) | instid1(SALU_CYCLE_1)
	s_abs_i32 s31, s29
	s_cvt_f32_u32 s2, s31
	s_delay_alu instid0(SALU_CYCLE_3) | instskip(SKIP_1) | instid1(TRANS32_DEP_1)
	v_rcp_iflag_f32_e32 v1, s2
	v_nop
	v_readfirstlane_b32 s2, v1
	s_wait_kmcnt 0x0
	s_cmp_eq_u64 s[10:11], 0
	s_cbranch_scc1 .LBB33_2
; %bb.1:
	s_abs_i32 s25, s38
	s_abs_i32 s33, s28
	s_cvt_f32_u32 s26, s25
	s_sub_co_i32 s27, 0, s25
	s_delay_alu instid0(SALU_CYCLE_2) | instskip(SKIP_1) | instid1(TRANS32_DEP_1)
	v_rcp_iflag_f32_e32 v1, s26
	v_nop
	v_readfirstlane_b32 s26, v1
	s_mul_f32 s26, s26, 0x4f7ffffe
	s_delay_alu instid0(SALU_CYCLE_3) | instskip(NEXT) | instid1(SALU_CYCLE_3)
	s_cvt_u32_f32 s26, s26
	s_mul_i32 s27, s27, s26
	s_delay_alu instid0(SALU_CYCLE_1) | instskip(NEXT) | instid1(SALU_CYCLE_1)
	s_mul_hi_u32 s27, s26, s27
	s_add_co_i32 s26, s26, s27
	s_delay_alu instid0(SALU_CYCLE_1) | instskip(SKIP_2) | instid1(SALU_CYCLE_1)
	s_mul_hi_u32 s35, s33, s26
	s_load_b64 s[26:27], s[0:1], 0xc8
	s_mul_i32 s35, s35, s25
	s_sub_co_i32 s33, s33, s35
	s_ashr_i32 s35, s28, 31
	s_sub_co_i32 s36, s33, s25
	s_cmp_ge_u32 s33, s25
	s_cselect_b32 s33, s36, s33
	s_delay_alu instid0(SALU_CYCLE_1) | instskip(SKIP_2) | instid1(SALU_CYCLE_1)
	s_sub_co_i32 s36, s33, s25
	s_cmp_ge_u32 s33, s25
	s_cselect_b32 s25, s36, s33
	s_xor_b32 s25, s25, s35
	s_delay_alu instid0(SALU_CYCLE_1) | instskip(NEXT) | instid1(SALU_CYCLE_1)
	s_sub_co_i32 s36, s25, s35
	s_ashr_i32 s37, s36, 31
	s_wait_kmcnt 0x0
	s_mul_u64 s[26:27], s[26:27], s[36:37]
	s_delay_alu instid0(SALU_CYCLE_1)
	s_add_nc_u64 s[36:37], s[10:11], s[26:27]
.LBB33_2:
	s_bfe_u32 s10, ttmp6, 0x4000c
	s_and_b32 s11, ttmp6, 15
	s_add_co_i32 s10, s10, 1
	v_bfe_u32 v1, v0, 10, 10
	s_mul_i32 s10, ttmp9, s10
	s_load_b96 s[40:42], s[0:1], 0x70
	s_add_co_i32 s11, s11, s10
	s_cmp_eq_u32 s24, 0
	v_and_b32_e32 v63, 0x3ff, v0
	s_cselect_b32 s10, ttmp9, s11
	v_lshl_add_u32 v65, v1, 10, 0x4200
	v_lshl_add_u32 v62, s10, 2, v1
	s_delay_alu instid0(VALU_DEP_3) | instskip(NEXT) | instid1(VALU_DEP_2)
	v_dual_mov_b32 v3, 0 :: v_dual_lshlrev_b32 v6, 4, v63
	v_mul_hi_u32 v2, s20, v62
	s_delay_alu instid0(VALU_DEP_2) | instskip(SKIP_3) | instid1(VALU_DEP_2)
	v_mov_b32_e32 v7, v3
	s_wait_kmcnt 0x0
	s_mul_i32 s20, s30, s41
	s_ashr_i32 s27, s41, 31
	v_add_nc_u32_e32 v2, v62, v2
	s_mov_b32 s26, s41
	s_ashr_i32 s41, s40, 31
	s_delay_alu instid0(SALU_CYCLE_1) | instskip(NEXT) | instid1(VALU_DEP_1)
	s_lshr_b64 s[40:41], s[40:41], 2
	v_lshrrev_b32_e32 v2, s21, v2
	s_ashr_i32 s21, s20, 31
	s_delay_alu instid0(VALU_DEP_1) | instskip(NEXT) | instid1(VALU_DEP_1)
	v_mul_lo_u32 v2, v2, s22
	v_sub_nc_u32_e32 v2, v62, v2
	s_delay_alu instid0(VALU_DEP_1) | instskip(SKIP_1) | instid1(SALU_CYCLE_1)
	v_mul_u64_e32 v[4:5], s[40:41], v[2:3]
	s_mul_i32 s40, s28, s42
	s_ashr_i32 s41, s40, 31
	s_delay_alu instid0(SALU_CYCLE_1) | instskip(NEXT) | instid1(SALU_CYCLE_1)
	s_add_nc_u64 s[4:5], s[4:5], s[40:41]
	s_add_nc_u64 s[4:5], s[4:5], s[20:21]
	s_delay_alu instid0(VALU_DEP_1) | instid1(SALU_CYCLE_1)
	v_lshl_add_u64 v[4:5], v[4:5], 2, s[4:5]
	s_and_b64 s[4:5], s[26:27], -4
	s_cmp_eq_u64 s[14:15], 0
	s_delay_alu instid0(VALU_DEP_1)
	v_add_nc_u64_e32 v[12:13], v[4:5], v[6:7]
	s_clause 0x1
	global_load_b128 v[4:7], v[12:13], off
	global_load_b128 v[8:11], v[12:13], off offset:512
	v_add_nc_u64_e32 v[20:21], s[4:5], v[12:13]
	s_load_b32 s4, s[0:1], 0x40
	s_clause 0x1
	global_load_b128 v[12:15], v[20:21], off
	global_load_b128 v[16:19], v[20:21], off offset:512
	s_wait_loadcnt 0x3
	s_wait_kmcnt 0x0
	v_fma_mixlo_f16 v3, s4, v4, 0
	v_fma_mixlo_f16 v4, s4, v5, 0
	v_lshlrev_b32_e32 v66, 3, v63
	v_fma_mixlo_f16 v5, s4, v6, 0
	v_fma_mixlo_f16 v6, s4, v7, 0
	s_wait_loadcnt 0x2
	v_fma_mixlo_f16 v7, s4, v8, 0
	v_fma_mixlo_f16 v8, s4, v9, 0
	;; [unrolled: 1-line block ×4, first 2 shown]
	v_dual_lshlrev_b32 v4, 16, v4 :: v_dual_add_nc_u32 v0, v65, v66
	s_delay_alu instid0(VALU_DEP_4)
	v_lshlrev_b32_e32 v8, 16, v8
	v_and_b32_e32 v3, 0xffff, v3
	v_lshlrev_b32_e32 v6, 16, v6
	v_and_b32_e32 v5, 0xffff, v5
	v_and_b32_e32 v7, 0xffff, v7
	v_lshlrev_b32_e32 v10, 16, v10
	v_and_b32_e32 v9, 0xffff, v9
	s_wait_loadcnt 0x1
	v_fma_mixlo_f16 v11, s4, v12, 0
	v_fma_mixlo_f16 v12, s4, v13, 0
	;; [unrolled: 1-line block ×4, first 2 shown]
	s_wait_loadcnt 0x0
	v_fma_mixlo_f16 v15, s4, v16, 0
	v_fma_mixlo_f16 v16, s4, v17, 0
	;; [unrolled: 1-line block ×4, first 2 shown]
	v_or_b32_e32 v3, v4, v3
	v_or3_b32 v5, v6, v5, 0
	v_or_b32_e32 v6, v8, v7
	v_or3_b32 v7, v10, v9, 0
	v_dual_lshlrev_b32 v8, 16, v12 :: v_dual_lshlrev_b32 v10, 16, v14
	v_and_b32_e32 v9, 0xffff, v11
	v_and_b32_e32 v11, 0xffff, v13
	v_dual_lshlrev_b32 v12, 16, v16 :: v_dual_lshlrev_b32 v14, 16, v18
	v_and_b32_e32 v13, 0xffff, v15
	v_and_b32_e32 v15, 0xffff, v17
	v_or3_b32 v4, 0, 0, v3
	v_or_b32_e32 v3, v8, v9
	v_or3_b32 v6, 0, 0, v6
	v_or_b32_e32 v12, v12, v13
	v_or3_b32 v9, v10, v11, 0
	v_or3_b32 v11, v14, v15, 0
	;; [unrolled: 1-line block ×3, first 2 shown]
	s_delay_alu instid0(VALU_DEP_4)
	v_or3_b32 v10, 0, 0, v12
	ds_store_2addr_b64 v0, v[4:5], v[6:7] offset1:32
	ds_store_2addr_b64 v0, v[8:9], v[10:11] offset0:64 offset1:96
	s_wait_dscnt 0x0
	s_barrier_signal -1
	s_barrier_wait -1
	s_cbranch_scc1 .LBB33_4
; %bb.3:
	s_load_b32 s4, s[0:1], 0xd0
	s_wait_kmcnt 0x0
	s_mul_i32 s4, s4, s28
	s_delay_alu instid0(SALU_CYCLE_1)
	s_add_co_i32 s4, s4, s10
	s_load_b32 s34, s[14:15], s4 offset:0x0 scale_offset
.LBB33_4:
	s_wait_xcnt 0x0
	s_bfe_u32 s4, ttmp6, 0x40010
	s_and_b32 s5, ttmp7, 0xffff
	s_add_co_i32 s4, s4, 1
	s_bfe_u32 s10, ttmp6, 0x40004
	s_mul_i32 s4, s5, s4
	v_lshlrev_b32_e32 v64, 2, v63
	s_add_co_i32 s10, s10, s4
	s_cmp_eq_u32 s24, 0
	v_mbcnt_lo_u32_b32 v67, -1, 0
	s_cselect_b32 s33, s5, s10
	s_mov_b32 s5, 0
	s_lshl_b32 s4, s33, 5
	s_wait_kmcnt 0x0
	s_cmp_lt_i32 s4, s34
	s_cbranch_scc1 .LBB33_7
; %bb.5:
	v_mbcnt_lo_u32_b32 v0, -1, 0
	s_delay_alu instid0(VALU_DEP_1)
	v_dual_mov_b32 v69, 32 :: v_dual_bitop2_b32 v75, 16, v0 bitop3:0x14
	v_xor_b32_e32 v73, 8, v0
	v_xor_b32_e32 v72, 4, v0
	;; [unrolled: 1-line block ×4, first 2 shown]
	s_and_not1_b32 vcc_lo, exec_lo, s5
	s_cbranch_vccz .LBB33_8
; %bb.6:
	v_dual_mov_b32 v57, 0xfeffffff :: v_dual_mov_b32 v106, 0
	v_dual_mov_b32 v41, 0 :: v_dual_mov_b32 v103, 0
	;; [unrolled: 1-line block ×3, first 2 shown]
	s_delay_alu instid0(VALU_DEP_2)
	v_dual_mov_b32 v56, v57 :: v_dual_mov_b32 v40, v41
	v_dual_mov_b32 v99, 0 :: v_dual_mov_b32 v102, 0
	;; [unrolled: 1-line block ×3, first 2 shown]
	s_branch .LBB33_11
.LBB33_7:
                                        ; implicit-def: $vgpr0
                                        ; implicit-def: $vgpr69
                                        ; implicit-def: $vgpr75
                                        ; implicit-def: $vgpr73
                                        ; implicit-def: $vgpr72
                                        ; implicit-def: $vgpr71
                                        ; implicit-def: $vgpr70
.LBB33_8:
	s_clause 0x1
	s_load_b64 s[20:21], s[0:1], 0x8c
	s_load_b128 s[24:27], s[0:1], 0x98
	s_mul_f32 s2, s2, 0x4f7ffffe
	s_sub_co_i32 s5, 0, s31
	s_mov_b32 s11, s3
	s_ashr_i32 s14, s30, 31
	s_cvt_u32_f32 s10, s2
	s_abs_i32 s2, s30
	s_ashr_i32 s15, s29, 31
	s_ashr_i32 s29, s28, 31
	s_mul_i32 s5, s5, s10
	s_xor_b32 s15, s14, s15
	s_mul_hi_u32 s5, s10, s5
	s_load_b64 s[40:41], s[0:1], 0xa8
	s_add_co_i32 s10, s10, s5
	s_ashr_i32 s5, s39, 1
	s_mul_u64 s[10:11], s[2:3], s[10:11]
	v_mad_u32 v82, v2, s5, v63
	s_mul_i32 s3, s11, s31
	v_lshl_add_u32 v83, v1, 7, 0x5200
	s_wait_kmcnt 0x0
	s_ashr_i32 s14, s20, 2
	s_sub_co_i32 s2, s2, s3
	v_mul_lo_u32 v20, s14, v1
	s_ashr_i32 s10, s26, 2
	s_add_co_i32 s3, s11, 1
	s_sub_co_i32 s35, s2, s31
	s_cmp_ge_u32 s2, s31
	v_mul_lo_u32 v28, s10, v1
	s_cselect_b32 s3, s3, s11
	s_cselect_b32 s2, s35, s2
	s_add_co_i32 s11, s3, 1
	s_cmp_ge_u32 s2, s31
	v_mul_u32_u24_e32 v80, 0x210, v63
	s_cselect_b32 s11, s11, s3
	s_and_b32 s31, s20, -4
	s_delay_alu instid0(SALU_CYCLE_1)
	v_dual_ashrrev_i32 v21, 31, v20 :: v_dual_add_nc_u32 v24, s31, v20
	s_mul_u64 s[2:3], s[24:25], s[28:29]
	s_mul_u64 s[24:25], s[40:41], s[28:29]
	s_add_nc_u64 s[2:3], s[6:7], s[2:3]
	s_xor_b32 s6, s11, s15
	v_add_nc_u32_e32 v26, s31, v24
	v_lshlrev_b32_e32 v22, 2, v64
	s_sub_co_i32 s7, s6, s15
	v_dual_add_nc_u32 v91, v83, v64 :: v_dual_bitop2_b32 v75, 16, v67 bitop3:0x14
	s_delay_alu instid0(VALU_DEP_3)
	v_add_nc_u32_e32 v30, s31, v26
	s_mul_i32 s6, s7, s21
	s_mul_i32 s20, s7, s27
	s_ashr_i32 s7, s6, 31
	v_mad_u32_u24 v68, 0x210, v1, v22
	v_add_nc_u32_e32 v32, s31, v30
	s_add_nc_u64 s[6:7], s[2:3], s[6:7]
	s_and_b32 s2, s26, -4
	v_ashrrev_i32_e32 v31, 31, v30
	v_dual_mov_b32 v23, 0 :: v_dual_add_nc_u32 v74, 0x18c0, v68
	v_add_nc_u32_e32 v34, s31, v32
	v_add_nc_u32_e32 v36, s2, v28
	v_lshl_add_u32 v81, v1, 9, v22
	v_dual_ashrrev_i32 v25, 31, v24 :: v_dual_ashrrev_i32 v27, 31, v26
	s_delay_alu instid0(VALU_DEP_3) | instskip(SKIP_2) | instid1(VALU_DEP_3)
	v_dual_add_nc_u32 v38, s31, v34 :: v_dual_add_nc_u32 v42, s2, v36
	v_ashrrev_i32_e32 v29, 31, v28
	v_dual_ashrrev_i32 v33, 31, v32 :: v_dual_ashrrev_i32 v35, 31, v34
	v_add_nc_u32_e32 v44, s31, v38
	s_delay_alu instid0(VALU_DEP_4) | instskip(SKIP_2) | instid1(VALU_DEP_3)
	v_dual_add_nc_u32 v46, s2, v42 :: v_dual_ashrrev_i32 v37, 31, v36
	v_dual_mov_b32 v40, v23 :: v_dual_add_nc_u32 v77, 0x2940, v68
	v_dual_mov_b32 v41, v23 :: v_dual_add_nc_u32 v78, 0x3180, v68
	v_add_nc_u32_e32 v48, s2, v46
	v_ashrrev_i32_e32 v43, 31, v42
	v_dual_ashrrev_i32 v39, 31, v38 :: v_dual_ashrrev_i32 v45, 31, v44
	v_dual_mov_b32 v100, v23 :: v_dual_add_nc_u32 v79, 0x39c0, v68
	s_delay_alu instid0(VALU_DEP_4) | instskip(SKIP_2) | instid1(VALU_DEP_3)
	v_add_nc_u32_e32 v50, s2, v48
	v_dual_mov_b32 v69, 32 :: v_dual_add_nc_u32 v84, 0x800, v81
	v_dual_mov_b32 v102, v23 :: v_dual_add_nc_u32 v85, 0x1000, v81
	v_dual_add_nc_u32 v52, s2, v50 :: v_dual_ashrrev_i32 v51, 31, v50
	v_dual_mov_b32 v101, v23 :: v_dual_add_nc_u32 v86, 0x1800, v81
	v_dual_ashrrev_i32 v47, 31, v46 :: v_dual_ashrrev_i32 v49, 31, v48
	s_delay_alu instid0(VALU_DEP_3)
	v_dual_add_nc_u32 v54, s2, v52 :: v_dual_ashrrev_i32 v53, 31, v52
	v_mov_b32_e32 v56, 0xfeffffff
	v_dual_mov_b32 v104, v23 :: v_dual_add_nc_u32 v87, 0x2000, v81
	v_dual_mov_b32 v99, v23 :: v_dual_add_nc_u32 v88, 0x2800, v81
	v_dual_mov_b32 v106, v23 :: v_dual_add_nc_u32 v89, 0x3000, v81
	v_ashrrev_i32_e32 v55, 31, v54
	v_dual_mov_b32 v57, v56 :: v_dual_add_nc_u32 v76, 0x2100, v68
	v_dual_mov_b32 v105, v23 :: v_dual_add_nc_u32 v90, 0x3800, v81
	v_dual_mov_b32 v103, v23 :: v_dual_bitop2_b32 v73, 8, v67 bitop3:0x14
	v_xor_b32_e32 v72, 4, v67
	v_xor_b32_e32 v71, 2, v67
	;; [unrolled: 1-line block ×3, first 2 shown]
	v_add_nc_u32_e32 v92, 0x800, v66
	v_add_nc_u32_e32 v93, 0x1000, v66
	;; [unrolled: 1-line block ×7, first 2 shown]
	s_add_nc_u64 s[8:9], s[8:9], s[24:25]
	s_ashr_i32 s21, s20, 31
	s_ashr_i32 s15, s14, 31
	s_add_nc_u64 s[8:9], s[8:9], s[20:21]
	s_ashr_i32 s11, s10, 31
	s_add_nc_u64 s[20:21], s[0:1], 0xd0
.LBB33_9:                               ; =>This Inner Loop Header: Depth=1
	v_cmp_gt_i32_e32 vcc_lo, 32, v75
	v_mov_b32_e32 v15, v56
	s_ashr_i32 s5, s4, 31
	v_add_nc_u32_e32 v58, 0x840, v68
	s_mul_u64 s[2:3], s[4:5], s[14:15]
	v_cndmask_b32_e32 v0, v67, v75, vcc_lo
	v_cmp_gt_i32_e32 vcc_lo, 32, v73
	s_lshl_b64 s[2:3], s[2:3], 2
	v_dual_mov_b32 v14, v57 :: v_dual_add_nc_u32 v18, s4, v82
	s_add_nc_u64 s[26:27], s[6:7], s[2:3]
	v_cndmask_b32_e32 v1, v67, v73, vcc_lo
	v_cmp_gt_i32_e32 vcc_lo, 32, v72
	v_lshl_add_u64 v[6:7], v[24:25], 2, s[26:27]
	v_lshl_add_u64 v[12:13], v[26:27], 2, s[26:27]
	;; [unrolled: 1-line block ×3, first 2 shown]
	v_dual_mov_b32 v109, 0 :: v_dual_mov_b32 v110, 0
	v_cndmask_b32_e32 v2, v67, v72, vcc_lo
	v_cmp_gt_i32_e32 vcc_lo, 32, v71
	v_add_nc_u64_e32 v[8:9], v[6:7], v[22:23]
	v_add_nc_u64_e32 v[12:13], v[12:13], v[22:23]
	;; [unrolled: 1-line block ×3, first 2 shown]
	v_dual_lshlrev_b32 v61, 2, v0 :: v_dual_lshlrev_b32 v60, 2, v1
	v_cndmask_b32_e32 v3, v67, v71, vcc_lo
	v_cmp_gt_i32_e32 vcc_lo, 32, v70
	v_lshl_add_u64 v[0:1], v[32:33], 2, s[26:27]
	s_mul_u64 s[24:25], s[4:5], s[10:11]
	v_dual_max_num_f32 v108, v14, v14 :: v_dual_max_num_f32 v107, v15, v15
	v_cndmask_b32_e32 v4, v67, v70, vcc_lo
	v_dual_lshlrev_b32 v57, 2, v2 :: v_dual_lshlrev_b32 v56, 2, v3
	v_lshl_add_u64 v[2:3], v[34:35], 2, s[26:27]
	v_add_nc_u64_e32 v[0:1], v[0:1], v[22:23]
	s_delay_alu instid0(VALU_DEP_4) | instskip(SKIP_2) | instid1(SALU_CYCLE_1)
	v_lshlrev_b32_e32 v19, 2, v4
	v_lshl_add_u64 v[4:5], v[20:21], 2, s[26:27]
	s_lshl_b64 s[24:25], s[24:25], 2
	s_add_nc_u64 s[2:3], s[8:9], s[24:25]
	s_delay_alu instid0(VALU_DEP_1)
	v_add_nc_u64_e32 v[4:5], v[4:5], v[22:23]
	s_clause 0x1
	global_load_b128 v[4:7], v[4:5], off
	global_load_b128 v[8:11], v[8:9], off
	s_wait_loadcnt 0x1
	ds_store_b128 v68, v[4:7]
	s_wait_loadcnt 0x0
	ds_store_b128 v58, v[8:11]
	s_clause 0x1
	global_load_b128 v[8:11], v[12:13], off
	global_load_b128 v[112:115], v[16:17], off
	s_wait_xcnt 0x1
	v_add_nc_u32_e32 v12, 0x1080, v68
	v_lshl_add_u64 v[4:5], v[38:39], 2, s[26:27]
	v_lshl_add_u64 v[6:7], v[44:45], 2, s[26:27]
	s_wait_xcnt 0x0
	s_delay_alu instid0(VALU_DEP_2) | instskip(NEXT) | instid1(VALU_DEP_2)
	v_add_nc_u64_e32 v[16:17], v[4:5], v[22:23]
	v_add_nc_u64_e32 v[58:59], v[6:7], v[22:23]
	s_wait_loadcnt 0x1
	ds_store_b128 v12, v[8:11]
	v_add_nc_u64_e32 v[12:13], v[2:3], v[22:23]
	s_wait_loadcnt 0x0
	ds_store_b128 v74, v[112:115]
	s_clause 0x1
	global_load_b128 v[0:3], v[0:1], off
	global_load_b128 v[4:7], v[12:13], off
	v_lshl_add_u64 v[8:9], v[28:29], 2, s[2:3]
	s_wait_xcnt 0x0
	v_lshl_add_u64 v[12:13], v[42:43], 2, s[2:3]
	v_lshl_add_u64 v[10:11], v[36:37], 2, s[2:3]
	s_wait_loadcnt 0x1
	ds_store_b128 v76, v[0:3]
	s_clause 0x1
	global_load_b128 v[0:3], v[16:17], off
	global_load_b128 v[112:115], v[58:59], off
	s_wait_xcnt 0x1
	v_lshl_add_u64 v[16:17], v[46:47], 2, s[2:3]
	s_wait_xcnt 0x0
	v_lshl_add_u64 v[58:59], v[54:55], 2, s[2:3]
	s_wait_loadcnt 0x2
	ds_store_b128 v77, v[4:7]
	s_wait_loadcnt 0x1
	ds_store_b128 v78, v[0:3]
	;; [unrolled: 2-line block ×3, first 2 shown]
	s_wait_dscnt 0x0
	s_barrier_signal -1
	s_barrier_wait -1
	ds_load_b128 v[0:3], v80
	ds_load_b128 v[4:7], v65
	ds_load_b128 v[112:115], v65 offset:512
	v_add_nc_u64_e32 v[58:59], v[58:59], v[22:23]
	s_wait_dscnt 0x1
	;;#ASMSTART
	v_dot2_f32_f16 v109, v0, v4, v109
	;;#ASMEND
	;;#ASMSTART
	v_dot2_f32_f16 v109, v1, v5, v109
	;;#ASMEND
	;;#ASMSTART
	v_dot2_f32_f16 v109, v2, v6, v109
	;;#ASMEND
	;;#ASMSTART
	v_dot2_f32_f16 v109, v3, v7, v109
	;;#ASMEND
	s_wait_dscnt 0x0
	;;#ASMSTART
	v_dot2_f32_f16 v110, v0, v112, v110
	;;#ASMEND
	;;#ASMSTART
	v_dot2_f32_f16 v110, v1, v113, v110
	;;#ASMEND
	;;#ASMSTART
	v_dot2_f32_f16 v110, v2, v114, v110
	;;#ASMEND
	;;#ASMSTART
	v_dot2_f32_f16 v110, v3, v115, v110
	;;#ASMEND
	ds_load_b128 v[0:3], v80 offset:16
	ds_load_b128 v[4:7], v65 offset:16
	ds_load_b128 v[112:115], v65 offset:528
	s_wait_dscnt 0x1
	;;#ASMSTART
	v_dot2_f32_f16 v109, v0, v4, v109
	;;#ASMEND
	;;#ASMSTART
	v_dot2_f32_f16 v109, v1, v5, v109
	;;#ASMEND
	;;#ASMSTART
	v_dot2_f32_f16 v109, v2, v6, v109
	;;#ASMEND
	;;#ASMSTART
	v_dot2_f32_f16 v109, v3, v7, v109
	;;#ASMEND
	s_wait_dscnt 0x0
	;;#ASMSTART
	v_dot2_f32_f16 v110, v0, v112, v110
	;;#ASMEND
	;;#ASMSTART
	v_dot2_f32_f16 v110, v1, v113, v110
	;;#ASMEND
	;;#ASMSTART
	v_dot2_f32_f16 v110, v2, v114, v110
	;;#ASMEND
	;;#ASMSTART
	v_dot2_f32_f16 v110, v3, v115, v110
	;;#ASMEND
	ds_load_b128 v[0:3], v80 offset:32
	ds_load_b128 v[4:7], v65 offset:32
	ds_load_b128 v[112:115], v65 offset:544
	;; [unrolled: 29-line block ×31, first 2 shown]
	s_wait_dscnt 0x1
	;;#ASMSTART
	v_dot2_f32_f16 v109, v0, v112, v109
	;;#ASMEND
	;;#ASMSTART
	v_dot2_f32_f16 v109, v1, v113, v109
	;;#ASMEND
	;; [unrolled: 3-line block ×4, first 2 shown]
	s_wait_dscnt 0x0
	;;#ASMSTART
	v_dot2_f32_f16 v110, v0, v4, v110
	;;#ASMEND
	;;#ASMSTART
	v_dot2_f32_f16 v110, v1, v5, v110
	;;#ASMEND
	;; [unrolled: 3-line block ×4, first 2 shown]
	v_lshl_add_u64 v[2:3], v[48:49], 2, s[2:3]
	v_add_nc_u64_e32 v[112:113], v[8:9], v[22:23]
	v_lshl_add_u64 v[4:5], v[50:51], 2, s[2:3]
	v_add_nc_u64_e32 v[0:1], v[12:13], v[22:23]
	;; [unrolled: 2-line block ×3, first 2 shown]
	global_load_u16 v2, v18, s[36:37] scale_offset
	v_add_nc_u64_e32 v[12:13], v[4:5], v[22:23]
	v_add_nc_u64_e32 v[114:115], v[10:11], v[22:23]
	;; [unrolled: 1-line block ×4, first 2 shown]
	s_wait_loadcnt 0x0
	s_barrier_signal -1
	s_barrier_wait -1
	v_cvt_f32_f16_e32 v2, v2
	s_delay_alu instid0(VALU_DEP_1) | instskip(NEXT) | instid1(VALU_DEP_1)
	v_add_f32_e32 v3, v110, v2
	v_add_f32_e32 v4, 0x40051340, v3
	s_delay_alu instid0(VALU_DEP_1) | instskip(NEXT) | instid1(VALU_DEP_1)
	v_dual_add_f32 v2, v109, v2 :: v_dual_max_num_f32 v4, v108, v4
	v_add_f32_e32 v5, 0x40051340, v2
	global_load_b128 v[108:111], v[114:115], off
	s_wait_xcnt 0x1
	v_max_num_f32_e32 v18, v107, v5
	ds_bpermute_b32 v5, v61, v4
	ds_bpermute_b32 v61, v61, v18
	s_wait_dscnt 0x1
	v_max_num_f32_e32 v5, v5, v5
	s_wait_dscnt 0x0
	v_max_num_f32_e32 v61, v61, v61
	s_delay_alu instid0(VALU_DEP_2)
	v_max_num_f32_e32 v107, v4, v5
	global_load_b128 v[4:7], v[112:113], off
	v_max_num_f32_e32 v18, v18, v61
	ds_bpermute_b32 v61, v60, v107
	s_wait_dscnt 0x0
	v_max_num_f32_e32 v61, v61, v61
	ds_bpermute_b32 v60, v60, v18
	s_wait_dscnt 0x0
	v_dual_max_num_f32 v61, v107, v61 :: v_dual_max_num_f32 v60, v60, v60
	s_delay_alu instid0(VALU_DEP_1) | instskip(SKIP_4) | instid1(VALU_DEP_1)
	v_max_num_f32_e32 v18, v18, v60
	ds_bpermute_b32 v60, v57, v61
	ds_bpermute_b32 v57, v57, v18
	s_wait_dscnt 0x0
	v_dual_max_num_f32 v60, v60, v60 :: v_dual_max_num_f32 v57, v57, v57
	v_dual_max_num_f32 v60, v61, v60 :: v_dual_max_num_f32 v18, v18, v57
	ds_bpermute_b32 v57, v56, v60
	ds_bpermute_b32 v56, v56, v18
	s_wait_dscnt 0x0
	v_dual_max_num_f32 v56, v56, v56 :: v_dual_max_num_f32 v57, v57, v57
	s_delay_alu instid0(VALU_DEP_1) | instskip(SKIP_4) | instid1(VALU_DEP_1)
	v_dual_max_num_f32 v18, v18, v56 :: v_dual_max_num_f32 v57, v60, v57
	ds_bpermute_b32 v56, v19, v57
	ds_bpermute_b32 v19, v19, v18
	s_wait_dscnt 0x0
	v_dual_max_num_f32 v56, v56, v56 :: v_dual_max_num_f32 v19, v19, v19
	v_dual_max_num_f32 v57, v57, v56 :: v_dual_max_num_f32 v56, v18, v19
	s_delay_alu instid0(VALU_DEP_1) | instskip(NEXT) | instid1(VALU_DEP_1)
	v_dual_sub_f32 v3, v3, v57 :: v_dual_sub_f32 v18, v2, v56
	v_mul_f32_e32 v2, 0x3fb8aa3b, v3
	v_cmp_ngt_f32_e32 vcc_lo, 0xc2ce8ed0, v3
	s_delay_alu instid0(VALU_DEP_2) | instskip(SKIP_1) | instid1(VALU_DEP_2)
	v_rndne_f32_e32 v61, v2
	v_fma_f32 v60, 0x3fb8aa3b, v3, -v2
	v_dual_sub_f32 v2, v2, v61 :: v_dual_mul_f32 v19, 0x3fb8aa3b, v18
	v_cvt_i32_f32_e32 v61, v61
	v_cmp_ngt_f32_e64 s2, 0xc2ce8ed0, v18
	s_delay_alu instid0(VALU_DEP_3) | instskip(NEXT) | instid1(VALU_DEP_1)
	v_fma_f32 v107, 0x3fb8aa3b, v18, -v19
	v_dual_fmac_f32 v60, 0x32a5705f, v3 :: v_dual_fmac_f32 v107, 0x32a5705f, v18
	s_delay_alu instid0(VALU_DEP_1) | instskip(SKIP_1) | instid1(VALU_DEP_1)
	v_add_f32_e32 v2, v2, v60
	v_rndne_f32_e32 v60, v19
	v_sub_f32_e32 v19, v19, v60
	s_delay_alu instid0(VALU_DEP_3) | instskip(SKIP_1) | instid1(TRANS32_DEP_1)
	v_exp_f32_e32 v2, v2
	v_cvt_i32_f32_e32 v60, v60
	v_ldexp_f32 v2, v2, v61
	s_delay_alu instid0(VALU_DEP_3) | instskip(NEXT) | instid1(VALU_DEP_1)
	v_add_f32_e32 v19, v19, v107
	v_exp_f32_e32 v19, v19
	v_nop
	s_delay_alu instid0(TRANS32_DEP_1)
	v_ldexp_f32 v19, v19, v60
	v_cndmask_b32_e32 v60, 0, v2, vcc_lo
	v_cmp_nlt_f32_e32 vcc_lo, 0x42b17218, v3
	global_load_b128 v[0:3], v[0:1], off
	v_cndmask_b32_e64 v19, 0, v19, s2
	v_cmp_nlt_f32_e64 s2, 0x42b17218, v18
	s_wait_xcnt 0x1
	v_cndmask_b32_e32 v113, 0x7f800000, v60, vcc_lo
	s_delay_alu instid0(VALU_DEP_2) | instskip(NEXT) | instid1(VALU_DEP_1)
	v_cndmask_b32_e64 v112, 0x7f800000, v19, s2
	v_cvt_pk_f16_f32 v18, v112, v113
	ds_store_b32 v91, v18
	s_wait_loadcnt 0x1
	ds_store_b128 v81, v[4:7]
	v_sub_f32_e32 v18, v14, v57
	s_clause 0x1
	global_load_b128 v[4:7], v[10:11], off
	global_load_b128 v[8:11], v[8:9], off
	ds_store_b128 v84, v[108:111]
	global_load_b128 v[108:111], v[58:59], off
	v_mul_f32_e32 v14, 0x3fb8aa3b, v18
	v_cmp_ngt_f32_e32 vcc_lo, 0xc2ce8ed0, v18
	s_delay_alu instid0(VALU_DEP_2) | instskip(NEXT) | instid1(VALU_DEP_1)
	v_fma_f32 v19, 0x3fb8aa3b, v18, -v14
	v_dual_sub_f32 v60, v15, v56 :: v_dual_fmac_f32 v19, 0x32a5705f, v18
	s_delay_alu instid0(VALU_DEP_1) | instskip(SKIP_2) | instid1(VALU_DEP_3)
	v_mul_f32_e32 v15, 0x3fb8aa3b, v60
	v_rndne_f32_e32 v61, v14
	v_cmp_ngt_f32_e64 s2, 0xc2ce8ed0, v60
	v_fma_f32 v107, 0x3fb8aa3b, v60, -v15
	s_delay_alu instid0(VALU_DEP_3) | instskip(SKIP_1) | instid1(VALU_DEP_2)
	v_sub_f32_e32 v14, v14, v61
	v_cvt_i32_f32_e32 v61, v61
	v_dual_fmac_f32 v107, 0x32a5705f, v60 :: v_dual_add_f32 v14, v14, v19
	v_rndne_f32_e32 v19, v15
	s_delay_alu instid0(VALU_DEP_2) | instskip(SKIP_1) | instid1(TRANS32_DEP_1)
	v_exp_f32_e32 v14, v14
	v_nop
	v_ldexp_f32 v61, v14, v61
	s_delay_alu instid0(VALU_DEP_3) | instskip(SKIP_1) | instid1(VALU_DEP_2)
	v_sub_f32_e32 v15, v15, v19
	v_cvt_i32_f32_e32 v19, v19
	v_dual_cndmask_b32 v61, 0, v61, vcc_lo :: v_dual_add_f32 v107, v15, v107
	global_load_b128 v[12:15], v[12:13], off
	v_cmp_nlt_f32_e32 vcc_lo, 0x42b17218, v18
	v_exp_f32_e32 v107, v107
	v_nop
	s_delay_alu instid0(TRANS32_DEP_1)
	v_ldexp_f32 v107, v107, v19
	global_load_b128 v[16:19], v[16:17], off
	s_wait_loadcnt 0x5
	ds_store_b128 v85, v[0:3]
	s_wait_loadcnt 0x4
	ds_store_b128 v86, v[4:7]
	;; [unrolled: 2-line block ×5, first 2 shown]
	ds_store_b128 v90, v[108:111]
	s_wait_dscnt 0x0
	s_barrier_signal -1
	s_barrier_wait -1
	ds_load_b128 v[4:7], v83
	v_cndmask_b32_e64 v107, 0, v107, s2
	v_cmp_nlt_f32_e64 s2, 0x42b17218, v60
	v_cndmask_b32_e32 v61, 0x7f800000, v61, vcc_lo
	ds_load_2addr_b64 v[8:11], v66 offset1:32
	ds_load_2addr_b64 v[12:15], v66 offset0:64 offset1:96
	ds_load_2addr_b64 v[16:19], v66 offset0:128 offset1:160
	ds_load_b128 v[0:3], v83 offset:16
	v_cndmask_b32_e64 v60, 0x7f800000, v107, s2
	v_cvt_f16_f32_e32 v59, v61
	s_delay_alu instid0(VALU_DEP_2) | instskip(NEXT) | instid1(VALU_DEP_2)
	v_cvt_f16_f32_e32 v58, v60
	v_and_b32_e32 v59, 0xffff, v59
	v_pk_fma_f32 v[40:41], v[40:41], v[60:61], v[112:113]
	s_delay_alu instid0(VALU_DEP_3) | instskip(NEXT) | instid1(VALU_DEP_3)
	v_and_b32_e32 v58, 0xffff, v58
	v_mul_u32_u24_e32 v107, 0x10001, v59
	s_wait_dscnt 0x4
	v_and_b32_e32 v110, 0xffff, v7
	v_lshrrev_b32_e32 v7, 16, v7
	v_mul_u32_u24_e32 v58, 0x10001, v58
	v_pk_mul_f16 v102, v102, v107
	v_pk_mul_f16 v101, v101, v107
	;; [unrolled: 1-line block ×3, first 2 shown]
	v_mul_u32_u24_e32 v7, 0x10001, v7
	v_pk_mul_f16 v61, v104, v58
	v_and_b32_e32 v104, 0xffff, v4
	v_lshrrev_b32_e32 v4, 16, v4
	v_pk_mul_f16 v59, v106, v58
	v_pk_mul_f16 v60, v105, v58
	s_delay_alu instid0(VALU_DEP_4) | instskip(NEXT) | instid1(VALU_DEP_4)
	v_mul_u32_u24_e32 v104, 0x10001, v104
	v_mul_u32_u24_e32 v4, 0x10001, v4
	s_wait_dscnt 0x3
	s_delay_alu instid0(VALU_DEP_2)
	v_pk_fma_f16 v105, v9, v104, v59
	v_pk_fma_f16 v106, v10, v104, v60
	;; [unrolled: 1-line block ×3, first 2 shown]
	v_pk_mul_f16 v59, v8, v104
	v_pk_fma_f16 v102, v9, v4, v102
	v_pk_fma_f16 v101, v10, v4, v101
	;; [unrolled: 1-line block ×3, first 2 shown]
	v_pk_mul_f16 v4, v8, v4
	v_and_b32_e32 v104, 0xffff, v5
	v_lshrrev_b32_e32 v5, 16, v5
	ds_load_2addr_b64 v[8:11], v66 offset0:192 offset1:224
	v_pk_fma_f16 v103, v103, v58, v59
	v_pk_fma_f16 v4, v99, v107, v4
	v_mul_u32_u24_e32 v99, 0x10001, v104
	v_mul_u32_u24_e32 v5, 0x10001, v5
	ds_load_2addr_b64 v[58:61], v92 offset1:32
	s_wait_dscnt 0x4
	v_pk_fma_f16 v104, v13, v99, v105
	v_pk_fma_f16 v105, v14, v99, v106
	;; [unrolled: 1-line block ×7, first 2 shown]
	v_and_b32_e32 v5, 0xffff, v6
	v_lshrrev_b32_e32 v6, 16, v6
	v_pk_fma_f16 v99, v12, v99, v103
	ds_load_2addr_b64 v[12:15], v92 offset0:64 offset1:96
	ds_load_2addr_b64 v[100:103], v92 offset0:128 offset1:160
	v_mul_u32_u24_e32 v5, 0x10001, v5
	v_mul_u32_u24_e32 v6, 0x10001, v6
	s_wait_dscnt 0x5
	s_delay_alu instid0(VALU_DEP_2)
	v_pk_fma_f16 v104, v17, v5, v104
	v_pk_fma_f16 v105, v18, v5, v105
	;; [unrolled: 1-line block ×8, first 2 shown]
	v_mul_u32_u24_e32 v6, 0x10001, v110
	ds_load_2addr_b64 v[16:19], v92 offset0:192 offset1:224
	s_wait_dscnt 0x4
	v_pk_fma_f16 v105, v10, v6, v105
	v_pk_fma_f16 v10, v10, v7, v107
	v_and_b32_e32 v107, 0xffff, v0
	v_lshrrev_b32_e32 v0, 16, v0
	v_pk_fma_f16 v104, v9, v6, v104
	v_pk_fma_f16 v106, v11, v6, v106
	;; [unrolled: 1-line block ×6, first 2 shown]
	v_mul_u32_u24_e32 v107, 0x10001, v107
	v_mul_u32_u24_e32 v0, 0x10001, v0
	ds_load_b128 v[4:7], v83 offset:32
	s_wait_dscnt 0x4
	v_pk_fma_f16 v104, v59, v107, v104
	v_pk_fma_f16 v105, v60, v107, v105
	;; [unrolled: 1-line block ×8, first 2 shown]
	v_and_b32_e32 v58, 0xffff, v1
	v_lshrrev_b32_e32 v1, 16, v1
	ds_load_2addr_b64 v[8:11], v93 offset1:32
	v_mul_u32_u24_e32 v58, 0x10001, v58
	v_mul_u32_u24_e32 v1, 0x10001, v1
	s_wait_dscnt 0x4
	s_delay_alu instid0(VALU_DEP_2) | instskip(NEXT) | instid1(VALU_DEP_2)
	v_pk_fma_f16 v104, v13, v58, v104
	v_pk_fma_f16 v107, v13, v1, v59
	;; [unrolled: 1-line block ×5, first 2 shown]
	v_and_b32_e32 v1, 0xffff, v2
	v_lshrrev_b32_e32 v2, 16, v2
	v_pk_fma_f16 v105, v14, v58, v105
	v_pk_fma_f16 v106, v15, v58, v106
	;; [unrolled: 1-line block ×3, first 2 shown]
	v_and_b32_e32 v99, 0xffff, v3
	v_lshrrev_b32_e32 v3, 16, v3
	v_mul_u32_u24_e32 v1, 0x10001, v1
	v_mul_u32_u24_e32 v2, 0x10001, v2
	ds_load_2addr_b64 v[12:15], v93 offset0:64 offset1:96
	v_mul_u32_u24_e32 v3, 0x10001, v3
	s_wait_dscnt 0x4
	v_pk_fma_f16 v104, v101, v1, v104
	v_pk_fma_f16 v105, v102, v1, v105
	;; [unrolled: 1-line block ×8, first 2 shown]
	v_mul_u32_u24_e32 v2, 0x10001, v99
	ds_load_2addr_b64 v[58:61], v93 offset0:128 offset1:160
	ds_load_2addr_b64 v[100:103], v93 offset0:192 offset1:224
	s_wait_dscnt 0x5
	v_pk_fma_f16 v99, v17, v2, v104
	v_pk_fma_f16 v104, v18, v2, v105
	;; [unrolled: 1-line block ×8, first 2 shown]
	ds_load_b128 v[0:3], v83 offset:48
	s_wait_dscnt 0x5
	v_and_b32_e32 v107, 0xffff, v4
	v_lshrrev_b32_e32 v4, 16, v4
	s_delay_alu instid0(VALU_DEP_2) | instskip(NEXT) | instid1(VALU_DEP_2)
	v_mul_u32_u24_e32 v107, 0x10001, v107
	v_mul_u32_u24_e32 v4, 0x10001, v4
	s_wait_dscnt 0x4
	s_delay_alu instid0(VALU_DEP_2) | instskip(NEXT) | instid1(VALU_DEP_2)
	v_pk_fma_f16 v99, v9, v107, v99
	v_pk_fma_f16 v17, v9, v4, v17
	;; [unrolled: 1-line block ×5, first 2 shown]
	v_and_b32_e32 v16, 0xffff, v5
	v_lshrrev_b32_e32 v5, 16, v5
	v_pk_fma_f16 v104, v10, v107, v104
	v_pk_fma_f16 v105, v11, v107, v105
	;; [unrolled: 1-line block ×3, first 2 shown]
	v_mul_u32_u24_e32 v16, 0x10001, v16
	v_mul_u32_u24_e32 v5, 0x10001, v5
	ds_load_2addr_b64 v[8:11], v94 offset1:32
	s_wait_dscnt 0x4
	v_pk_fma_f16 v99, v13, v16, v99
	v_pk_fma_f16 v107, v13, v5, v17
	v_pk_fma_f16 v108, v14, v5, v18
	v_pk_fma_f16 v109, v15, v5, v19
	v_pk_fma_f16 v4, v12, v5, v4
	v_and_b32_e32 v5, 0xffff, v6
	v_lshrrev_b32_e32 v6, 16, v6
	v_pk_fma_f16 v104, v14, v16, v104
	v_pk_fma_f16 v105, v15, v16, v105
	;; [unrolled: 1-line block ×3, first 2 shown]
	v_and_b32_e32 v106, 0xffff, v7
	v_lshrrev_b32_e32 v7, 16, v7
	v_mul_u32_u24_e32 v5, 0x10001, v5
	v_mul_u32_u24_e32 v6, 0x10001, v6
	ds_load_2addr_b64 v[12:15], v94 offset0:64 offset1:96
	v_mul_u32_u24_e32 v7, 0x10001, v7
	s_wait_dscnt 0x4
	v_pk_fma_f16 v99, v59, v5, v99
	v_pk_fma_f16 v107, v59, v6, v107
	;; [unrolled: 1-line block ×5, first 2 shown]
	v_mul_u32_u24_e32 v6, 0x10001, v106
	v_pk_fma_f16 v104, v60, v5, v104
	v_pk_fma_f16 v105, v61, v5, v105
	;; [unrolled: 1-line block ×3, first 2 shown]
	ds_load_2addr_b64 v[16:19], v94 offset0:128 offset1:160
	s_wait_dscnt 0x4
	v_pk_fma_f16 v99, v101, v6, v99
	v_pk_fma_f16 v101, v101, v7, v107
	s_wait_dscnt 0x3
	v_and_b32_e32 v107, 0xffff, v0
	v_lshrrev_b32_e32 v0, 16, v0
	v_pk_fma_f16 v104, v102, v6, v104
	v_pk_fma_f16 v105, v103, v6, v105
	;; [unrolled: 1-line block ×6, first 2 shown]
	v_mul_u32_u24_e32 v0, 0x10001, v0
	ds_load_2addr_b64 v[58:61], v94 offset0:192 offset1:224
	ds_load_b128 v[4:7], v83 offset:64
	v_mul_u32_u24_e32 v107, 0x10001, v107
	s_wait_dscnt 0x4
	v_pk_fma_f16 v101, v9, v0, v101
	v_pk_fma_f16 v102, v10, v0, v102
	;; [unrolled: 1-line block ×4, first 2 shown]
	v_and_b32_e32 v100, 0xffff, v1
	v_lshrrev_b32_e32 v1, 16, v1
	v_pk_fma_f16 v99, v9, v107, v99
	v_pk_fma_f16 v104, v10, v107, v104
	;; [unrolled: 1-line block ×4, first 2 shown]
	v_mul_u32_u24_e32 v1, 0x10001, v1
	v_mul_u32_u24_e32 v100, 0x10001, v100
	ds_load_2addr_b64 v[8:11], v95 offset1:32
	s_wait_dscnt 0x4
	v_pk_fma_f16 v107, v13, v1, v101
	v_pk_fma_f16 v108, v14, v1, v102
	;; [unrolled: 1-line block ×4, first 2 shown]
	v_and_b32_e32 v1, 0xffff, v2
	v_lshrrev_b32_e32 v2, 16, v2
	v_pk_fma_f16 v99, v13, v100, v99
	v_pk_fma_f16 v104, v14, v100, v104
	;; [unrolled: 1-line block ×4, first 2 shown]
	v_and_b32_e32 v106, 0xffff, v3
	v_lshrrev_b32_e32 v3, 16, v3
	v_mul_u32_u24_e32 v1, 0x10001, v1
	v_mul_u32_u24_e32 v2, 0x10001, v2
	ds_load_2addr_b64 v[12:15], v95 offset0:64 offset1:96
	v_mul_u32_u24_e32 v3, 0x10001, v3
	s_wait_dscnt 0x4
	v_pk_fma_f16 v99, v17, v1, v99
	v_pk_fma_f16 v104, v18, v1, v104
	;; [unrolled: 1-line block ×8, first 2 shown]
	v_mul_u32_u24_e32 v2, 0x10001, v106
	ds_load_2addr_b64 v[100:103], v95 offset0:128 offset1:160
	ds_load_2addr_b64 v[16:19], v95 offset0:192 offset1:224
	s_wait_dscnt 0x5
	v_pk_fma_f16 v99, v59, v2, v99
	v_pk_fma_f16 v104, v60, v2, v104
	;; [unrolled: 1-line block ×8, first 2 shown]
	ds_load_b128 v[0:3], v83 offset:80
	s_wait_dscnt 0x5
	v_and_b32_e32 v107, 0xffff, v4
	v_lshrrev_b32_e32 v4, 16, v4
	s_delay_alu instid0(VALU_DEP_2) | instskip(NEXT) | instid1(VALU_DEP_2)
	v_mul_u32_u24_e32 v107, 0x10001, v107
	v_mul_u32_u24_e32 v4, 0x10001, v4
	s_wait_dscnt 0x4
	s_delay_alu instid0(VALU_DEP_2) | instskip(NEXT) | instid1(VALU_DEP_2)
	v_pk_fma_f16 v99, v9, v107, v99
	v_pk_fma_f16 v59, v9, v4, v59
	;; [unrolled: 1-line block ×5, first 2 shown]
	v_and_b32_e32 v58, 0xffff, v5
	v_lshrrev_b32_e32 v5, 16, v5
	v_pk_fma_f16 v104, v10, v107, v104
	v_pk_fma_f16 v105, v11, v107, v105
	;; [unrolled: 1-line block ×3, first 2 shown]
	v_mul_u32_u24_e32 v58, 0x10001, v58
	v_mul_u32_u24_e32 v5, 0x10001, v5
	ds_load_2addr_b64 v[8:11], v96 offset1:32
	s_wait_dscnt 0x4
	v_pk_fma_f16 v99, v13, v58, v99
	v_pk_fma_f16 v107, v13, v5, v59
	v_pk_fma_f16 v108, v14, v5, v60
	v_pk_fma_f16 v109, v15, v5, v61
	v_pk_fma_f16 v4, v12, v5, v4
	v_and_b32_e32 v5, 0xffff, v6
	v_lshrrev_b32_e32 v6, 16, v6
	v_pk_fma_f16 v104, v14, v58, v104
	v_pk_fma_f16 v105, v15, v58, v105
	;; [unrolled: 1-line block ×3, first 2 shown]
	v_and_b32_e32 v106, 0xffff, v7
	v_lshrrev_b32_e32 v7, 16, v7
	v_mul_u32_u24_e32 v5, 0x10001, v5
	v_mul_u32_u24_e32 v6, 0x10001, v6
	ds_load_2addr_b64 v[12:15], v96 offset0:64 offset1:96
	v_mul_u32_u24_e32 v7, 0x10001, v7
	s_wait_dscnt 0x4
	v_pk_fma_f16 v99, v101, v5, v99
	v_pk_fma_f16 v107, v101, v6, v107
	;; [unrolled: 1-line block ×5, first 2 shown]
	v_mul_u32_u24_e32 v6, 0x10001, v106
	v_pk_fma_f16 v104, v102, v5, v104
	v_pk_fma_f16 v105, v103, v5, v105
	v_pk_fma_f16 v5, v100, v5, v58
	ds_load_2addr_b64 v[58:61], v96 offset0:128 offset1:160
	s_wait_dscnt 0x4
	v_pk_fma_f16 v99, v17, v6, v99
	v_pk_fma_f16 v17, v17, v7, v107
	s_wait_dscnt 0x3
	v_and_b32_e32 v107, 0xffff, v0
	v_lshrrev_b32_e32 v0, 16, v0
	v_pk_fma_f16 v104, v18, v6, v104
	v_pk_fma_f16 v105, v19, v6, v105
	;; [unrolled: 1-line block ×6, first 2 shown]
	v_mul_u32_u24_e32 v0, 0x10001, v0
	v_mul_u32_u24_e32 v107, 0x10001, v107
	ds_load_2addr_b64 v[100:103], v96 offset0:192 offset1:224
	ds_load_b128 v[4:7], v83 offset:96
	v_and_b32_e32 v108, 0xffff, v3
	s_wait_dscnt 0x4
	v_pk_fma_f16 v17, v9, v0, v17
	v_pk_fma_f16 v18, v10, v0, v18
	v_pk_fma_f16 v19, v11, v0, v19
	v_pk_fma_f16 v0, v8, v0, v16
	v_and_b32_e32 v16, 0xffff, v1
	v_lshrrev_b32_e32 v1, 16, v1
	v_pk_fma_f16 v99, v9, v107, v99
	v_pk_fma_f16 v104, v10, v107, v104
	;; [unrolled: 1-line block ×4, first 2 shown]
	v_mul_u32_u24_e32 v16, 0x10001, v16
	v_lshrrev_b32_e32 v107, 16, v2
	v_mul_u32_u24_e32 v1, 0x10001, v1
	ds_load_2addr_b64 v[8:11], v97 offset1:32
	v_lshrrev_b32_e32 v109, 16, v3
	s_wait_dscnt 0x4
	v_pk_fma_f16 v99, v13, v16, v99
	v_pk_fma_f16 v104, v14, v16, v104
	;; [unrolled: 1-line block ×5, first 2 shown]
	v_and_b32_e32 v0, 0xffff, v2
	v_pk_fma_f16 v17, v13, v1, v17
	v_pk_fma_f16 v18, v14, v1, v18
	;; [unrolled: 1-line block ×3, first 2 shown]
	ds_load_2addr_b64 v[12:15], v97 offset0:64 offset1:96
	v_mul_u32_u24_e32 v0, 0x10001, v0
	s_wait_dscnt 0x4
	s_delay_alu instid0(VALU_DEP_1)
	v_pk_fma_f16 v110, v58, v0, v16
	v_mul_u32_u24_e32 v16, 0x10001, v107
	v_pk_fma_f16 v99, v59, v0, v99
	v_pk_fma_f16 v104, v60, v0, v104
	;; [unrolled: 1-line block ×3, first 2 shown]
	v_mul_u32_u24_e32 v107, 0x10001, v109
	v_pk_fma_f16 v59, v59, v16, v17
	v_pk_fma_f16 v60, v60, v16, v18
	;; [unrolled: 1-line block ×4, first 2 shown]
	v_mul_u32_u24_e32 v106, 0x10001, v108
	ds_load_2addr_b64 v[0:3], v97 offset0:128 offset1:160
	ds_load_2addr_b64 v[16:19], v97 offset0:192 offset1:224
	s_wait_dscnt 0x5
	v_pk_fma_f16 v99, v101, v106, v99
	v_pk_fma_f16 v104, v102, v106, v104
	;; [unrolled: 1-line block ×8, first 2 shown]
	ds_load_b128 v[58:61], v83 offset:112
	s_wait_dscnt 0x5
	v_and_b32_e32 v107, 0xffff, v4
	v_lshrrev_b32_e32 v4, 16, v4
	v_and_b32_e32 v108, 0xffff, v7
	v_lshrrev_b32_e32 v109, 16, v7
	s_delay_alu instid0(VALU_DEP_4) | instskip(NEXT) | instid1(VALU_DEP_4)
	v_mul_u32_u24_e32 v107, 0x10001, v107
	v_mul_u32_u24_e32 v4, 0x10001, v4
	s_delay_alu instid0(VALU_DEP_4) | instskip(SKIP_1) | instid1(VALU_DEP_3)
	v_mul_u32_u24_e32 v108, 0x10001, v108
	s_wait_dscnt 0x4
	v_pk_fma_f16 v99, v9, v107, v99
	s_delay_alu instid0(VALU_DEP_3)
	v_pk_fma_f16 v101, v9, v4, v101
	v_pk_fma_f16 v102, v10, v4, v102
	;; [unrolled: 1-line block ×4, first 2 shown]
	v_and_b32_e32 v100, 0xffff, v5
	v_lshrrev_b32_e32 v5, 16, v5
	v_pk_fma_f16 v104, v10, v107, v104
	v_pk_fma_f16 v105, v11, v107, v105
	;; [unrolled: 1-line block ×3, first 2 shown]
	v_mul_u32_u24_e32 v100, 0x10001, v100
	v_lshrrev_b32_e32 v107, 16, v6
	v_mul_u32_u24_e32 v5, 0x10001, v5
	ds_load_2addr_b64 v[8:11], v98 offset1:32
	s_wait_dscnt 0x4
	v_pk_fma_f16 v99, v13, v100, v99
	v_pk_fma_f16 v104, v14, v100, v104
	;; [unrolled: 1-line block ×5, first 2 shown]
	v_and_b32_e32 v4, 0xffff, v6
	v_pk_fma_f16 v101, v13, v5, v101
	v_pk_fma_f16 v102, v14, v5, v102
	;; [unrolled: 1-line block ×3, first 2 shown]
	ds_load_2addr_b64 v[12:15], v98 offset0:64 offset1:96
	v_mul_u32_u24_e32 v4, 0x10001, v4
	v_mul_u32_u24_e32 v107, 0x10001, v107
	s_wait_dscnt 0x4
	s_delay_alu instid0(VALU_DEP_2)
	v_pk_fma_f16 v99, v1, v4, v99
	v_pk_fma_f16 v104, v2, v4, v104
	;; [unrolled: 1-line block ×4, first 2 shown]
	ds_load_2addr_b64 v[4:7], v98 offset0:128 offset1:160
	v_pk_fma_f16 v101, v1, v107, v101
	v_pk_fma_f16 v102, v2, v107, v102
	;; [unrolled: 1-line block ×4, first 2 shown]
	s_wait_dscnt 0x3
	v_and_b32_e32 v107, 0xffff, v58
	v_pk_fma_f16 v99, v17, v108, v99
	v_pk_fma_f16 v104, v18, v108, v104
	;; [unrolled: 1-line block ×4, first 2 shown]
	v_lshrrev_b32_e32 v58, 16, v58
	v_mul_u32_u24_e32 v108, 0x10001, v109
	ds_load_2addr_b64 v[0:3], v98 offset0:192 offset1:224
	s_wait_dscnt 0x0
	s_barrier_signal -1
	s_barrier_wait -1
	s_load_b32 s2, s[20:21], 0x4
	v_pk_fma_f16 v17, v17, v108, v101
	v_pk_fma_f16 v18, v18, v108, v102
	;; [unrolled: 1-line block ×4, first 2 shown]
	v_and_b32_e32 v101, 0xffff, v59
	v_lshrrev_b32_e32 v59, 16, v59
	v_mul_u32_u24_e32 v106, 0x10001, v107
	v_mul_u32_u24_e32 v58, 0x10001, v58
	v_and_b32_e32 v102, 0xffff, v60
	v_lshrrev_b32_e32 v60, 16, v60
	v_mul_u32_u24_e32 v101, 0x10001, v101
	v_mul_u32_u24_e32 v59, 0x10001, v59
	v_pk_fma_f16 v99, v9, v106, v99
	v_pk_fma_f16 v104, v10, v106, v104
	;; [unrolled: 1-line block ×8, first 2 shown]
	v_and_b32_e32 v103, 0xffff, v61
	v_lshrrev_b32_e32 v61, 16, v61
	v_mul_u32_u24_e32 v102, 0x10001, v102
	v_mul_u32_u24_e32 v60, 0x10001, v60
	v_pk_fma_f16 v16, v13, v101, v99
	v_pk_fma_f16 v18, v14, v101, v104
	;; [unrolled: 1-line block ×8, first 2 shown]
	v_mul_u32_u24_e32 v103, 0x10001, v103
	v_mul_u32_u24_e32 v61, 0x10001, v61
	v_pk_fma_f16 v12, v5, v102, v16
	v_pk_fma_f16 v14, v6, v102, v18
	;; [unrolled: 1-line block ×8, first 2 shown]
	s_wait_kmcnt 0x0
	s_lshl_b32 s2, s2, 5
	v_pk_fma_f16 v106, v1, v103, v12
	v_pk_fma_f16 v105, v2, v103, v14
	;; [unrolled: 1-line block ×8, first 2 shown]
	s_add_co_i32 s4, s2, s4
	s_delay_alu instid0(SALU_CYCLE_1)
	s_cmp_ge_i32 s4, s34
	s_cbranch_scc0 .LBB33_9
; %bb.10:
	v_mov_b32_e32 v0, v67
.LBB33_11:
	v_cmp_lt_i32_e32 vcc_lo, v75, v69
	s_cmp_lg_u64 s[12:13], 0
	s_cselect_b32 s2, -1, 0
	s_cmp_eq_u32 s33, 0
	v_cndmask_b32_e32 v1, v0, v75, vcc_lo
	v_cmp_lt_i32_e32 vcc_lo, v73, v69
	s_cselect_b32 s3, -1, 0
	s_delay_alu instid0(SALU_CYCLE_1) | instskip(NEXT) | instid1(VALU_DEP_2)
	s_and_b32 s2, s3, s2
	v_lshlrev_b32_e32 v1, 2, v1
	ds_bpermute_b32 v2, v1, v40
	ds_bpermute_b32 v3, v1, v41
	v_cndmask_b32_e32 v1, v0, v73, vcc_lo
	v_cmp_lt_i32_e32 vcc_lo, v72, v69
	s_delay_alu instid0(VALU_DEP_2)
	v_lshlrev_b32_e32 v1, 2, v1
	s_wait_dscnt 0x0
	v_pk_add_f32 v[2:3], v[40:41], v[2:3]
	ds_bpermute_b32 v4, v1, v2
	ds_bpermute_b32 v5, v1, v3
	v_cndmask_b32_e32 v1, v0, v72, vcc_lo
	v_cmp_lt_i32_e32 vcc_lo, v71, v69
	s_delay_alu instid0(VALU_DEP_2)
	v_lshlrev_b32_e32 v1, 2, v1
	s_wait_dscnt 0x0
	v_pk_add_f32 v[2:3], v[2:3], v[4:5]
	ds_bpermute_b32 v4, v1, v2
	ds_bpermute_b32 v5, v1, v3
	v_cndmask_b32_e32 v1, v0, v71, vcc_lo
	v_cmp_lt_i32_e32 vcc_lo, v70, v69
	s_delay_alu instid0(VALU_DEP_2) | instskip(SKIP_1) | instid1(VALU_DEP_1)
	v_dual_cndmask_b32 v0, v0, v70 :: v_dual_lshlrev_b32 v1, 2, v1
	s_and_b32 vcc_lo, exec_lo, s2
	v_lshlrev_b32_e32 v6, 2, v0
	s_wait_dscnt 0x0
	v_pk_add_f32 v[2:3], v[2:3], v[4:5]
	ds_bpermute_b32 v4, v1, v2
	ds_bpermute_b32 v5, v1, v3
	s_wait_dscnt 0x0
	v_pk_add_f32 v[0:1], v[2:3], v[4:5]
	ds_bpermute_b32 v2, v6, v0
	ds_bpermute_b32 v3, v6, v1
	s_wait_dscnt 0x0
	v_pk_add_f32 v[0:1], v[0:1], v[2:3]
	s_cbranch_vccz .LBB33_13
; %bb.12:
	s_ashr_i32 s31, s30, 31
	v_dual_mov_b32 v2, 0 :: v_dual_max_num_f32 v4, v56, v56
	s_lshl_b64 s[2:3], s[30:31], 2
	v_max_num_f32_e32 v6, v57, v57
	s_add_nc_u64 s[2:3], s[12:13], s[2:3]
	global_load_b64 v[2:3], v2, s[2:3]
	s_wait_loadcnt 0x0
	v_dual_max_num_f32 v5, v2, v2 :: v_dual_max_num_f32 v7, v3, v3
	s_delay_alu instid0(VALU_DEP_1) | instskip(NEXT) | instid1(VALU_DEP_1)
	v_dual_max_num_f32 v4, v4, v5 :: v_dual_max_num_f32 v5, v6, v7
	v_dual_sub_f32 v6, v56, v4 :: v_dual_sub_f32 v7, v2, v4
	s_delay_alu instid0(VALU_DEP_2) | instskip(SKIP_1) | instid1(VALU_DEP_3)
	v_dual_sub_f32 v8, v57, v5 :: v_dual_sub_f32 v9, v3, v5
	v_mov_b64_e32 v[56:57], v[4:5]
	v_dual_mul_f32 v2, 0x3fb8aa3b, v6 :: v_dual_mul_f32 v3, 0x3fb8aa3b, v7
	s_delay_alu instid0(VALU_DEP_3) | instskip(SKIP_1) | instid1(VALU_DEP_3)
	v_mul_f32_e32 v10, 0x3fb8aa3b, v8
	v_cmp_ngt_f32_e32 vcc_lo, 0xc2ce8ed0, v6
	v_fma_f32 v12, 0x3fb8aa3b, v6, -v2
	v_rndne_f32_e32 v13, v2
	v_rndne_f32_e32 v15, v3
	v_fma_f32 v14, 0x3fb8aa3b, v7, -v3
	v_fma_f32 v16, 0x3fb8aa3b, v8, -v10
	v_fmac_f32_e32 v12, 0x32a5705f, v6
	s_delay_alu instid0(VALU_DEP_4) | instskip(SKIP_3) | instid1(VALU_DEP_4)
	v_dual_sub_f32 v2, v2, v13 :: v_dual_sub_f32 v3, v3, v15
	v_mul_f32_e32 v11, 0x3fb8aa3b, v9
	v_rndne_f32_e32 v17, v10
	v_fmac_f32_e32 v14, 0x32a5705f, v7
	v_add_f32_e32 v2, v2, v12
	v_fmac_f32_e32 v16, 0x32a5705f, v8
	v_fma_f32 v18, 0x3fb8aa3b, v9, -v11
	v_rndne_f32_e32 v19, v11
	v_cvt_i32_f32_e32 v12, v13
	v_exp_f32_e32 v2, v2
	s_delay_alu instid0(VALU_DEP_3) | instskip(NEXT) | instid1(VALU_DEP_3)
	v_dual_add_f32 v3, v3, v14 :: v_dual_fmac_f32 v18, 0x32a5705f, v9
	v_dual_sub_f32 v11, v11, v19 :: v_dual_sub_f32 v10, v10, v17
	v_cvt_i32_f32_e32 v13, v17
	s_delay_alu instid0(VALU_DEP_3) | instskip(NEXT) | instid1(TRANS32_DEP_2)
	v_exp_f32_e32 v3, v3
	v_ldexp_f32 v2, v2, v12
	s_delay_alu instid0(VALU_DEP_3) | instskip(SKIP_2) | instid1(VALU_DEP_4)
	v_dual_add_f32 v11, v11, v18 :: v_dual_add_f32 v10, v10, v16
	v_cvt_i32_f32_e32 v14, v15
	v_cvt_i32_f32_e32 v12, v19
	v_cndmask_b32_e32 v2, 0, v2, vcc_lo
	v_cmp_ngt_f32_e32 vcc_lo, 0xc2ce8ed0, v8
	v_exp_f32_e32 v10, v10
	v_exp_f32_e32 v11, v11
	s_delay_alu instid0(TRANS32_DEP_2) | instskip(NEXT) | instid1(TRANS32_DEP_1)
	v_ldexp_f32 v10, v10, v13
	v_ldexp_f32 v11, v11, v12
	s_delay_alu instid0(VALU_DEP_2) | instskip(SKIP_4) | instid1(VALU_DEP_2)
	v_cndmask_b32_e32 v10, 0, v10, vcc_lo
	v_cmp_nlt_f32_e32 vcc_lo, 0x42b17218, v6
	v_ldexp_f32 v6, v3, v14
	v_cndmask_b32_e32 v2, 0x7f800000, v2, vcc_lo
	v_cmp_nlt_f32_e32 vcc_lo, 0x42b17218, v8
	v_cvt_f16_f32_e32 v8, v2
	v_cndmask_b32_e32 v3, 0x7f800000, v10, vcc_lo
	v_cmp_ngt_f32_e32 vcc_lo, 0xc2ce8ed0, v7
	s_delay_alu instid0(VALU_DEP_3) | instskip(SKIP_2) | instid1(VALU_DEP_3)
	v_and_b32_e32 v8, 0xffff, v8
	v_cndmask_b32_e32 v6, 0, v6, vcc_lo
	v_cmp_ngt_f32_e32 vcc_lo, 0xc2ce8ed0, v9
	v_mul_u32_u24_e32 v8, 0x10001, v8
	v_cndmask_b32_e32 v10, 0, v11, vcc_lo
	v_cmp_nlt_f32_e32 vcc_lo, 0x42b17218, v7
	v_cvt_f16_f32_e32 v11, v3
	s_delay_alu instid0(VALU_DEP_4)
	v_pk_mul_f16 v103, v103, v8
	v_pk_mul_f16 v106, v106, v8
	;; [unrolled: 1-line block ×3, first 2 shown]
	v_cndmask_b32_e32 v6, 0x7f800000, v6, vcc_lo
	v_cmp_nlt_f32_e32 vcc_lo, 0x42b17218, v9
	v_and_b32_e32 v9, 0xffff, v11
	v_pk_mul_f16 v104, v104, v8
	v_cndmask_b32_e32 v7, 0x7f800000, v10, vcc_lo
	s_delay_alu instid0(VALU_DEP_1) | instskip(NEXT) | instid1(VALU_DEP_4)
	v_pk_fma_f32 v[0:1], v[0:1], v[2:3], v[6:7]
	v_mul_u32_u24_e32 v2, 0x10001, v9
	s_delay_alu instid0(VALU_DEP_1)
	v_pk_mul_f16 v99, v99, v2
	v_pk_mul_f16 v102, v102, v2
	v_pk_mul_f16 v101, v101, v2
	v_pk_mul_f16 v100, v100, v2
.LBB33_13:
	s_mov_b32 s2, exec_lo
	v_cmpx_gt_i32_e64 s22, v62
	s_cbranch_execz .LBB33_22
; %bb.14:
	s_load_b32 s0, s[0:1], 0xd4
	v_mov_b32_e32 v2, 1.0
	s_wait_kmcnt 0x0
	s_cmp_lg_u32 s0, 1
	s_cselect_b32 s2, -1, 0
	s_cmp_eq_u32 s0, 1
	s_cselect_b32 s1, -1, 0
	s_and_b32 vcc_lo, exec_lo, s2
	s_cbranch_vccnz .LBB33_16
; %bb.15:
	v_div_scale_f32 v2, null, v0, v0, 1.0
	s_delay_alu instid0(VALU_DEP_1) | instskip(SKIP_1) | instid1(TRANS32_DEP_1)
	v_rcp_f32_e32 v3, v2
	v_nop
	v_fma_f32 v4, -v2, v3, 1.0
	s_delay_alu instid0(VALU_DEP_1) | instskip(SKIP_1) | instid1(VALU_DEP_1)
	v_fmac_f32_e32 v3, v4, v3
	v_div_scale_f32 v4, vcc_lo, 1.0, v0, 1.0
	v_mul_f32_e32 v5, v4, v3
	s_delay_alu instid0(VALU_DEP_1) | instskip(NEXT) | instid1(VALU_DEP_1)
	v_fma_f32 v6, -v2, v5, v4
	v_fmac_f32_e32 v5, v6, v3
	s_delay_alu instid0(VALU_DEP_1) | instskip(NEXT) | instid1(VALU_DEP_1)
	v_fma_f32 v2, -v2, v5, v4
	v_div_fmas_f32 v2, v2, v3, v5
	s_delay_alu instid0(VALU_DEP_1)
	v_div_fixup_f32 v2, v2, v0, 1.0
.LBB33_16:
	v_mad_u32 v3, s28, s22, v62
	v_dual_mov_b32 v11, 0 :: v_dual_lshrrev_b32 v5, 16, v103
	v_dual_lshrrev_b32 v7, 16, v106 :: v_dual_lshrrev_b32 v9, 16, v105
	v_lshrrev_b32_e32 v13, 16, v104
	v_cvt_f32_f16_e32 v4, v103
	v_cvt_f32_f16_e32 v6, v106
	;; [unrolled: 1-line block ×5, first 2 shown]
	v_mad_u32 v3, v3, s23, s30
	v_cvt_f32_f16_e32 v12, v104
	v_cvt_f32_f16_e32 v9, v9
	;; [unrolled: 1-line block ×3, first 2 shown]
	v_cmp_eq_u32_e32 vcc_lo, 0, v63
	s_and_b32 s2, vcc_lo, s2
	v_mad_u32 v3, s0, v3, s33
	s_delay_alu instid0(VALU_DEP_1) | instskip(SKIP_3) | instid1(VALU_DEP_4)
	v_lshl_add_u32 v10, v3, 8, v64
	v_pk_mul_f32 v[4:5], v[2:3], v[4:5] op_sel_hi:[0,1]
	v_pk_mul_f32 v[6:7], v[2:3], v[6:7] op_sel_hi:[0,1]
	v_pk_mul_f32 v[8:9], v[2:3], v[8:9] op_sel_hi:[0,1]
	v_lshl_add_u64 v[14:15], v[10:11], 2, s[16:17]
	v_add_nc_u32_e32 v10, 0x80, v10
	s_delay_alu instid0(VALU_DEP_1)
	v_lshl_add_u64 v[16:17], v[10:11], 2, s[16:17]
	v_pk_mul_f32 v[10:11], v[2:3], v[12:13] op_sel_hi:[0,1]
	s_clause 0x1
	global_store_b128 v[14:15], v[4:7], off
	global_store_b128 v[16:17], v[8:11], off
	s_wait_xcnt 0x0
	s_and_saveexec_b32 s3, s2
	s_cbranch_execz .LBB33_18
; %bb.17:
	v_dual_mov_b32 v4, v56 :: v_dual_mov_b32 v5, v0
	global_store_b64 v3, v[4:5], s[18:19] scale_offset
.LBB33_18:
	s_wait_xcnt 0x0
	s_or_b32 exec_lo, exec_lo, s3
	v_mov_b32_e32 v0, 1.0
	s_and_not1_b32 vcc_lo, exec_lo, s1
	s_cbranch_vccnz .LBB33_20
; %bb.19:
	v_div_scale_f32 v0, null, v1, v1, 1.0
	s_delay_alu instid0(VALU_DEP_1) | instskip(SKIP_1) | instid1(TRANS32_DEP_1)
	v_rcp_f32_e32 v2, v0
	v_nop
	v_fma_f32 v4, -v0, v2, 1.0
	s_delay_alu instid0(VALU_DEP_1) | instskip(SKIP_1) | instid1(VALU_DEP_1)
	v_fmac_f32_e32 v2, v4, v2
	v_div_scale_f32 v4, vcc_lo, 1.0, v1, 1.0
	v_mul_f32_e32 v5, v4, v2
	s_delay_alu instid0(VALU_DEP_1) | instskip(NEXT) | instid1(VALU_DEP_1)
	v_fma_f32 v6, -v0, v5, v4
	v_fmac_f32_e32 v5, v6, v2
	s_delay_alu instid0(VALU_DEP_1) | instskip(NEXT) | instid1(VALU_DEP_1)
	v_fma_f32 v0, -v0, v5, v4
	v_div_fmas_f32 v0, v0, v2, v5
	s_delay_alu instid0(VALU_DEP_1)
	v_div_fixup_f32 v0, v0, v1, 1.0
.LBB33_20:
	v_dual_mov_b32 v9, 0 :: v_dual_add_nc_u32 v2, s0, v3
	v_dual_lshrrev_b32 v3, 16, v99 :: v_dual_lshrrev_b32 v6, 16, v102
	v_dual_lshrrev_b32 v10, 16, v101 :: v_dual_lshrrev_b32 v14, 16, v100
	s_delay_alu instid0(VALU_DEP_3) | instskip(SKIP_1) | instid1(VALU_DEP_4)
	v_lshl_add_u32 v8, v2, 8, v64
	v_cvt_f32_f16_e32 v4, v99
	v_cvt_f32_f16_e32 v5, v3
	;; [unrolled: 1-line block ×4, first 2 shown]
	v_lshl_add_u64 v[12:13], v[8:9], 2, s[16:17]
	v_add_nc_u32_e32 v8, 0x80, v8
	v_cvt_f32_f16_e32 v11, v10
	v_cvt_f32_f16_e32 v10, v101
	;; [unrolled: 1-line block ×4, first 2 shown]
	v_pk_mul_f32 v[4:5], v[0:1], v[4:5] op_sel_hi:[0,1]
	v_pk_mul_f32 v[6:7], v[0:1], v[6:7] op_sel_hi:[0,1]
	v_lshl_add_u64 v[16:17], v[8:9], 2, s[16:17]
	v_pk_mul_f32 v[8:9], v[0:1], v[10:11] op_sel_hi:[0,1]
	v_pk_mul_f32 v[10:11], v[0:1], v[14:15] op_sel_hi:[0,1]
	s_clause 0x1
	global_store_b128 v[12:13], v[4:7], off
	global_store_b128 v[16:17], v[8:11], off
	s_wait_xcnt 0x0
	s_and_b32 exec_lo, exec_lo, s2
	s_cbranch_execz .LBB33_22
; %bb.21:
	v_mov_b32_e32 v0, v57
	global_store_b64 v2, v[0:1], s[18:19] scale_offset
.LBB33_22:
	s_sendmsg sendmsg(MSG_DEALLOC_VGPRS)
	s_endpgm
	.section	.rodata,"a",@progbits
	.p2align	6, 0x0
	.amdhsa_kernel _ZL15flash_attn_tileILi256ELi256ELi4ELi2ELb0EEvPKcS1_S1_S1_S1_PKiPfP15HIP_vector_typeIfLj2EEffffjfiS5_IjLj3EEiiiiiiiiiiiliiliiiiil
		.amdhsa_group_segment_fixed_size 21504
		.amdhsa_private_segment_fixed_size 0
		.amdhsa_kernarg_size 464
		.amdhsa_user_sgpr_count 2
		.amdhsa_user_sgpr_dispatch_ptr 0
		.amdhsa_user_sgpr_queue_ptr 0
		.amdhsa_user_sgpr_kernarg_segment_ptr 1
		.amdhsa_user_sgpr_dispatch_id 0
		.amdhsa_user_sgpr_kernarg_preload_length 0
		.amdhsa_user_sgpr_kernarg_preload_offset 0
		.amdhsa_user_sgpr_private_segment_size 0
		.amdhsa_wavefront_size32 1
		.amdhsa_uses_dynamic_stack 0
		.amdhsa_enable_private_segment 0
		.amdhsa_system_sgpr_workgroup_id_x 1
		.amdhsa_system_sgpr_workgroup_id_y 1
		.amdhsa_system_sgpr_workgroup_id_z 1
		.amdhsa_system_sgpr_workgroup_info 0
		.amdhsa_system_vgpr_workitem_id 1
		.amdhsa_next_free_vgpr 116
		.amdhsa_next_free_sgpr 43
		.amdhsa_named_barrier_count 0
		.amdhsa_reserve_vcc 1
		.amdhsa_float_round_mode_32 0
		.amdhsa_float_round_mode_16_64 0
		.amdhsa_float_denorm_mode_32 3
		.amdhsa_float_denorm_mode_16_64 3
		.amdhsa_fp16_overflow 0
		.amdhsa_memory_ordered 1
		.amdhsa_forward_progress 1
		.amdhsa_inst_pref_size 77
		.amdhsa_round_robin_scheduling 0
		.amdhsa_exception_fp_ieee_invalid_op 0
		.amdhsa_exception_fp_denorm_src 0
		.amdhsa_exception_fp_ieee_div_zero 0
		.amdhsa_exception_fp_ieee_overflow 0
		.amdhsa_exception_fp_ieee_underflow 0
		.amdhsa_exception_fp_ieee_inexact 0
		.amdhsa_exception_int_div_zero 0
	.end_amdhsa_kernel
	.section	.text._ZL15flash_attn_tileILi256ELi256ELi4ELi2ELb0EEvPKcS1_S1_S1_S1_PKiPfP15HIP_vector_typeIfLj2EEffffjfiS5_IjLj3EEiiiiiiiiiiiliiliiiiil,"axG",@progbits,_ZL15flash_attn_tileILi256ELi256ELi4ELi2ELb0EEvPKcS1_S1_S1_S1_PKiPfP15HIP_vector_typeIfLj2EEffffjfiS5_IjLj3EEiiiiiiiiiiiliiliiiiil,comdat
.Lfunc_end33:
	.size	_ZL15flash_attn_tileILi256ELi256ELi4ELi2ELb0EEvPKcS1_S1_S1_S1_PKiPfP15HIP_vector_typeIfLj2EEffffjfiS5_IjLj3EEiiiiiiiiiiiliiliiiiil, .Lfunc_end33-_ZL15flash_attn_tileILi256ELi256ELi4ELi2ELb0EEvPKcS1_S1_S1_S1_PKiPfP15HIP_vector_typeIfLj2EEffffjfiS5_IjLj3EEiiiiiiiiiiiliiliiiiil
                                        ; -- End function
	.set _ZL15flash_attn_tileILi256ELi256ELi4ELi2ELb0EEvPKcS1_S1_S1_S1_PKiPfP15HIP_vector_typeIfLj2EEffffjfiS5_IjLj3EEiiiiiiiiiiiliiliiiiil.num_vgpr, 116
	.set _ZL15flash_attn_tileILi256ELi256ELi4ELi2ELb0EEvPKcS1_S1_S1_S1_PKiPfP15HIP_vector_typeIfLj2EEffffjfiS5_IjLj3EEiiiiiiiiiiiliiliiiiil.num_agpr, 0
	.set _ZL15flash_attn_tileILi256ELi256ELi4ELi2ELb0EEvPKcS1_S1_S1_S1_PKiPfP15HIP_vector_typeIfLj2EEffffjfiS5_IjLj3EEiiiiiiiiiiiliiliiiiil.numbered_sgpr, 43
	.set _ZL15flash_attn_tileILi256ELi256ELi4ELi2ELb0EEvPKcS1_S1_S1_S1_PKiPfP15HIP_vector_typeIfLj2EEffffjfiS5_IjLj3EEiiiiiiiiiiiliiliiiiil.num_named_barrier, 0
	.set _ZL15flash_attn_tileILi256ELi256ELi4ELi2ELb0EEvPKcS1_S1_S1_S1_PKiPfP15HIP_vector_typeIfLj2EEffffjfiS5_IjLj3EEiiiiiiiiiiiliiliiiiil.private_seg_size, 0
	.set _ZL15flash_attn_tileILi256ELi256ELi4ELi2ELb0EEvPKcS1_S1_S1_S1_PKiPfP15HIP_vector_typeIfLj2EEffffjfiS5_IjLj3EEiiiiiiiiiiiliiliiiiil.uses_vcc, 1
	.set _ZL15flash_attn_tileILi256ELi256ELi4ELi2ELb0EEvPKcS1_S1_S1_S1_PKiPfP15HIP_vector_typeIfLj2EEffffjfiS5_IjLj3EEiiiiiiiiiiiliiliiiiil.uses_flat_scratch, 0
	.set _ZL15flash_attn_tileILi256ELi256ELi4ELi2ELb0EEvPKcS1_S1_S1_S1_PKiPfP15HIP_vector_typeIfLj2EEffffjfiS5_IjLj3EEiiiiiiiiiiiliiliiiiil.has_dyn_sized_stack, 0
	.set _ZL15flash_attn_tileILi256ELi256ELi4ELi2ELb0EEvPKcS1_S1_S1_S1_PKiPfP15HIP_vector_typeIfLj2EEffffjfiS5_IjLj3EEiiiiiiiiiiiliiliiiiil.has_recursion, 0
	.set _ZL15flash_attn_tileILi256ELi256ELi4ELi2ELb0EEvPKcS1_S1_S1_S1_PKiPfP15HIP_vector_typeIfLj2EEffffjfiS5_IjLj3EEiiiiiiiiiiiliiliiiiil.has_indirect_call, 0
	.section	.AMDGPU.csdata,"",@progbits
; Kernel info:
; codeLenInByte = 9848
; TotalNumSgprs: 45
; NumVgprs: 116
; ScratchSize: 0
; MemoryBound: 0
; FloatMode: 240
; IeeeMode: 1
; LDSByteSize: 21504 bytes/workgroup (compile time only)
; SGPRBlocks: 0
; VGPRBlocks: 7
; NumSGPRsForWavesPerEU: 45
; NumVGPRsForWavesPerEU: 116
; NamedBarCnt: 0
; Occupancy: 8
; WaveLimiterHint : 1
; COMPUTE_PGM_RSRC2:SCRATCH_EN: 0
; COMPUTE_PGM_RSRC2:USER_SGPR: 2
; COMPUTE_PGM_RSRC2:TRAP_HANDLER: 0
; COMPUTE_PGM_RSRC2:TGID_X_EN: 1
; COMPUTE_PGM_RSRC2:TGID_Y_EN: 1
; COMPUTE_PGM_RSRC2:TGID_Z_EN: 1
; COMPUTE_PGM_RSRC2:TIDIG_COMP_CNT: 1
	.section	.text._ZL33flash_attn_stream_k_fixup_uniformILi256ELi4ELi2EEvPfPK15HIP_vector_typeIfLj2EEiiiiiiS1_IjLj3EES5_S5_,"axG",@progbits,_ZL33flash_attn_stream_k_fixup_uniformILi256ELi4ELi2EEvPfPK15HIP_vector_typeIfLj2EEiiiiiiS1_IjLj3EES5_S5_,comdat
	.globl	_ZL33flash_attn_stream_k_fixup_uniformILi256ELi4ELi2EEvPfPK15HIP_vector_typeIfLj2EEiiiiiiS1_IjLj3EES5_S5_ ; -- Begin function _ZL33flash_attn_stream_k_fixup_uniformILi256ELi4ELi2EEvPfPK15HIP_vector_typeIfLj2EEiiiiiiS1_IjLj3EES5_S5_
	.p2align	8
	.type	_ZL33flash_attn_stream_k_fixup_uniformILi256ELi4ELi2EEvPfPK15HIP_vector_typeIfLj2EEiiiiiiS1_IjLj3EES5_S5_,@function
_ZL33flash_attn_stream_k_fixup_uniformILi256ELi4ELi2EEvPfPK15HIP_vector_typeIfLj2EEiiiiiiS1_IjLj3EES5_S5_: ; @_ZL33flash_attn_stream_k_fixup_uniformILi256ELi4ELi2EEvPfPK15HIP_vector_typeIfLj2EEiiiiiiS1_IjLj3EES5_S5_
; %bb.0:
	s_load_b256 s[4:11], s[0:1], 0x1c
	s_bfe_u32 s2, ttmp6, 0x40014
	s_lshr_b32 s3, ttmp7, 16
	s_add_co_i32 s2, s2, 1
	s_bfe_u32 s13, ttmp6, 0x40010
	s_mul_i32 s2, s3, s2
	s_bfe_u32 s12, ttmp6, 0x40008
	s_and_b32 s15, ttmp7, 0xffff
	s_add_co_i32 s13, s13, 1
	s_bfe_u32 s14, ttmp6, 0x4000c
	s_add_co_i32 s12, s12, s2
	s_mul_i32 s2, s15, s13
	s_bfe_u32 s13, ttmp6, 0x40004
	s_add_co_i32 s14, s14, 1
	s_add_co_i32 s13, s13, s2
	s_and_b32 s2, ttmp6, 15
	s_mul_i32 s14, ttmp9, s14
	s_getreg_b32 s20, hwreg(HW_REG_IB_STS2, 6, 4)
	s_add_co_i32 s2, s2, s14
	s_load_b128 s[16:19], s[0:1], 0x3c
	s_cmp_eq_u32 s20, 0
	s_cselect_b32 s14, ttmp9, s2
	s_cselect_b32 s13, s15, s13
	s_wait_kmcnt 0x0
	s_mul_hi_u32 s2, s7, s14
	s_cselect_b32 s12, s3, s12
	s_add_co_i32 s2, s14, s2
	s_delay_alu instid0(SALU_CYCLE_1) | instskip(NEXT) | instid1(SALU_CYCLE_1)
	s_lshr_b32 s7, s2, s8
	s_mul_i32 s2, s7, s9
	s_delay_alu instid0(SALU_CYCLE_1) | instskip(NEXT) | instid1(SALU_CYCLE_1)
	s_sub_co_i32 s8, s14, s2
	s_mul_hi_u32 s2, s8, s10
	s_delay_alu instid0(SALU_CYCLE_1) | instskip(SKIP_2) | instid1(SALU_CYCLE_1)
	s_add_co_i32 s9, s8, s2
	s_load_b64 s[2:3], s[0:1], 0x10
	s_lshr_b32 s15, s9, s11
	s_mul_i32 s9, s15, s16
	s_delay_alu instid0(SALU_CYCLE_1) | instskip(NEXT) | instid1(SALU_CYCLE_1)
	s_sub_co_i32 s8, s8, s9
	s_mul_hi_u32 s9, s8, s17
	s_delay_alu instid0(SALU_CYCLE_1) | instskip(NEXT) | instid1(SALU_CYCLE_1)
	s_add_co_i32 s9, s8, s9
	s_lshr_b32 s9, s9, s18
	s_delay_alu instid0(SALU_CYCLE_1) | instskip(SKIP_2) | instid1(SALU_CYCLE_1)
	s_mul_i32 s10, s9, s19
	s_lshl_b32 s17, s9, 1
	s_sub_co_i32 s16, s8, s10
	s_lshl_b32 s8, s16, 2
	s_delay_alu instid0(SALU_CYCLE_1) | instskip(SKIP_4) | instid1(SALU_CYCLE_1)
	s_add_co_i32 s8, s8, s13
	s_wait_kmcnt 0x0
	s_cmp_lt_i32 s8, s2
	s_cselect_b32 s8, -1, 0
	s_add_co_i32 s9, s17, s12
	s_cmp_lt_i32 s9, s5
	s_cselect_b32 s9, -1, 0
	s_delay_alu instid0(SALU_CYCLE_1) | instskip(NEXT) | instid1(SALU_CYCLE_1)
	s_and_b32 s8, s8, s9
	s_and_not1_b32 vcc_lo, exec_lo, s8
	s_cbranch_vccnz .LBB34_6
; %bb.1:
	s_mul_i32 s2, s7, s2
	s_load_b128 s[8:11], s[0:1], 0x0
	s_wait_xcnt 0x0
	s_add_co_i32 s0, s2, s13
	s_mul_i32 s15, s15, s5
	s_mul_i32 s0, s0, s3
	;; [unrolled: 1-line block ×3, first 2 shown]
	s_add_co_i32 s0, s0, s12
	s_lshl_b32 s1, s1, 10
	s_add_co_i32 s0, s0, s15
	s_mul_i32 s7, s6, s14
	s_add_co_i32 s0, s0, s17
	s_lshl_b32 s5, s13, 1
	s_lshl_b32 s0, s0, 8
	s_add_co_i32 s15, s7, s6
	s_add_co_i32 s1, s1, s0
	;; [unrolled: 1-line block ×3, first 2 shown]
	v_or_b32_e32 v4, s1, v0
	s_lshl_b32 s1, s15, 3
	s_add_co_i32 s2, s15, -2
	s_add_co_i32 s0, s0, s1
	s_delay_alu instid0(SALU_CYCLE_1)
	s_add_co_i32 s0, s0, -8
	s_wait_kmcnt 0x0
	global_load_b32 v3, v4, s[8:9] scale_offset
	s_ashr_i32 s1, s0, 31
	v_ashrrev_i32_e32 v5, 31, v4
	s_lshl_b64 s[0:1], s[0:1], 3
	s_cmp_lt_i32 s2, s7
	s_add_nc_u64 s[0:1], s[10:11], s[0:1]
	s_load_b32 s16, s[0:1], 0x4
	s_cbranch_scc1 .LBB34_4
; %bb.2:
	s_wait_xcnt 0x0
	s_load_b32 s0, s[0:1], 0x0
	s_add_co_i32 s14, s14, 1
	s_lshl_b32 s3, s13, 9
	s_wait_xcnt 0x0
	s_mul_i32 s1, s6, s14
	s_lshl_b32 s6, s12, 8
	s_lshl_b32 s13, s1, 11
	s_add_co_i32 s6, s6, s3
	s_lshl_b32 s1, s1, 3
	s_add_co_i32 s6, s6, s13
	s_lshl_b32 s2, s4, 5
	s_wait_kmcnt 0x0
	v_dual_mov_b32 v2, s16 :: v_dual_bitop2_b32 v0, s6, v0 bitop3:0x54
	s_add_co_i32 s1, s12, s1
	s_lshl_b32 s4, s4, 3
	s_ashr_i32 s3, s2, 31
	s_add_co_i32 s1, s1, s4
	v_add_nc_u32_e32 v0, 0xfffff000, v0
	s_lshl_b64 s[2:3], s[2:3], 2
	s_add_co_i32 s4, s1, s5
	s_add_nc_u64 s[2:3], s[10:11], s[2:3]
	s_add_co_i32 s1, s15, -1
	s_add_co_i32 s4, s4, -16
.LBB34_3:                               ; =>This Inner Loop Header: Depth=1
	global_load_b32 v7, v0, s[2:3] scale_offset
	s_ashr_i32 s5, s4, 31
	v_max_num_f32_e64 v1, s0, s0
	s_lshl_b64 s[12:13], s[4:5], 3
	s_delay_alu instid0(SALU_CYCLE_1) | instskip(SKIP_1) | instid1(VALU_DEP_1)
	s_add_nc_u64 s[12:13], s[10:11], s[12:13]
	s_load_b64 s[12:13], s[12:13], 0x0
	v_readfirstlane_b32 s5, v1
	v_add_nc_u32_e32 v0, 0xfffff800, v0
	s_wait_kmcnt 0x0
	v_max_num_f32_e64 v1, s12, s12
	s_delay_alu instid0(VALU_DEP_1) | instskip(SKIP_1) | instid1(SALU_CYCLE_3)
	v_readfirstlane_b32 s6, v1
	s_max_num_f32 s5, s5, s6
	s_sub_f32 s0, s0, s5
	s_sub_f32 s6, s12, s5
	s_delay_alu instid0(SALU_CYCLE_2) | instskip(NEXT) | instid1(SALU_CYCLE_2)
	s_mul_f32 s12, s0, 0x3fb8aa3b
	s_mul_f32 s14, s6, 0x3fb8aa3b
	s_delay_alu instid0(SALU_CYCLE_2)
	s_xor_b32 s15, s12, 0x80000000
	s_rndne_f32 s16, s12
	s_fmamk_f32 s15, s0, 0x3fb8aa3b, s15
	s_cmp_nlt_f32 s0, 0xc2ce8ed0
	s_rndne_f32 s17, s14
	s_sub_f32 s12, s12, s16
	s_fmamk_f32 s15, s0, 0x32a5705f, s15
	s_cselect_b32 vcc_lo, -1, 0
	s_cmp_ngt_f32 s0, 0x42b17218
	s_delay_alu instid0(SALU_CYCLE_1) | instskip(SKIP_2) | instid1(SALU_CYCLE_1)
	s_add_f32 s12, s12, s15
	s_cvt_i32_f32 s15, s16
	s_sub_f32 s16, s14, s17
	v_s_exp_f32 s12, s12
	v_nop
	s_delay_alu instid0(TRANS32_DEP_1) | instskip(SKIP_1) | instid1(VALU_DEP_1)
	v_ldexp_f32 v1, s12, s15
	s_cvt_i32_f32 s12, s17
	v_cndmask_b32_e32 v1, 0, v1, vcc_lo
	s_cselect_b32 vcc_lo, -1, 0
	s_cmp_ge_f32 s0, 0xc1a00000
	s_delay_alu instid0(VALU_DEP_1)
	v_cndmask_b32_e32 v1, 0x7f800000, v1, vcc_lo
	s_cselect_b32 vcc_lo, -1, 0
	s_xor_b32 s0, s14, 0x80000000
	s_cmp_nlt_f32 s6, 0xc2ce8ed0
	s_fmamk_f32 s0, s6, 0x3fb8aa3b, s0
	v_cndmask_b32_e32 v10, 0, v1, vcc_lo
	s_delay_alu instid0(SALU_CYCLE_2) | instskip(NEXT) | instid1(SALU_CYCLE_3)
	s_fmamk_f32 s0, s6, 0x32a5705f, s0
	s_add_f32 s0, s16, s0
	s_delay_alu instid0(SALU_CYCLE_3) | instskip(SKIP_1) | instid1(TRANS32_DEP_1)
	v_s_exp_f32 s0, s0
	v_nop
	v_ldexp_f32 v6, s0, s12
	s_cselect_b32 s0, -1, 0
	s_cmp_ngt_f32 s6, 0x42b17218
	s_delay_alu instid0(VALU_DEP_1) | instskip(SKIP_2) | instid1(VALU_DEP_1)
	v_cndmask_b32_e64 v6, 0, v6, s0
	s_cselect_b32 s0, -1, 0
	s_cmp_ge_f32 s6, 0xc1a00000
	v_cndmask_b32_e64 v8, 0x7f800000, v6, s0
	s_cselect_b32 s0, -1, 0
	v_mov_b32_e32 v6, s13
	s_add_co_i32 s1, s1, -1
	s_add_co_i32 s4, s4, -8
	v_cndmask_b32_e64 v8, 0, v8, s0
	s_cmp_le_i32 s1, s7
	s_mov_b32 s0, s5
	s_wait_loadcnt 0x0
	s_delay_alu instid0(VALU_DEP_1) | instskip(NEXT) | instid1(VALU_DEP_1)
	v_pk_mul_f32 v[6:7], v[6:7], v[8:9] op_sel_hi:[1,0]
	v_pk_fma_f32 v[2:3], v[2:3], v[10:11], v[6:7] op_sel_hi:[1,0,1]
	s_cbranch_scc0 .LBB34_3
	s_branch .LBB34_5
.LBB34_4:
	s_wait_kmcnt 0x0
	v_mov_b32_e32 v2, s16
.LBB34_5:
	v_lshl_add_u64 v[0:1], v[4:5], 2, s[8:9]
	s_wait_loadcnt 0x0
	s_delay_alu instid0(VALU_DEP_2) | instskip(NEXT) | instid1(VALU_DEP_1)
	v_div_scale_f32 v4, null, v2, v2, v3
	v_rcp_f32_e32 v5, v4
	v_nop
	s_delay_alu instid0(TRANS32_DEP_1) | instskip(NEXT) | instid1(VALU_DEP_1)
	v_fma_f32 v6, -v4, v5, 1.0
	v_fmac_f32_e32 v5, v6, v5
	v_div_scale_f32 v6, vcc_lo, v3, v2, v3
	s_delay_alu instid0(VALU_DEP_1) | instskip(NEXT) | instid1(VALU_DEP_1)
	v_mul_f32_e32 v7, v6, v5
	v_fma_f32 v8, -v4, v7, v6
	s_delay_alu instid0(VALU_DEP_1) | instskip(NEXT) | instid1(VALU_DEP_1)
	v_fmac_f32_e32 v7, v8, v5
	v_fma_f32 v4, -v4, v7, v6
	s_delay_alu instid0(VALU_DEP_1) | instskip(NEXT) | instid1(VALU_DEP_1)
	v_div_fmas_f32 v4, v4, v5, v7
	v_div_fixup_f32 v2, v4, v2, v3
	global_store_b32 v[0:1], v2, off
.LBB34_6:
	s_endpgm
	.section	.rodata,"a",@progbits
	.p2align	6, 0x0
	.amdhsa_kernel _ZL33flash_attn_stream_k_fixup_uniformILi256ELi4ELi2EEvPfPK15HIP_vector_typeIfLj2EEiiiiiiS1_IjLj3EES5_S5_
		.amdhsa_group_segment_fixed_size 0
		.amdhsa_private_segment_fixed_size 0
		.amdhsa_kernarg_size 76
		.amdhsa_user_sgpr_count 2
		.amdhsa_user_sgpr_dispatch_ptr 0
		.amdhsa_user_sgpr_queue_ptr 0
		.amdhsa_user_sgpr_kernarg_segment_ptr 1
		.amdhsa_user_sgpr_dispatch_id 0
		.amdhsa_user_sgpr_kernarg_preload_length 0
		.amdhsa_user_sgpr_kernarg_preload_offset 0
		.amdhsa_user_sgpr_private_segment_size 0
		.amdhsa_wavefront_size32 1
		.amdhsa_uses_dynamic_stack 0
		.amdhsa_enable_private_segment 0
		.amdhsa_system_sgpr_workgroup_id_x 1
		.amdhsa_system_sgpr_workgroup_id_y 1
		.amdhsa_system_sgpr_workgroup_id_z 1
		.amdhsa_system_sgpr_workgroup_info 0
		.amdhsa_system_vgpr_workitem_id 0
		.amdhsa_next_free_vgpr 12
		.amdhsa_next_free_sgpr 21
		.amdhsa_named_barrier_count 0
		.amdhsa_reserve_vcc 1
		.amdhsa_float_round_mode_32 0
		.amdhsa_float_round_mode_16_64 0
		.amdhsa_float_denorm_mode_32 3
		.amdhsa_float_denorm_mode_16_64 3
		.amdhsa_fp16_overflow 0
		.amdhsa_memory_ordered 1
		.amdhsa_forward_progress 1
		.amdhsa_inst_pref_size 9
		.amdhsa_round_robin_scheduling 0
		.amdhsa_exception_fp_ieee_invalid_op 0
		.amdhsa_exception_fp_denorm_src 0
		.amdhsa_exception_fp_ieee_div_zero 0
		.amdhsa_exception_fp_ieee_overflow 0
		.amdhsa_exception_fp_ieee_underflow 0
		.amdhsa_exception_fp_ieee_inexact 0
		.amdhsa_exception_int_div_zero 0
	.end_amdhsa_kernel
	.section	.text._ZL33flash_attn_stream_k_fixup_uniformILi256ELi4ELi2EEvPfPK15HIP_vector_typeIfLj2EEiiiiiiS1_IjLj3EES5_S5_,"axG",@progbits,_ZL33flash_attn_stream_k_fixup_uniformILi256ELi4ELi2EEvPfPK15HIP_vector_typeIfLj2EEiiiiiiS1_IjLj3EES5_S5_,comdat
.Lfunc_end34:
	.size	_ZL33flash_attn_stream_k_fixup_uniformILi256ELi4ELi2EEvPfPK15HIP_vector_typeIfLj2EEiiiiiiS1_IjLj3EES5_S5_, .Lfunc_end34-_ZL33flash_attn_stream_k_fixup_uniformILi256ELi4ELi2EEvPfPK15HIP_vector_typeIfLj2EEiiiiiiS1_IjLj3EES5_S5_
                                        ; -- End function
	.set _ZL33flash_attn_stream_k_fixup_uniformILi256ELi4ELi2EEvPfPK15HIP_vector_typeIfLj2EEiiiiiiS1_IjLj3EES5_S5_.num_vgpr, 12
	.set _ZL33flash_attn_stream_k_fixup_uniformILi256ELi4ELi2EEvPfPK15HIP_vector_typeIfLj2EEiiiiiiS1_IjLj3EES5_S5_.num_agpr, 0
	.set _ZL33flash_attn_stream_k_fixup_uniformILi256ELi4ELi2EEvPfPK15HIP_vector_typeIfLj2EEiiiiiiS1_IjLj3EES5_S5_.numbered_sgpr, 21
	.set _ZL33flash_attn_stream_k_fixup_uniformILi256ELi4ELi2EEvPfPK15HIP_vector_typeIfLj2EEiiiiiiS1_IjLj3EES5_S5_.num_named_barrier, 0
	.set _ZL33flash_attn_stream_k_fixup_uniformILi256ELi4ELi2EEvPfPK15HIP_vector_typeIfLj2EEiiiiiiS1_IjLj3EES5_S5_.private_seg_size, 0
	.set _ZL33flash_attn_stream_k_fixup_uniformILi256ELi4ELi2EEvPfPK15HIP_vector_typeIfLj2EEiiiiiiS1_IjLj3EES5_S5_.uses_vcc, 1
	.set _ZL33flash_attn_stream_k_fixup_uniformILi256ELi4ELi2EEvPfPK15HIP_vector_typeIfLj2EEiiiiiiS1_IjLj3EES5_S5_.uses_flat_scratch, 0
	.set _ZL33flash_attn_stream_k_fixup_uniformILi256ELi4ELi2EEvPfPK15HIP_vector_typeIfLj2EEiiiiiiS1_IjLj3EES5_S5_.has_dyn_sized_stack, 0
	.set _ZL33flash_attn_stream_k_fixup_uniformILi256ELi4ELi2EEvPfPK15HIP_vector_typeIfLj2EEiiiiiiS1_IjLj3EES5_S5_.has_recursion, 0
	.set _ZL33flash_attn_stream_k_fixup_uniformILi256ELi4ELi2EEvPfPK15HIP_vector_typeIfLj2EEiiiiiiS1_IjLj3EES5_S5_.has_indirect_call, 0
	.section	.AMDGPU.csdata,"",@progbits
; Kernel info:
; codeLenInByte = 1092
; TotalNumSgprs: 23
; NumVgprs: 12
; ScratchSize: 0
; MemoryBound: 0
; FloatMode: 240
; IeeeMode: 1
; LDSByteSize: 0 bytes/workgroup (compile time only)
; SGPRBlocks: 0
; VGPRBlocks: 0
; NumSGPRsForWavesPerEU: 23
; NumVGPRsForWavesPerEU: 12
; NamedBarCnt: 0
; Occupancy: 16
; WaveLimiterHint : 0
; COMPUTE_PGM_RSRC2:SCRATCH_EN: 0
; COMPUTE_PGM_RSRC2:USER_SGPR: 2
; COMPUTE_PGM_RSRC2:TRAP_HANDLER: 0
; COMPUTE_PGM_RSRC2:TGID_X_EN: 1
; COMPUTE_PGM_RSRC2:TGID_Y_EN: 1
; COMPUTE_PGM_RSRC2:TGID_Z_EN: 1
; COMPUTE_PGM_RSRC2:TIDIG_COMP_CNT: 0
	.section	.text._ZL33flash_attn_stream_k_fixup_generalILi256ELi4ELi2EEvPfPK15HIP_vector_typeIfLj2EEiiiiS1_IjLj3EES5_S5_S5_,"axG",@progbits,_ZL33flash_attn_stream_k_fixup_generalILi256ELi4ELi2EEvPfPK15HIP_vector_typeIfLj2EEiiiiS1_IjLj3EES5_S5_S5_,comdat
	.globl	_ZL33flash_attn_stream_k_fixup_generalILi256ELi4ELi2EEvPfPK15HIP_vector_typeIfLj2EEiiiiS1_IjLj3EES5_S5_S5_ ; -- Begin function _ZL33flash_attn_stream_k_fixup_generalILi256ELi4ELi2EEvPfPK15HIP_vector_typeIfLj2EEiiiiS1_IjLj3EES5_S5_S5_
	.p2align	8
	.type	_ZL33flash_attn_stream_k_fixup_generalILi256ELi4ELi2EEvPfPK15HIP_vector_typeIfLj2EEiiiiS1_IjLj3EES5_S5_S5_,@function
_ZL33flash_attn_stream_k_fixup_generalILi256ELi4ELi2EEvPfPK15HIP_vector_typeIfLj2EEiiiiS1_IjLj3EES5_S5_S5_: ; @_ZL33flash_attn_stream_k_fixup_generalILi256ELi4ELi2EEvPfPK15HIP_vector_typeIfLj2EEiiiiS1_IjLj3EES5_S5_S5_
; %bb.0:
	s_clause 0x1
	s_load_b128 s[4:7], s[0:1], 0x10
	s_load_b32 s16, s[0:1], 0x50
	s_bfe_u32 s2, ttmp6, 0x4000c
	s_and_b32 s3, ttmp6, 15
	s_add_co_i32 s2, s2, 1
	s_getreg_b32 s15, hwreg(HW_REG_IB_STS2, 6, 4)
	s_mul_i32 s2, ttmp9, s2
	s_mov_b32 s17, 0
	s_add_co_i32 s3, s3, s2
	s_cmp_eq_u32 s15, 0
	s_cselect_b32 s2, ttmp9, s3
	s_delay_alu instid0(SALU_CYCLE_1) | instskip(SKIP_3) | instid1(SALU_CYCLE_1)
	s_ashr_i32 s3, s2, 31
	s_wait_kmcnt 0x0
	s_ashr_i32 s19, s7, 31
	s_mov_b32 s18, s7
	s_mul_u64 s[8:9], s[18:19], s[2:3]
	s_delay_alu instid0(SALU_CYCLE_1) | instskip(NEXT) | instid1(SALU_CYCLE_1)
	s_and_b64 s[10:11], s[8:9], 0xffffffff00000000
	s_cmp_lg_u64 s[10:11], 0
	s_cbranch_scc0 .LBB35_21
; %bb.1:
	s_add_nc_u64 s[10:11], s[16:17], 0
	s_mov_b32 s23, s17
	s_xor_b64 s[10:11], s[10:11], 0
	s_mov_b32 s27, s17
	s_cvt_f32_u32 s3, s10
	s_cvt_f32_u32 s7, s11
	s_sub_nc_u64 s[20:21], 0, s[10:11]
	s_delay_alu instid0(SALU_CYCLE_2) | instskip(NEXT) | instid1(SALU_CYCLE_3)
	s_fmamk_f32 s3, s7, 0x4f800000, s3
	v_s_rcp_f32 s3, s3
	s_delay_alu instid0(TRANS32_DEP_1) | instskip(NEXT) | instid1(SALU_CYCLE_3)
	s_mul_f32 s3, s3, 0x5f7ffffc
	s_mul_f32 s7, s3, 0x2f800000
	s_delay_alu instid0(SALU_CYCLE_3) | instskip(NEXT) | instid1(SALU_CYCLE_3)
	s_trunc_f32 s7, s7
	s_fmamk_f32 s3, s7, 0xcf800000, s3
	s_cvt_u32_f32 s13, s7
	s_delay_alu instid0(SALU_CYCLE_2) | instskip(NEXT) | instid1(SALU_CYCLE_3)
	s_cvt_u32_f32 s12, s3
	s_mul_u64 s[24:25], s[20:21], s[12:13]
	s_delay_alu instid0(SALU_CYCLE_1)
	s_mul_hi_u32 s29, s12, s25
	s_mul_i32 s28, s12, s25
	s_mul_hi_u32 s22, s12, s24
	s_mul_i32 s7, s13, s24
	s_add_nc_u64 s[22:23], s[22:23], s[28:29]
	s_mul_hi_u32 s3, s13, s24
	s_mul_hi_u32 s14, s13, s25
	s_add_co_u32 s7, s22, s7
	s_add_co_ci_u32 s26, s23, s3
	s_mul_i32 s24, s13, s25
	s_add_co_ci_u32 s25, s14, 0
	s_delay_alu instid0(SALU_CYCLE_1) | instskip(SKIP_3) | instid1(SALU_CYCLE_1)
	s_add_nc_u64 s[22:23], s[26:27], s[24:25]
	s_mov_b32 s25, s17
	s_add_co_u32 s12, s12, s22
	s_cselect_b32 s3, -1, 0
	s_cmp_lg_u32 s3, 0
	s_add_co_ci_u32 s13, s13, s23
	s_mov_b32 s23, s17
	s_mul_u64 s[20:21], s[20:21], s[12:13]
	s_delay_alu instid0(SALU_CYCLE_1)
	s_mul_hi_u32 s27, s12, s21
	s_mul_i32 s26, s12, s21
	s_mul_hi_u32 s22, s12, s20
	s_mul_i32 s7, s13, s20
	s_add_nc_u64 s[22:23], s[22:23], s[26:27]
	s_mul_hi_u32 s3, s13, s20
	s_mul_hi_u32 s14, s13, s21
	s_add_co_u32 s7, s22, s7
	s_add_co_ci_u32 s24, s23, s3
	s_mul_i32 s20, s13, s21
	s_add_co_ci_u32 s21, s14, 0
	s_mov_b32 s23, s17
	s_add_nc_u64 s[20:21], s[24:25], s[20:21]
	s_delay_alu instid0(SALU_CYCLE_1) | instskip(SKIP_1) | instid1(SALU_CYCLE_1)
	s_add_co_u32 s3, s12, s20
	s_cselect_b32 s7, -1, 0
	s_cmp_lg_u32 s7, 0
	s_add_co_ci_u32 s7, s13, s21
	s_ashr_i32 s12, s9, 31
	s_delay_alu instid0(SALU_CYCLE_1) | instskip(NEXT) | instid1(SALU_CYCLE_1)
	s_mov_b32 s13, s12
	s_add_nc_u64 s[20:21], s[8:9], s[12:13]
	s_delay_alu instid0(SALU_CYCLE_1) | instskip(NEXT) | instid1(SALU_CYCLE_1)
	s_xor_b64 s[20:21], s[20:21], s[12:13]
	s_mul_hi_u32 s27, s20, s7
	s_mul_i32 s26, s20, s7
	s_mul_hi_u32 s22, s20, s3
	s_mul_hi_u32 s14, s21, s3
	s_mul_i32 s3, s21, s3
	s_add_nc_u64 s[22:23], s[22:23], s[26:27]
	s_mul_hi_u32 s9, s21, s7
	s_add_co_u32 s3, s22, s3
	s_add_co_ci_u32 s24, s23, s14
	s_mul_i32 s26, s21, s7
	s_add_co_ci_u32 s27, s9, 0
	s_delay_alu instid0(SALU_CYCLE_1) | instskip(NEXT) | instid1(SALU_CYCLE_1)
	s_add_nc_u64 s[22:23], s[24:25], s[26:27]
	s_and_b64 s[24:25], s[22:23], 0xffffffff00000000
	s_delay_alu instid0(SALU_CYCLE_1) | instskip(NEXT) | instid1(SALU_CYCLE_1)
	s_or_b32 s24, s24, s22
	s_mul_u64 s[22:23], s[10:11], s[24:25]
	s_add_nc_u64 s[26:27], s[24:25], 1
	s_sub_co_u32 s3, s20, s22
	s_cselect_b32 s7, -1, 0
	s_sub_co_i32 s9, s21, s23
	s_cmp_lg_u32 s7, 0
	s_add_nc_u64 s[28:29], s[24:25], 2
	s_sub_co_ci_u32 s9, s9, s11
	s_sub_co_u32 s14, s3, s10
	s_cselect_b32 s20, -1, 0
	s_delay_alu instid0(SALU_CYCLE_1) | instskip(SKIP_1) | instid1(SALU_CYCLE_1)
	s_cmp_lg_u32 s20, 0
	s_sub_co_ci_u32 s9, s9, 0
	s_cmp_ge_u32 s9, s11
	s_cselect_b32 s20, -1, 0
	s_cmp_ge_u32 s14, s10
	s_cselect_b32 s14, -1, 0
	s_cmp_eq_u32 s9, s11
	s_cselect_b32 s9, s14, s20
	s_delay_alu instid0(SALU_CYCLE_1) | instskip(SKIP_4) | instid1(SALU_CYCLE_1)
	s_cmp_lg_u32 s9, 0
	s_cselect_b32 s9, s28, s26
	s_cselect_b32 s14, s29, s27
	s_cmp_lg_u32 s7, 0
	s_sub_co_ci_u32 s7, s21, s23
	s_cmp_ge_u32 s7, s11
	s_cselect_b32 s20, -1, 0
	s_cmp_ge_u32 s3, s10
	s_cselect_b32 s3, -1, 0
	s_cmp_eq_u32 s7, s11
	s_cselect_b32 s3, s3, s20
	s_delay_alu instid0(SALU_CYCLE_1) | instskip(SKIP_4) | instid1(SALU_CYCLE_1)
	s_cmp_lg_u32 s3, 0
	s_mov_b32 s3, s17
	s_cselect_b32 s11, s14, s25
	s_cselect_b32 s10, s9, s24
	s_xor_b64 s[12:13], s[12:13], 0
	s_xor_b64 s[10:11], s[10:11], s[12:13]
	s_delay_alu instid0(SALU_CYCLE_1)
	s_sub_nc_u64 s[20:21], s[10:11], s[12:13]
	s_and_not1_b32 vcc_lo, exec_lo, s3
	s_cbranch_vccnz .LBB35_3
.LBB35_2:
	v_cvt_f32_u32_e32 v1, s16
	s_sub_co_i32 s7, 0, s16
	s_mov_b32 s21, 0
	s_delay_alu instid0(VALU_DEP_1) | instskip(SKIP_1) | instid1(TRANS32_DEP_1)
	v_rcp_iflag_f32_e32 v1, v1
	v_nop
	v_mul_f32_e32 v1, 0x4f7ffffe, v1
	s_delay_alu instid0(VALU_DEP_1) | instskip(NEXT) | instid1(VALU_DEP_1)
	v_cvt_u32_f32_e32 v1, v1
	v_readfirstlane_b32 s3, v1
	s_mul_i32 s7, s7, s3
	s_delay_alu instid0(SALU_CYCLE_1) | instskip(NEXT) | instid1(SALU_CYCLE_1)
	s_mul_hi_u32 s7, s3, s7
	s_add_co_i32 s3, s3, s7
	s_delay_alu instid0(SALU_CYCLE_1) | instskip(NEXT) | instid1(SALU_CYCLE_1)
	s_mul_hi_u32 s3, s8, s3
	s_mul_i32 s7, s3, s16
	s_delay_alu instid0(SALU_CYCLE_1)
	s_sub_co_i32 s7, s8, s7
	s_add_co_i32 s8, s3, 1
	s_sub_co_i32 s9, s7, s16
	s_cmp_ge_u32 s7, s16
	s_cselect_b32 s3, s8, s3
	s_cselect_b32 s7, s9, s7
	s_add_co_i32 s8, s3, 1
	s_cmp_ge_u32 s7, s16
	s_cselect_b32 s20, s8, s3
.LBB35_3:
	s_add_co_i32 s8, s2, 1
	s_delay_alu instid0(SALU_CYCLE_1) | instskip(NEXT) | instid1(SALU_CYCLE_1)
	s_ashr_i32 s9, s8, 31
	s_mul_u64 s[8:9], s[18:19], s[8:9]
	s_delay_alu instid0(SALU_CYCLE_1) | instskip(NEXT) | instid1(SALU_CYCLE_1)
	s_and_b64 s[10:11], s[8:9], 0xffffffff00000000
	s_cmp_lg_u64 s[10:11], 0
	s_cbranch_scc0 .LBB35_22
; %bb.4:
	s_add_nc_u64 s[10:11], s[16:17], 0
	s_delay_alu instid0(SALU_CYCLE_1) | instskip(SKIP_4) | instid1(SALU_CYCLE_2)
	s_xor_b64 s[12:13], s[10:11], 0
	s_mov_b32 s11, 0
	s_cvt_f32_u32 s3, s12
	s_cvt_f32_u32 s7, s13
	s_sub_nc_u64 s[24:25], 0, s[12:13]
	s_fmamk_f32 s3, s7, 0x4f800000, s3
	s_delay_alu instid0(SALU_CYCLE_3) | instskip(NEXT) | instid1(TRANS32_DEP_1)
	v_s_rcp_f32 s3, s3
	s_mul_f32 s3, s3, 0x5f7ffffc
	s_delay_alu instid0(SALU_CYCLE_3) | instskip(NEXT) | instid1(SALU_CYCLE_3)
	s_mul_f32 s7, s3, 0x2f800000
	s_trunc_f32 s7, s7
	s_delay_alu instid0(SALU_CYCLE_3) | instskip(SKIP_1) | instid1(SALU_CYCLE_2)
	s_fmamk_f32 s3, s7, 0xcf800000, s3
	s_cvt_u32_f32 s23, s7
	s_cvt_u32_f32 s22, s3
	s_delay_alu instid0(SALU_CYCLE_3) | instskip(NEXT) | instid1(SALU_CYCLE_1)
	s_mul_u64 s[26:27], s[24:25], s[22:23]
	s_mul_hi_u32 s29, s22, s27
	s_mul_i32 s28, s22, s27
	s_mul_hi_u32 s10, s22, s26
	s_mul_i32 s7, s23, s26
	s_add_nc_u64 s[28:29], s[10:11], s[28:29]
	s_mul_hi_u32 s3, s23, s26
	s_mul_hi_u32 s14, s23, s27
	s_add_co_u32 s7, s28, s7
	s_add_co_ci_u32 s10, s29, s3
	s_mul_i32 s26, s23, s27
	s_add_co_ci_u32 s27, s14, 0
	s_delay_alu instid0(SALU_CYCLE_1) | instskip(NEXT) | instid1(SALU_CYCLE_1)
	s_add_nc_u64 s[26:27], s[10:11], s[26:27]
	s_add_co_u32 s22, s22, s26
	s_cselect_b32 s3, -1, 0
	s_delay_alu instid0(SALU_CYCLE_1) | instskip(SKIP_1) | instid1(SALU_CYCLE_1)
	s_cmp_lg_u32 s3, 0
	s_add_co_ci_u32 s23, s23, s27
	s_mul_u64 s[24:25], s[24:25], s[22:23]
	s_delay_alu instid0(SALU_CYCLE_1)
	s_mul_hi_u32 s27, s22, s25
	s_mul_i32 s26, s22, s25
	s_mul_hi_u32 s10, s22, s24
	s_mul_i32 s7, s23, s24
	s_add_nc_u64 s[26:27], s[10:11], s[26:27]
	s_mul_hi_u32 s3, s23, s24
	s_mul_hi_u32 s14, s23, s25
	s_add_co_u32 s7, s26, s7
	s_add_co_ci_u32 s10, s27, s3
	s_mul_i32 s24, s23, s25
	s_add_co_ci_u32 s25, s14, 0
	s_delay_alu instid0(SALU_CYCLE_1) | instskip(NEXT) | instid1(SALU_CYCLE_1)
	s_add_nc_u64 s[24:25], s[10:11], s[24:25]
	s_add_co_u32 s3, s22, s24
	s_cselect_b32 s7, -1, 0
	s_delay_alu instid0(SALU_CYCLE_1) | instskip(SKIP_2) | instid1(SALU_CYCLE_1)
	s_cmp_lg_u32 s7, 0
	s_add_co_ci_u32 s7, s23, s25
	s_ashr_i32 s22, s9, 31
	s_mov_b32 s23, s22
	s_delay_alu instid0(SALU_CYCLE_1) | instskip(NEXT) | instid1(SALU_CYCLE_1)
	s_add_nc_u64 s[24:25], s[8:9], s[22:23]
	s_xor_b64 s[24:25], s[24:25], s[22:23]
	s_delay_alu instid0(SALU_CYCLE_1)
	s_mul_hi_u32 s27, s24, s7
	s_mul_i32 s26, s24, s7
	s_mul_hi_u32 s10, s24, s3
	s_mul_hi_u32 s14, s25, s3
	s_mul_i32 s3, s25, s3
	s_add_nc_u64 s[26:27], s[10:11], s[26:27]
	s_mul_hi_u32 s9, s25, s7
	s_add_co_u32 s3, s26, s3
	s_add_co_ci_u32 s10, s27, s14
	s_mul_i32 s28, s25, s7
	s_add_co_ci_u32 s29, s9, 0
	s_delay_alu instid0(SALU_CYCLE_1) | instskip(NEXT) | instid1(SALU_CYCLE_1)
	s_add_nc_u64 s[26:27], s[10:11], s[28:29]
	s_and_b64 s[28:29], s[26:27], 0xffffffff00000000
	s_delay_alu instid0(SALU_CYCLE_1) | instskip(NEXT) | instid1(SALU_CYCLE_1)
	s_or_b32 s28, s28, s26
	s_mul_u64 s[26:27], s[12:13], s[28:29]
	s_add_nc_u64 s[30:31], s[28:29], 1
	s_sub_co_u32 s3, s24, s26
	s_cselect_b32 s7, -1, 0
	s_sub_co_i32 s9, s25, s27
	s_cmp_lg_u32 s7, 0
	s_add_nc_u64 s[34:35], s[28:29], 2
	s_sub_co_ci_u32 s9, s9, s13
	s_sub_co_u32 s10, s3, s12
	s_cselect_b32 s14, -1, 0
	s_delay_alu instid0(SALU_CYCLE_1) | instskip(SKIP_1) | instid1(SALU_CYCLE_1)
	s_cmp_lg_u32 s14, 0
	s_sub_co_ci_u32 s9, s9, 0
	s_cmp_ge_u32 s9, s13
	s_cselect_b32 s14, -1, 0
	s_cmp_ge_u32 s10, s12
	s_cselect_b32 s10, -1, 0
	s_cmp_eq_u32 s9, s13
	s_cselect_b32 s9, s10, s14
	s_delay_alu instid0(SALU_CYCLE_1) | instskip(SKIP_4) | instid1(SALU_CYCLE_1)
	s_cmp_lg_u32 s9, 0
	s_cselect_b32 s9, s34, s30
	s_cselect_b32 s10, s35, s31
	s_cmp_lg_u32 s7, 0
	s_sub_co_ci_u32 s7, s25, s27
	s_cmp_ge_u32 s7, s13
	s_cselect_b32 s14, -1, 0
	s_cmp_ge_u32 s3, s12
	s_cselect_b32 s3, -1, 0
	s_cmp_eq_u32 s7, s13
	s_cselect_b32 s3, s3, s14
	s_delay_alu instid0(SALU_CYCLE_1) | instskip(SKIP_3) | instid1(SALU_CYCLE_1)
	s_cmp_lg_u32 s3, 0
	s_cselect_b32 s13, s10, s29
	s_cselect_b32 s12, s9, s28
	s_xor_b64 s[22:23], s[22:23], 0
	s_xor_b64 s[12:13], s[12:13], s[22:23]
	s_delay_alu instid0(SALU_CYCLE_1)
	s_sub_nc_u64 s[24:25], s[12:13], s[22:23]
	s_load_b96 s[12:14], s[0:1], 0x44
	s_cbranch_execnz .LBB35_6
.LBB35_5:
	v_cvt_f32_u32_e32 v1, s16
	s_sub_co_i32 s7, 0, s16
	s_delay_alu instid0(VALU_DEP_1) | instskip(SKIP_1) | instid1(TRANS32_DEP_1)
	v_rcp_iflag_f32_e32 v1, v1
	v_nop
	v_mul_f32_e32 v1, 0x4f7ffffe, v1
	s_delay_alu instid0(VALU_DEP_1) | instskip(NEXT) | instid1(VALU_DEP_1)
	v_cvt_u32_f32_e32 v1, v1
	v_readfirstlane_b32 s3, v1
	s_mul_i32 s7, s7, s3
	s_delay_alu instid0(SALU_CYCLE_1) | instskip(NEXT) | instid1(SALU_CYCLE_1)
	s_mul_hi_u32 s7, s3, s7
	s_add_co_i32 s3, s3, s7
	s_delay_alu instid0(SALU_CYCLE_1) | instskip(NEXT) | instid1(SALU_CYCLE_1)
	s_mul_hi_u32 s3, s8, s3
	s_mul_i32 s7, s3, s16
	s_delay_alu instid0(SALU_CYCLE_1)
	s_sub_co_i32 s7, s8, s7
	s_add_co_i32 s8, s3, 1
	s_sub_co_i32 s9, s7, s16
	s_cmp_ge_u32 s7, s16
	s_cselect_b32 s3, s8, s3
	s_cselect_b32 s7, s9, s7
	s_add_co_i32 s8, s3, 1
	s_cmp_ge_u32 s7, s16
	s_cselect_b32 s24, s8, s3
.LBB35_6:
	s_delay_alu instid0(SALU_CYCLE_1)
	s_cmp_eq_u32 s20, s24
	s_mov_b64 s[8:9], 0xffffffff
	s_cselect_b32 s3, -1, 0
	s_and_b64 s[8:9], s[20:21], s[8:9]
	s_mov_b32 s23, 0
	s_wait_kmcnt 0x0
	s_mov_b32 s22, s12
	s_mov_b32 s25, s23
	s_mul_u64 s[10:11], s[8:9], s[22:23]
	s_delay_alu instid0(SALU_CYCLE_1) | instskip(SKIP_2) | instid1(SALU_CYCLE_1)
	s_add_co_i32 s7, s11, s20
	s_mul_u64 s[10:11], s[24:25], s[22:23]
	s_lshr_b32 s12, s7, s13
	s_mul_i32 s7, s12, s14
	s_delay_alu instid0(SALU_CYCLE_1) | instskip(SKIP_2) | instid1(SALU_CYCLE_1)
	s_cmp_eq_u32 s7, s20
	s_cselect_b32 s7, -1, 0
	s_add_co_i32 s10, s11, s24
	s_lshr_b32 s10, s10, s13
	s_delay_alu instid0(SALU_CYCLE_1)
	s_cmp_eq_u32 s12, s10
	s_mul_i32 s10, s10, s14
	s_cselect_b32 s11, -1, 0
	s_cmp_lg_u32 s10, s24
	s_cselect_b32 s10, -1, 0
	s_or_b32 s3, s3, s7
	s_and_b32 s10, s11, s10
	s_delay_alu instid0(SALU_CYCLE_1) | instskip(NEXT) | instid1(SALU_CYCLE_1)
	s_or_b32 s3, s3, s10
	s_and_b32 vcc_lo, exec_lo, s3
	s_cbranch_vccnz .LBB35_24
; %bb.7:
	s_load_b256 s[24:31], s[0:1], 0x20
	s_bfe_u32 s7, ttmp6, 0x40014
	s_bfe_u32 s33, ttmp6, 0x40010
	s_lshr_b32 s3, ttmp7, 16
	s_add_co_i32 s7, s7, 1
	s_and_b32 s21, ttmp7, 0xffff
	s_add_co_i32 s33, s33, 1
	s_bfe_u32 s10, ttmp6, 0x40008
	s_mul_i32 s7, s3, s7
	s_bfe_u32 s34, ttmp6, 0x40004
	s_mul_i32 s33, s21, s33
	s_mov_b32 s11, s23
	s_add_co_i32 s35, s10, s7
	s_add_co_i32 s34, s34, s33
	s_cmp_eq_u32 s15, 0
	s_cselect_b32 s7, s21, s34
	s_cselect_b32 s3, s3, s35
	s_wait_kmcnt 0x0
	s_mov_b32 s10, s24
	s_delay_alu instid0(SALU_CYCLE_1) | instskip(NEXT) | instid1(SALU_CYCLE_1)
	s_mul_u64 s[8:9], s[8:9], s[10:11]
	s_add_co_i32 s8, s9, s20
	s_load_b32 s9, s[0:1], 0x40
	s_lshr_b32 s8, s8, s25
	s_delay_alu instid0(SALU_CYCLE_1) | instskip(NEXT) | instid1(SALU_CYCLE_1)
	s_mul_i32 s10, s8, s26
	s_sub_co_i32 s10, s20, s10
	s_delay_alu instid0(SALU_CYCLE_1) | instskip(NEXT) | instid1(SALU_CYCLE_1)
	s_mul_hi_u32 s11, s10, s27
	s_add_co_i32 s11, s10, s11
	s_delay_alu instid0(SALU_CYCLE_1) | instskip(NEXT) | instid1(SALU_CYCLE_1)
	s_lshr_b32 s15, s11, s28
	s_mul_i32 s11, s15, s29
	s_delay_alu instid0(SALU_CYCLE_1) | instskip(NEXT) | instid1(SALU_CYCLE_1)
	s_sub_co_i32 s10, s10, s11
	s_mul_hi_u32 s11, s10, s30
	s_delay_alu instid0(SALU_CYCLE_1) | instskip(NEXT) | instid1(SALU_CYCLE_1)
	s_add_co_i32 s11, s10, s11
	s_lshr_b32 s26, s11, s31
	s_mov_b32 s11, s23
	s_wait_kmcnt 0x0
	s_mul_i32 s9, s26, s9
	s_delay_alu instid0(SALU_CYCLE_1) | instskip(NEXT) | instid1(SALU_CYCLE_1)
	s_sub_co_i32 s10, s10, s9
	s_mul_u64 s[24:25], s[10:11], s[22:23]
	s_lshl_b32 s24, s26, 1
	s_add_co_i32 s9, s10, s25
	s_delay_alu instid0(SALU_CYCLE_1) | instskip(NEXT) | instid1(SALU_CYCLE_1)
	s_lshr_b32 s21, s9, s13
	s_lshl_b32 s9, s21, 2
	s_delay_alu instid0(SALU_CYCLE_1) | instskip(NEXT) | instid1(SALU_CYCLE_1)
	s_add_co_i32 s9, s9, s7
	s_cmp_lt_i32 s9, s4
	s_cselect_b32 s9, -1, 0
	s_add_co_i32 s10, s24, s3
	s_delay_alu instid0(SALU_CYCLE_1) | instskip(SKIP_1) | instid1(SALU_CYCLE_1)
	s_cmp_lt_i32 s10, s6
	s_cselect_b32 s10, -1, 0
	s_and_b32 s9, s9, s10
	s_delay_alu instid0(SALU_CYCLE_1)
	s_and_not1_b32 vcc_lo, exec_lo, s9
	s_cbranch_vccnz .LBB35_24
; %bb.8:
	s_mul_i32 s4, s8, s4
	s_load_b128 s[8:11], s[0:1], 0x0
	s_wait_xcnt 0x0
	s_add_co_i32 s0, s4, s7
	s_mul_i32 s15, s15, s6
	s_mul_i32 s0, s0, s5
	;; [unrolled: 1-line block ×3, first 2 shown]
	s_add_co_i32 s0, s0, s3
	s_lshl_b32 s1, s1, 10
	s_add_co_i32 s0, s0, s15
	s_lshl_b32 s15, s7, 1
	s_add_co_i32 s0, s0, s24
	s_add_co_i32 s15, s15, s3
	s_lshl_b32 s0, s0, 8
	v_lshl_or_b32 v6, s15, 8, v0
	s_add_co_i32 s1, s1, s0
	v_cvt_f32_u32_e32 v4, s16
	v_or_b32_e32 v2, s1, v0
	s_add_nc_u64 s[0:1], s[16:17], 0
	s_lshl_b32 s24, s16, 5
	s_xor_b64 s[6:7], s[0:1], 0
	s_lshl_b32 s0, s2, 3
	s_cvt_f32_u32 s3, s6
	s_add_co_i32 s0, s15, s0
	s_cvt_f32_u32 s4, s7
	s_ashr_i32 s1, s0, 31
	v_rcp_iflag_f32_e32 v4, v4
	s_lshl_b64 s[0:1], s[0:1], 3
	s_fmamk_f32 s3, s4, 0x4f800000, s3
	s_wait_kmcnt 0x0
	s_add_nc_u64 s[0:1], s[10:11], s[0:1]
	s_mov_b32 s25, 0
	s_load_b64 s[28:29], s[0:1], 0x0
	v_s_rcp_f32 s3, s3
	s_wait_xcnt 0x0
	s_lshl_b64 s[0:1], s[24:25], 2
	s_add_co_i32 s36, s2, -1
	s_add_nc_u64 s[26:27], s[10:11], s[0:1]
	s_sub_nc_u64 s[34:35], 0, s[6:7]
	v_mul_f32_e32 v4, 0x4f7ffffe, v4
	s_delay_alu instid0(TRANS32_DEP_1) | instskip(NEXT) | instid1(VALU_DEP_1)
	s_mul_f32 s3, s3, 0x5f7ffffc
	v_cvt_u32_f32_e32 v7, v4
	s_delay_alu instid0(SALU_CYCLE_2) | instskip(NEXT) | instid1(SALU_CYCLE_3)
	s_mul_f32 s4, s3, 0x2f800000
	s_trunc_f32 s4, s4
	s_wait_kmcnt 0x0
	v_mov_b32_e32 v0, s29
	global_load_b32 v1, v2, s[8:9] scale_offset
	v_ashrrev_i32_e32 v3, 31, v2
	s_fmamk_f32 s0, s4, 0xcf800000, s3
	s_cvt_u32_f32 s31, s4
	s_wait_xcnt 0x0
	s_delay_alu instid0(VALU_DEP_1)
	v_lshl_add_u64 v[2:3], v[2:3], 2, s[8:9]
	s_cvt_u32_f32 s30, s0
	s_mov_b64 s[8:9], 0xffffffff
.LBB35_9:                               ; =>This Inner Loop Header: Depth=1
	s_ashr_i32 s37, s36, 31
                                        ; implicit-def: $sgpr40_sgpr41
	s_delay_alu instid0(SALU_CYCLE_1) | instskip(NEXT) | instid1(SALU_CYCLE_1)
	s_mul_u64 s[0:1], s[36:37], s[18:19]
	s_and_b64 s[2:3], s[0:1], 0xffffffff00000000
	s_delay_alu instid0(SALU_CYCLE_1)
	s_cmp_lg_u64 s[2:3], 0
	s_mov_b32 s2, -1
	s_cbranch_scc0 .LBB35_11
; %bb.10:                               ;   in Loop: Header=BB35_9 Depth=1
	s_mul_u64 s[2:3], s[34:35], s[30:31]
	s_delay_alu instid0(SALU_CYCLE_1)
	s_mul_hi_u32 s5, s30, s3
	s_mul_i32 s4, s30, s3
	s_mul_hi_u32 s24, s30, s2
	s_mul_hi_u32 s17, s31, s2
	s_add_nc_u64 s[4:5], s[24:25], s[4:5]
	s_mul_i32 s2, s31, s2
	s_mul_hi_u32 s21, s31, s3
	s_add_co_u32 s2, s4, s2
	s_add_co_ci_u32 s24, s5, s17
	s_add_co_ci_u32 s5, s21, 0
	s_mul_i32 s4, s31, s3
	s_delay_alu instid0(SALU_CYCLE_1) | instskip(NEXT) | instid1(SALU_CYCLE_1)
	s_add_nc_u64 s[2:3], s[24:25], s[4:5]
	s_add_co_u32 s2, s30, s2
	s_cselect_b32 s4, -1, 0
	s_delay_alu instid0(SALU_CYCLE_1) | instskip(SKIP_1) | instid1(SALU_CYCLE_1)
	s_cmp_lg_u32 s4, 0
	s_add_co_ci_u32 s3, s31, s3
	s_mul_u64 s[4:5], s[34:35], s[2:3]
	s_delay_alu instid0(SALU_CYCLE_1)
	s_mul_hi_u32 s39, s2, s5
	s_mul_i32 s38, s2, s5
	s_mul_hi_u32 s24, s2, s4
	s_mul_hi_u32 s17, s3, s4
	s_mul_i32 s4, s3, s4
	s_add_nc_u64 s[38:39], s[24:25], s[38:39]
	s_mul_hi_u32 s21, s3, s5
	s_add_co_u32 s4, s38, s4
	s_add_co_ci_u32 s24, s39, s17
	s_mul_i32 s4, s3, s5
	s_add_co_ci_u32 s5, s21, 0
	s_delay_alu instid0(SALU_CYCLE_1) | instskip(NEXT) | instid1(SALU_CYCLE_1)
	s_add_nc_u64 s[4:5], s[24:25], s[4:5]
	s_add_co_u32 s17, s2, s4
	s_cselect_b32 s2, -1, 0
	s_delay_alu instid0(SALU_CYCLE_1) | instskip(SKIP_2) | instid1(SALU_CYCLE_1)
	s_cmp_lg_u32 s2, 0
	s_add_co_ci_u32 s21, s3, s5
	s_ashr_i32 s2, s1, 31
	s_mov_b32 s3, s2
	s_delay_alu instid0(SALU_CYCLE_1) | instskip(NEXT) | instid1(SALU_CYCLE_1)
	s_add_nc_u64 s[4:5], s[0:1], s[2:3]
	s_xor_b64 s[4:5], s[4:5], s[2:3]
	s_delay_alu instid0(SALU_CYCLE_1)
	s_mul_hi_u32 s39, s4, s21
	s_mul_i32 s38, s4, s21
	s_mul_hi_u32 s24, s4, s17
	s_mul_hi_u32 s29, s5, s17
	s_mul_i32 s17, s5, s17
	s_add_nc_u64 s[38:39], s[24:25], s[38:39]
	s_mul_hi_u32 s1, s5, s21
	s_add_co_u32 s17, s38, s17
	s_add_co_ci_u32 s24, s39, s29
	s_mul_i32 s40, s5, s21
	s_add_co_ci_u32 s41, s1, 0
	s_delay_alu instid0(SALU_CYCLE_1) | instskip(NEXT) | instid1(SALU_CYCLE_1)
	s_add_nc_u64 s[38:39], s[24:25], s[40:41]
	s_and_b64 s[40:41], s[38:39], 0xffffffff00000000
	s_delay_alu instid0(SALU_CYCLE_1) | instskip(NEXT) | instid1(SALU_CYCLE_1)
	s_or_b32 s40, s40, s38
	s_mul_u64 s[38:39], s[6:7], s[40:41]
	s_add_nc_u64 s[42:43], s[40:41], 1
	s_sub_co_u32 s1, s4, s38
	s_cselect_b32 s4, -1, 0
	s_sub_co_i32 s17, s5, s39
	s_cmp_lg_u32 s4, 0
	s_add_nc_u64 s[44:45], s[40:41], 2
	s_sub_co_ci_u32 s17, s17, s7
	s_sub_co_u32 s21, s1, s6
	s_cselect_b32 s24, -1, 0
	s_delay_alu instid0(SALU_CYCLE_1) | instskip(SKIP_1) | instid1(SALU_CYCLE_1)
	s_cmp_lg_u32 s24, 0
	s_sub_co_ci_u32 s17, s17, 0
	s_cmp_ge_u32 s17, s7
	s_cselect_b32 s24, -1, 0
	s_cmp_ge_u32 s21, s6
	s_cselect_b32 s21, -1, 0
	s_cmp_eq_u32 s17, s7
	s_cselect_b32 s17, s21, s24
	s_delay_alu instid0(SALU_CYCLE_1) | instskip(SKIP_4) | instid1(SALU_CYCLE_1)
	s_cmp_lg_u32 s17, 0
	s_cselect_b32 s17, s44, s42
	s_cselect_b32 s21, s45, s43
	s_cmp_lg_u32 s4, 0
	s_sub_co_ci_u32 s4, s5, s39
	s_cmp_ge_u32 s4, s7
	s_cselect_b32 s5, -1, 0
	s_cmp_ge_u32 s1, s6
	s_cselect_b32 s1, -1, 0
	s_cmp_eq_u32 s4, s7
	s_cselect_b32 s1, s1, s5
	s_delay_alu instid0(SALU_CYCLE_1) | instskip(SKIP_3) | instid1(SALU_CYCLE_1)
	s_cmp_lg_u32 s1, 0
	s_cselect_b32 s5, s21, s41
	s_cselect_b32 s4, s17, s40
	s_xor_b64 s[2:3], s[2:3], 0
	s_xor_b64 s[4:5], s[4:5], s[2:3]
	s_delay_alu instid0(SALU_CYCLE_1)
	s_sub_nc_u64 s[40:41], s[4:5], s[2:3]
	s_mov_b32 s2, 0
.LBB35_11:                              ;   in Loop: Header=BB35_9 Depth=1
	s_delay_alu instid0(SALU_CYCLE_1)
	s_and_not1_b32 vcc_lo, exec_lo, s2
	s_cbranch_vccnz .LBB35_13
; %bb.12:                               ;   in Loop: Header=BB35_9 Depth=1
	v_readfirstlane_b32 s1, v7
	s_sub_co_i32 s2, 0, s16
	s_delay_alu instid0(SALU_CYCLE_1) | instskip(NEXT) | instid1(SALU_CYCLE_1)
	s_mul_i32 s2, s2, s1
	s_mul_hi_u32 s2, s1, s2
	s_delay_alu instid0(SALU_CYCLE_1) | instskip(NEXT) | instid1(SALU_CYCLE_1)
	s_add_co_i32 s1, s1, s2
	s_mul_hi_u32 s1, s0, s1
	s_delay_alu instid0(SALU_CYCLE_1) | instskip(NEXT) | instid1(SALU_CYCLE_1)
	s_mul_i32 s2, s1, s16
	s_sub_co_i32 s0, s0, s2
	s_add_co_i32 s2, s1, 1
	s_sub_co_i32 s3, s0, s16
	s_cmp_ge_u32 s0, s16
	s_cselect_b32 s1, s2, s1
	s_cselect_b32 s0, s3, s0
	s_add_co_i32 s2, s1, 1
	s_cmp_ge_u32 s0, s16
	s_cselect_b32 s24, s2, s1
	s_delay_alu instid0(SALU_CYCLE_1)
	s_mov_b64 s[40:41], s[24:25]
.LBB35_13:                              ;   in Loop: Header=BB35_9 Depth=1
	s_delay_alu instid0(SALU_CYCLE_1)
	s_cmp_lg_u32 s20, s40
	s_mov_b32 s0, -1
                                        ; implicit-def: $vgpr4_vgpr5
                                        ; implicit-def: $sgpr24
                                        ; implicit-def: $sgpr17
                                        ; implicit-def: $sgpr21
                                        ; implicit-def: $sgpr29
	s_cbranch_scc0 .LBB35_18
; %bb.14:                               ;   in Loop: Header=BB35_9 Depth=1
	s_add_co_i32 s0, s36, s16
	v_max_num_f32_e64 v4, s28, s28
	s_lshl_b32 s0, s0, 3
	s_mov_b32 s29, s20
	s_add_co_i32 s0, s0, s15
	s_load_b64 s[38:39], s[10:11], s0 offset:0x0 scale_offset
	s_wait_xcnt 0x0
	v_readfirstlane_b32 s0, v4
	s_wait_kmcnt 0x0
	v_max_num_f32_e64 v5, s38, s38
	s_delay_alu instid0(VALU_DEP_1) | instskip(SKIP_1) | instid1(SALU_CYCLE_3)
	v_readfirstlane_b32 s1, v5
	s_max_num_f32 s17, s0, s1
	s_sub_f32 s33, s28, s17
	s_sub_f32 s37, s38, s17
	s_delay_alu instid0(SALU_CYCLE_2)
	s_cmp_nlt_f32 s33, 0xc2ce8ed0
	s_cselect_b32 s1, -1, 0
	s_cmp_ngt_f32 s33, 0x42b17218
	s_cselect_b32 s2, -1, 0
	s_cmp_ge_f32 s33, 0xc1a00000
	s_cselect_b32 s0, -1, 0
	s_cmp_nlt_f32 s37, 0xc2ce8ed0
	s_cselect_b32 s3, -1, 0
	s_cmp_ngt_f32 s37, 0x42b17218
	s_cselect_b32 s4, -1, 0
	s_cmp_ge_f32 s37, 0xc1a00000
	s_cselect_b32 s5, -1, 0
	s_and_b64 s[42:43], s[40:41], s[8:9]
	s_delay_alu instid0(SALU_CYCLE_1) | instskip(NEXT) | instid1(SALU_CYCLE_1)
	s_mul_u64 s[42:43], s[42:43], s[22:23]
	s_add_co_i32 s21, s43, s40
	s_delay_alu instid0(SALU_CYCLE_1) | instskip(NEXT) | instid1(SALU_CYCLE_1)
	s_lshr_b32 s21, s21, s13
	s_mul_i32 s24, s21, s14
	s_delay_alu instid0(SALU_CYCLE_1) | instskip(SKIP_3) | instid1(SALU_CYCLE_1)
	s_cmp_eq_u32 s24, s40
	s_cselect_b32 s24, -1, 0
	s_cmp_lt_u32 s21, s12
	s_cselect_b32 s21, -1, 0
	s_or_b32 s21, s21, s24
	s_mov_b32 s24, -1
	s_and_b32 vcc_lo, exec_lo, s21
	s_mov_b32 s21, s36
	s_cbranch_vccnz .LBB35_16
; %bb.15:                               ;   in Loop: Header=BB35_9 Depth=1
	s_add_co_i32 s21, s36, -1
	s_mov_b32 s24, 0
	s_mov_b32 s29, s40
.LBB35_16:                              ;   in Loop: Header=BB35_9 Depth=1
	v_lshl_add_u32 v4, s36, 11, v6
	s_mul_f32 s40, s33, 0x3fb8aa3b
	s_mul_f32 s38, s37, 0x3fb8aa3b
	s_delay_alu instid0(SALU_CYCLE_2)
	s_xor_b32 s42, s40, 0x80000000
	global_load_b32 v5, v4, s[26:27] scale_offset
	s_fmamk_f32 s42, s33, 0x3fb8aa3b, s42
	s_rndne_f32 s44, s40
	s_xor_b32 s41, s38, 0x80000000
	s_rndne_f32 s43, s38
	s_fmamk_f32 s33, s33, 0x32a5705f, s42
	s_sub_f32 s40, s40, s44
	s_fmamk_f32 s41, s37, 0x3fb8aa3b, s41
	s_sub_f32 s38, s38, s43
	s_delay_alu instid0(SALU_CYCLE_1) | instskip(NEXT) | instid1(SALU_CYCLE_1)
	s_add_f32 s33, s40, s33
	s_fmamk_f32 s37, s37, 0x32a5705f, s41
	s_cvt_i32_f32 s40, s44
	s_delay_alu instid0(SALU_CYCLE_1) | instskip(NEXT) | instid1(SALU_CYCLE_1)
	v_s_exp_f32 s33, s33
	s_add_f32 s37, s38, s37
	s_cvt_i32_f32 s38, s43
	s_delay_alu instid0(SALU_CYCLE_2) | instskip(NEXT) | instid1(TRANS32_DEP_2)
	v_s_exp_f32 s37, s37
	v_ldexp_f32 v8, s33, s40
	s_wait_xcnt 0x0
	s_delay_alu instid0(TRANS32_DEP_1) | instskip(NEXT) | instid1(VALU_DEP_2)
	v_ldexp_f32 v4, s37, s38
	v_cndmask_b32_e64 v8, 0, v8, s1
	s_delay_alu instid0(VALU_DEP_1) | instskip(NEXT) | instid1(VALU_DEP_1)
	v_cndmask_b32_e64 v9, 0x7f800000, v8, s2
	v_dual_cndmask_b32 v4, 0, v4, s3 :: v_dual_cndmask_b32 v10, 0, v9, s0
	s_delay_alu instid0(VALU_DEP_1) | instskip(NEXT) | instid1(VALU_DEP_1)
	v_cndmask_b32_e64 v4, 0x7f800000, v4, s4
	v_dual_cndmask_b32 v8, 0, v4, s5 :: v_dual_mov_b32 v4, s39
	s_wait_loadcnt 0x0
	s_delay_alu instid0(VALU_DEP_1) | instskip(NEXT) | instid1(VALU_DEP_1)
	v_pk_mul_f32 v[4:5], v[4:5], v[8:9] op_sel_hi:[1,0]
	v_pk_fma_f32 v[4:5], v[0:1], v[10:11], v[4:5] op_sel_hi:[1,0,1]
	s_cbranch_execz .LBB35_19
.LBB35_17:                              ;   in Loop: Header=BB35_9 Depth=1
	s_and_not1_b32 vcc_lo, exec_lo, s24
	s_cbranch_vccnz .LBB35_20
	s_branch .LBB35_23
.LBB35_18:                              ;   in Loop: Header=BB35_9 Depth=1
	s_and_not1_b32 vcc_lo, exec_lo, s0
	s_cbranch_vccnz .LBB35_17
.LBB35_19:                              ;   in Loop: Header=BB35_9 Depth=1
	s_wait_loadcnt 0x0
	v_mov_b64_e32 v[4:5], v[0:1]
	s_add_co_i32 s21, s36, -1
	s_mov_b32 s29, s20
	s_mov_b32 s17, s28
	s_cbranch_execz .LBB35_23
.LBB35_20:                              ;   in Loop: Header=BB35_9 Depth=1
	s_wait_loadcnt 0x0
	s_delay_alu instid0(VALU_DEP_1)
	v_mov_b64_e32 v[0:1], v[4:5]
	s_mov_b32 s20, s29
	s_mov_b32 s36, s21
	;; [unrolled: 1-line block ×3, first 2 shown]
	s_branch .LBB35_9
.LBB35_21:
                                        ; implicit-def: $sgpr20_sgpr21
	s_branch .LBB35_2
.LBB35_22:
                                        ; implicit-def: $sgpr24_sgpr25
	s_load_b96 s[12:14], s[0:1], 0x44
	s_branch .LBB35_5
.LBB35_23:
	s_delay_alu instid0(VALU_DEP_1) | instskip(SKIP_1) | instid1(VALU_DEP_1)
	v_div_scale_f32 v0, null, v4, v4, v5
	s_wait_loadcnt 0x0
	v_rcp_f32_e32 v1, v0
	v_nop
	s_delay_alu instid0(TRANS32_DEP_1) | instskip(NEXT) | instid1(VALU_DEP_1)
	v_fma_f32 v6, -v0, v1, 1.0
	v_fmac_f32_e32 v1, v6, v1
	v_div_scale_f32 v6, vcc_lo, v5, v4, v5
	s_delay_alu instid0(VALU_DEP_1) | instskip(NEXT) | instid1(VALU_DEP_1)
	v_mul_f32_e32 v7, v6, v1
	v_fma_f32 v8, -v0, v7, v6
	s_delay_alu instid0(VALU_DEP_1) | instskip(NEXT) | instid1(VALU_DEP_1)
	v_fmac_f32_e32 v7, v8, v1
	v_fma_f32 v0, -v0, v7, v6
	s_delay_alu instid0(VALU_DEP_1) | instskip(NEXT) | instid1(VALU_DEP_1)
	v_div_fmas_f32 v0, v0, v1, v7
	v_div_fixup_f32 v0, v0, v4, v5
	global_store_b32 v[2:3], v0, off
.LBB35_24:
	s_endpgm
	.section	.rodata,"a",@progbits
	.p2align	6, 0x0
	.amdhsa_kernel _ZL33flash_attn_stream_k_fixup_generalILi256ELi4ELi2EEvPfPK15HIP_vector_typeIfLj2EEiiiiS1_IjLj3EES5_S5_S5_
		.amdhsa_group_segment_fixed_size 0
		.amdhsa_private_segment_fixed_size 0
		.amdhsa_kernarg_size 336
		.amdhsa_user_sgpr_count 2
		.amdhsa_user_sgpr_dispatch_ptr 0
		.amdhsa_user_sgpr_queue_ptr 0
		.amdhsa_user_sgpr_kernarg_segment_ptr 1
		.amdhsa_user_sgpr_dispatch_id 0
		.amdhsa_user_sgpr_kernarg_preload_length 0
		.amdhsa_user_sgpr_kernarg_preload_offset 0
		.amdhsa_user_sgpr_private_segment_size 0
		.amdhsa_wavefront_size32 1
		.amdhsa_uses_dynamic_stack 0
		.amdhsa_enable_private_segment 0
		.amdhsa_system_sgpr_workgroup_id_x 1
		.amdhsa_system_sgpr_workgroup_id_y 1
		.amdhsa_system_sgpr_workgroup_id_z 1
		.amdhsa_system_sgpr_workgroup_info 0
		.amdhsa_system_vgpr_workitem_id 0
		.amdhsa_next_free_vgpr 12
		.amdhsa_next_free_sgpr 46
		.amdhsa_named_barrier_count 0
		.amdhsa_reserve_vcc 1
		.amdhsa_float_round_mode_32 0
		.amdhsa_float_round_mode_16_64 0
		.amdhsa_float_denorm_mode_32 3
		.amdhsa_float_denorm_mode_16_64 3
		.amdhsa_fp16_overflow 0
		.amdhsa_memory_ordered 1
		.amdhsa_forward_progress 1
		.amdhsa_inst_pref_size 27
		.amdhsa_round_robin_scheduling 0
		.amdhsa_exception_fp_ieee_invalid_op 0
		.amdhsa_exception_fp_denorm_src 0
		.amdhsa_exception_fp_ieee_div_zero 0
		.amdhsa_exception_fp_ieee_overflow 0
		.amdhsa_exception_fp_ieee_underflow 0
		.amdhsa_exception_fp_ieee_inexact 0
		.amdhsa_exception_int_div_zero 0
	.end_amdhsa_kernel
	.section	.text._ZL33flash_attn_stream_k_fixup_generalILi256ELi4ELi2EEvPfPK15HIP_vector_typeIfLj2EEiiiiS1_IjLj3EES5_S5_S5_,"axG",@progbits,_ZL33flash_attn_stream_k_fixup_generalILi256ELi4ELi2EEvPfPK15HIP_vector_typeIfLj2EEiiiiS1_IjLj3EES5_S5_S5_,comdat
.Lfunc_end35:
	.size	_ZL33flash_attn_stream_k_fixup_generalILi256ELi4ELi2EEvPfPK15HIP_vector_typeIfLj2EEiiiiS1_IjLj3EES5_S5_S5_, .Lfunc_end35-_ZL33flash_attn_stream_k_fixup_generalILi256ELi4ELi2EEvPfPK15HIP_vector_typeIfLj2EEiiiiS1_IjLj3EES5_S5_S5_
                                        ; -- End function
	.set _ZL33flash_attn_stream_k_fixup_generalILi256ELi4ELi2EEvPfPK15HIP_vector_typeIfLj2EEiiiiS1_IjLj3EES5_S5_S5_.num_vgpr, 12
	.set _ZL33flash_attn_stream_k_fixup_generalILi256ELi4ELi2EEvPfPK15HIP_vector_typeIfLj2EEiiiiS1_IjLj3EES5_S5_S5_.num_agpr, 0
	.set _ZL33flash_attn_stream_k_fixup_generalILi256ELi4ELi2EEvPfPK15HIP_vector_typeIfLj2EEiiiiS1_IjLj3EES5_S5_S5_.numbered_sgpr, 46
	.set _ZL33flash_attn_stream_k_fixup_generalILi256ELi4ELi2EEvPfPK15HIP_vector_typeIfLj2EEiiiiS1_IjLj3EES5_S5_S5_.num_named_barrier, 0
	.set _ZL33flash_attn_stream_k_fixup_generalILi256ELi4ELi2EEvPfPK15HIP_vector_typeIfLj2EEiiiiS1_IjLj3EES5_S5_S5_.private_seg_size, 0
	.set _ZL33flash_attn_stream_k_fixup_generalILi256ELi4ELi2EEvPfPK15HIP_vector_typeIfLj2EEiiiiS1_IjLj3EES5_S5_S5_.uses_vcc, 1
	.set _ZL33flash_attn_stream_k_fixup_generalILi256ELi4ELi2EEvPfPK15HIP_vector_typeIfLj2EEiiiiS1_IjLj3EES5_S5_S5_.uses_flat_scratch, 0
	.set _ZL33flash_attn_stream_k_fixup_generalILi256ELi4ELi2EEvPfPK15HIP_vector_typeIfLj2EEiiiiS1_IjLj3EES5_S5_S5_.has_dyn_sized_stack, 0
	.set _ZL33flash_attn_stream_k_fixup_generalILi256ELi4ELi2EEvPfPK15HIP_vector_typeIfLj2EEiiiiS1_IjLj3EES5_S5_S5_.has_recursion, 0
	.set _ZL33flash_attn_stream_k_fixup_generalILi256ELi4ELi2EEvPfPK15HIP_vector_typeIfLj2EEiiiiS1_IjLj3EES5_S5_S5_.has_indirect_call, 0
	.section	.AMDGPU.csdata,"",@progbits
; Kernel info:
; codeLenInByte = 3360
; TotalNumSgprs: 48
; NumVgprs: 12
; ScratchSize: 0
; MemoryBound: 0
; FloatMode: 240
; IeeeMode: 1
; LDSByteSize: 0 bytes/workgroup (compile time only)
; SGPRBlocks: 0
; VGPRBlocks: 0
; NumSGPRsForWavesPerEU: 48
; NumVGPRsForWavesPerEU: 12
; NamedBarCnt: 0
; Occupancy: 16
; WaveLimiterHint : 0
; COMPUTE_PGM_RSRC2:SCRATCH_EN: 0
; COMPUTE_PGM_RSRC2:USER_SGPR: 2
; COMPUTE_PGM_RSRC2:TRAP_HANDLER: 0
; COMPUTE_PGM_RSRC2:TGID_X_EN: 1
; COMPUTE_PGM_RSRC2:TGID_Y_EN: 1
; COMPUTE_PGM_RSRC2:TGID_Z_EN: 1
; COMPUTE_PGM_RSRC2:TIDIG_COMP_CNT: 0
	.section	.text._ZL15flash_attn_tileILi256ELi256ELi2ELi2ELb0EEvPKcS1_S1_S1_S1_PKiPfP15HIP_vector_typeIfLj2EEffffjfiS5_IjLj3EEiiiiiiiiiiiliiliiiiil,"axG",@progbits,_ZL15flash_attn_tileILi256ELi256ELi2ELi2ELb0EEvPKcS1_S1_S1_S1_PKiPfP15HIP_vector_typeIfLj2EEffffjfiS5_IjLj3EEiiiiiiiiiiiliiliiiiil,comdat
	.globl	_ZL15flash_attn_tileILi256ELi256ELi2ELi2ELb0EEvPKcS1_S1_S1_S1_PKiPfP15HIP_vector_typeIfLj2EEffffjfiS5_IjLj3EEiiiiiiiiiiiliiliiiiil ; -- Begin function _ZL15flash_attn_tileILi256ELi256ELi2ELi2ELb0EEvPKcS1_S1_S1_S1_PKiPfP15HIP_vector_typeIfLj2EEffffjfiS5_IjLj3EEiiiiiiiiiiiliiliiiiil
	.p2align	8
	.type	_ZL15flash_attn_tileILi256ELi256ELi2ELi2ELb0EEvPKcS1_S1_S1_S1_PKiPfP15HIP_vector_typeIfLj2EEffffjfiS5_IjLj3EEiiiiiiiiiiiliiliiiiil,@function
_ZL15flash_attn_tileILi256ELi256ELi2ELi2ELb0EEvPKcS1_S1_S1_S1_PKiPfP15HIP_vector_typeIfLj2EEffffjfiS5_IjLj3EEiiiiiiiiiiiliiliiiiil: ; @_ZL15flash_attn_tileILi256ELi256ELi2ELi2ELb0EEvPKcS1_S1_S1_S1_PKiPfP15HIP_vector_typeIfLj2EEffffjfiS5_IjLj3EEiiiiiiiiiiiliiliiiiil
; %bb.0:
	s_clause 0x1
	s_load_b128 s[20:23], s[0:1], 0x5c
	s_load_b64 s[28:29], s[0:1], 0x80
	s_bfe_u32 s5, ttmp6, 0x40014
	s_lshr_b32 s4, ttmp7, 16
	s_add_co_i32 s5, s5, 1
	s_bfe_u32 s6, ttmp6, 0x40008
	s_mul_i32 s5, s4, s5
	s_getreg_b32 s24, hwreg(HW_REG_IB_STS2, 6, 4)
	s_add_co_i32 s6, s6, s5
	s_load_b64 s[36:37], s[0:1], 0xb8
	s_mov_b32 s35, 0
	s_mov_b64 s[30:31], 0
	s_wait_kmcnt 0x0
	s_lshr_b32 s2, s23, 31
	s_delay_alu instid0(SALU_CYCLE_1) | instskip(NEXT) | instid1(SALU_CYCLE_1)
	s_add_co_i32 s2, s23, s2
	s_ashr_i32 s2, s2, 1
	s_delay_alu instid0(SALU_CYCLE_1) | instskip(SKIP_1) | instid1(SALU_CYCLE_2)
	s_cvt_f32_u32 s3, s2
	s_sub_co_i32 s7, 0, s2
	v_rcp_iflag_f32_e32 v1, s3
	v_nop
	s_delay_alu instid0(TRANS32_DEP_1) | instskip(SKIP_1) | instid1(SALU_CYCLE_3)
	v_readfirstlane_b32 s3, v1
	s_mul_f32 s3, s3, 0x4f7ffffe
	s_cvt_u32_f32 s3, s3
	s_delay_alu instid0(SALU_CYCLE_3) | instskip(NEXT) | instid1(SALU_CYCLE_1)
	s_mul_i32 s7, s7, s3
	s_mul_hi_u32 s7, s3, s7
	s_delay_alu instid0(SALU_CYCLE_1) | instskip(SKIP_2) | instid1(SALU_CYCLE_1)
	s_add_co_i32 s3, s3, s7
	s_cmp_eq_u32 s24, 0
	s_cselect_b32 s4, s4, s6
	s_mul_hi_u32 s3, s4, s3
	s_delay_alu instid0(SALU_CYCLE_1) | instskip(SKIP_2) | instid1(SALU_CYCLE_1)
	s_mul_i32 s5, s3, s2
	s_add_co_i32 s6, s3, 1
	s_sub_co_i32 s5, s4, s5
	s_sub_co_i32 s7, s5, s2
	s_cmp_ge_u32 s5, s2
	s_cselect_b32 s3, s6, s3
	s_cselect_b32 s5, s7, s5
	s_add_co_i32 s6, s3, 1
	s_cmp_ge_u32 s5, s2
	s_cselect_b32 s2, s6, s3
	s_abs_i32 s3, s29
	s_lshl_b32 s4, s4, 1
	s_cvt_f32_u32 s5, s3
	s_sub_co_i32 s6, 0, s3
	s_mul_i32 s7, s2, s23
	s_abs_i32 s8, s23
	v_rcp_iflag_f32_e32 v1, s5
	s_sub_co_i32 s33, s4, s7
	v_nop
	s_delay_alu instid0(TRANS32_DEP_1) | instskip(SKIP_1) | instid1(SALU_CYCLE_3)
	v_readfirstlane_b32 s5, v1
	s_mul_f32 s5, s5, 0x4f7ffffe
	s_cvt_u32_f32 s5, s5
	s_delay_alu instid0(SALU_CYCLE_3) | instskip(NEXT) | instid1(SALU_CYCLE_1)
	s_mul_i32 s6, s6, s5
	s_mul_hi_u32 s6, s5, s6
	s_delay_alu instid0(SALU_CYCLE_1) | instskip(NEXT) | instid1(SALU_CYCLE_1)
	s_add_co_i32 s5, s5, s6
	s_mul_hi_u32 s4, s8, s5
	s_xor_b32 s5, s23, s29
	s_mul_i32 s6, s4, s3
	s_ashr_i32 s25, s5, 31
	s_sub_co_i32 s5, s8, s6
	s_add_co_i32 s6, s4, 1
	s_sub_co_i32 s7, s5, s3
	s_cmp_ge_u32 s5, s3
	s_cselect_b32 s4, s6, s4
	s_cselect_b32 s5, s7, s5
	s_add_co_i32 s6, s4, 1
	s_cmp_ge_u32 s5, s3
	s_cselect_b32 s3, s6, s4
	s_load_b512 s[4:19], s[0:1], 0x0
	s_xor_b32 s3, s3, s25
	s_delay_alu instid0(SALU_CYCLE_1) | instskip(NEXT) | instid1(SALU_CYCLE_1)
	s_sub_co_i32 s3, s3, s25
	s_abs_i32 s38, s3
	s_delay_alu instid0(SALU_CYCLE_1) | instskip(NEXT) | instid1(SALU_CYCLE_3)
	s_cvt_f32_u32 s25, s38
	v_rcp_iflag_f32_e32 v1, s25
	v_nop
	s_delay_alu instid0(TRANS32_DEP_1)
	v_readfirstlane_b32 s34, v1
	s_wait_kmcnt 0x0
	s_cmp_eq_u64 s[10:11], 0
	s_cbranch_scc1 .LBB36_2
; %bb.1:
	s_abs_i32 s25, s36
	s_abs_i32 s29, s2
	s_cvt_f32_u32 s26, s25
	s_sub_co_i32 s27, 0, s25
	s_delay_alu instid0(SALU_CYCLE_2) | instskip(SKIP_1) | instid1(TRANS32_DEP_1)
	v_rcp_iflag_f32_e32 v1, s26
	v_nop
	v_readfirstlane_b32 s26, v1
	s_mul_f32 s26, s26, 0x4f7ffffe
	s_delay_alu instid0(SALU_CYCLE_3) | instskip(NEXT) | instid1(SALU_CYCLE_3)
	s_cvt_u32_f32 s26, s26
	s_mul_i32 s27, s27, s26
	s_delay_alu instid0(SALU_CYCLE_1) | instskip(NEXT) | instid1(SALU_CYCLE_1)
	s_mul_hi_u32 s27, s26, s27
	s_add_co_i32 s26, s26, s27
	s_delay_alu instid0(SALU_CYCLE_1) | instskip(SKIP_2) | instid1(SALU_CYCLE_1)
	s_mul_hi_u32 s30, s29, s26
	s_load_b64 s[26:27], s[0:1], 0xc8
	s_mul_i32 s30, s30, s25
	s_sub_co_i32 s29, s29, s30
	s_ashr_i32 s30, s2, 31
	s_sub_co_i32 s31, s29, s25
	s_cmp_ge_u32 s29, s25
	s_cselect_b32 s29, s31, s29
	s_delay_alu instid0(SALU_CYCLE_1) | instskip(SKIP_2) | instid1(SALU_CYCLE_1)
	s_sub_co_i32 s31, s29, s25
	s_cmp_ge_u32 s29, s25
	s_cselect_b32 s25, s31, s29
	s_xor_b32 s25, s25, s30
	s_delay_alu instid0(SALU_CYCLE_1) | instskip(NEXT) | instid1(SALU_CYCLE_1)
	s_sub_co_i32 s30, s25, s30
	s_ashr_i32 s31, s30, 31
	s_wait_kmcnt 0x0
	s_mul_u64 s[26:27], s[26:27], s[30:31]
	s_delay_alu instid0(SALU_CYCLE_1)
	s_add_nc_u64 s[30:31], s[10:11], s[26:27]
.LBB36_2:
	s_bfe_u32 s10, ttmp6, 0x4000c
	v_dual_lshrrev_b32 v1, 10, v0 :: v_dual_mov_b32 v9, 0
	s_add_co_i32 s10, s10, 1
	s_and_b32 s11, ttmp6, 15
	s_mul_i32 s10, ttmp9, s10
	s_delay_alu instid0(VALU_DEP_1)
	v_bfe_u32 v1, v1, 1, 9
	s_add_co_i32 s11, s11, s10
	s_cmp_eq_u32 s24, 0
	s_load_b96 s[40:42], s[0:1], 0x70
	s_cselect_b32 s10, ttmp9, s11
	v_and_b32_e32 v47, 0x3ff, v0
	v_lshl_add_u32 v46, s10, 1, v1
	v_bfe_u32 v8, v0, 10, 1
	v_dual_mov_b32 v3, v9 :: v_dual_mov_b32 v11, v9
	s_delay_alu instid0(VALU_DEP_4) | instskip(NEXT) | instid1(VALU_DEP_4)
	v_lshlrev_b32_e32 v10, 4, v47
	v_mul_hi_u32 v1, s20, v46
	s_delay_alu instid0(VALU_DEP_1) | instskip(SKIP_3) | instid1(SALU_CYCLE_1)
	v_dual_lshlrev_b32 v45, 3, v47 :: v_dual_add_nc_u32 v1, v46, v1
	s_wait_kmcnt 0x0
	s_mov_b32 s20, s41
	s_mul_i32 s26, s33, s41
	s_ashr_i32 s27, s26, 31
	v_lshrrev_b32_e32 v1, s21, v1
	s_ashr_i32 s21, s41, 31
	s_ashr_i32 s41, s40, 31
	s_lshr_b64 s[20:21], s[20:21], 2
	s_delay_alu instid0(VALU_DEP_1) | instskip(SKIP_2) | instid1(VALU_DEP_2)
	v_mul_lo_u32 v1, v1, s22
	v_mul_u64_e32 v[4:5], s[20:21], v[8:9]
	s_lshr_b64 s[20:21], s[40:41], 2
	v_sub_nc_u32_e32 v2, v46, v1
	v_bfe_u32 v1, v0, 10, 10
	s_delay_alu instid0(VALU_DEP_2) | instskip(SKIP_1) | instid1(VALU_DEP_2)
	v_mul_u64_e32 v[6:7], s[20:21], v[2:3]
	s_mul_i32 s20, s2, s42
	v_lshlrev_b32_e32 v0, 9, v1
	s_ashr_i32 s21, s20, 31
	s_cmp_eq_u64 s[14:15], 0
	s_add_nc_u64 s[4:5], s[4:5], s[20:21]
	s_delay_alu instid0(SALU_CYCLE_1) | instskip(SKIP_3) | instid1(VALU_DEP_1)
	s_add_nc_u64 s[4:5], s[4:5], s[26:27]
	v_add_nc_u32_e32 v48, 0x4200, v0
	v_lshl_add_u64 v[4:5], v[4:5], 2, s[4:5]
	s_load_b32 s4, s[0:1], 0x40
	v_lshl_add_u64 v[4:5], v[6:7], 2, v[4:5]
	s_delay_alu instid0(VALU_DEP_1)
	v_add_nc_u64_e32 v[14:15], v[4:5], v[10:11]
	s_clause 0x1
	global_load_b128 v[4:7], v[14:15], off
	global_load_b128 v[10:13], v[14:15], off offset:512
	s_wait_loadcnt 0x1
	s_wait_kmcnt 0x0
	v_fma_mixlo_f16 v3, s4, v4, 0
	v_fma_mixlo_f16 v4, s4, v5, 0
	;; [unrolled: 1-line block ×4, first 2 shown]
	s_wait_loadcnt 0x0
	v_fma_mixlo_f16 v7, s4, v10, 0
	v_fma_mixlo_f16 v9, s4, v11, 0
	;; [unrolled: 1-line block ×4, first 2 shown]
	v_dual_lshlrev_b32 v4, 16, v4 :: v_dual_lshlrev_b32 v6, 16, v6
	v_and_b32_e32 v3, 0xffff, v3
	s_delay_alu instid0(VALU_DEP_3) | instskip(SKIP_4) | instid1(VALU_DEP_4)
	v_dual_lshlrev_b32 v9, 16, v9 :: v_dual_lshlrev_b32 v11, 16, v11
	v_and_b32_e32 v7, 0xffff, v7
	v_and_b32_e32 v5, 0xffff, v5
	;; [unrolled: 1-line block ×3, first 2 shown]
	v_or_b32_e32 v3, v4, v3
	v_dual_add_nc_u32 v12, v48, v45 :: v_dual_bitop2_b32 v9, v9, v7 bitop3:0x54
	s_delay_alu instid0(VALU_DEP_4) | instskip(NEXT) | instid1(VALU_DEP_4)
	v_or3_b32 v5, v6, v5, 0
	v_or3_b32 v7, v11, v10, 0
	s_delay_alu instid0(VALU_DEP_4) | instskip(NEXT) | instid1(VALU_DEP_4)
	v_or3_b32 v4, 0, 0, v3
	v_or3_b32 v6, 0, 0, v9
	ds_store_2addr_b64 v12, v[4:5], v[6:7] offset1:32
	s_wait_dscnt 0x0
	s_barrier_signal -1
	s_barrier_wait -1
	s_cbranch_scc1 .LBB36_4
; %bb.3:
	s_load_b32 s4, s[0:1], 0xd0
	s_wait_kmcnt 0x0
	s_mul_i32 s4, s4, s2
	s_delay_alu instid0(SALU_CYCLE_1)
	s_add_co_i32 s4, s4, s10
	s_load_b32 s28, s[14:15], s4 offset:0x0 scale_offset
.LBB36_4:
	s_wait_xcnt 0x0
	s_bfe_u32 s4, ttmp6, 0x40010
	s_and_b32 s5, ttmp7, 0xffff
	s_add_co_i32 s4, s4, 1
	s_bfe_u32 s10, ttmp6, 0x40004
	s_mul_i32 s4, s5, s4
	v_lshlrev_b32_e32 v9, 2, v47
	s_add_co_i32 s10, s10, s4
	s_cmp_eq_u32 s24, 0
	v_mbcnt_lo_u32_b32 v49, -1, 0
	s_cselect_b32 s29, s5, s10
	s_mov_b32 s5, 0
	s_lshl_b32 s4, s29, 5
	s_wait_kmcnt 0x0
	s_cmp_lt_i32 s4, s28
	s_cbranch_scc1 .LBB36_7
; %bb.5:
	v_mbcnt_lo_u32_b32 v3, -1, 0
	s_delay_alu instid0(VALU_DEP_1)
	v_dual_mov_b32 v51, 32 :: v_dual_bitop2_b32 v56, 16, v3 bitop3:0x14
	v_xor_b32_e32 v55, 8, v3
	v_xor_b32_e32 v54, 4, v3
	;; [unrolled: 1-line block ×4, first 2 shown]
	s_and_not1_b32 vcc_lo, exec_lo, s5
	s_cbranch_vccz .LBB36_8
; %bb.6:
	v_dual_mov_b32 v82, 0 :: v_dual_mov_b32 v80, 0
	v_dual_mov_b32 v44, 0xfeffffff :: v_dual_mov_b32 v81, 0
	;; [unrolled: 1-line block ×3, first 2 shown]
	s_branch .LBB36_11
.LBB36_7:
                                        ; implicit-def: $vgpr3
                                        ; implicit-def: $vgpr51
                                        ; implicit-def: $vgpr56
                                        ; implicit-def: $vgpr55
                                        ; implicit-def: $vgpr54
                                        ; implicit-def: $vgpr53
                                        ; implicit-def: $vgpr52
.LBB36_8:
	s_clause 0x1
	s_load_b64 s[20:21], s[0:1], 0x8c
	s_load_b128 s[24:27], s[0:1], 0x98
	s_mul_f32 s5, s34, 0x4f7ffffe
	s_sub_co_i32 s10, 0, s38
	s_ashr_i32 s15, s3, 31
	s_abs_i32 s34, s33
	s_cvt_u32_f32 s5, s5
	s_mov_b32 s11, s35
	s_ashr_i32 s14, s33, 31
	s_load_b64 s[40:41], s[0:1], 0xa8
	s_mul_i32 s10, s10, s5
	s_xor_b32 s15, s14, s15
	s_mul_hi_u32 s3, s5, s10
	v_lshl_add_u32 v61, v1, 6, 0x4a00
	s_add_co_i32 s10, s5, s3
	s_ashr_i32 s5, s37, 1
	s_mul_u64 s[10:11], s[34:35], s[10:11]
	s_ashr_i32 s3, s2, 31
	s_mul_i32 s10, s11, s38
	s_add_co_i32 s35, s11, 1
	s_wait_kmcnt 0x0
	s_ashr_i32 s14, s20, 2
	s_sub_co_i32 s34, s34, s10
	v_mul_lo_u32 v10, s14, v1
	s_ashr_i32 s10, s26, 2
	s_sub_co_i32 s36, s34, s38
	s_cmp_ge_u32 s34, s38
	v_mul_lo_u32 v18, s10, v1
	s_cselect_b32 s11, s35, s11
	s_cselect_b32 s34, s36, s34
	s_add_co_i32 s35, s11, 1
	s_cmp_ge_u32 s34, s38
	s_mul_u64 s[24:25], s[24:25], s[2:3]
	s_cselect_b32 s11, s35, s11
	s_and_b32 s36, s20, -4
	s_delay_alu instid0(SALU_CYCLE_1)
	v_dual_lshlrev_b32 v12, 2, v9 :: v_dual_add_nc_u32 v14, s36, v10
	s_mul_u64 s[34:35], s[40:41], s[2:3]
	s_xor_b32 s3, s11, s15
	s_add_nc_u64 s[6:7], s[6:7], s[24:25]
	s_sub_co_i32 s3, s3, s15
	v_add_nc_u32_e32 v16, s36, v14
	v_ashrrev_i32_e32 v11, 31, v10
	s_mul_i32 s20, s3, s21
	s_mul_i32 s24, s3, s27
	s_and_b32 s3, s26, -4
	v_add_nc_u32_e32 v20, s36, v16
	v_mad_u32_u24 v50, 0x210, v1, v12
	v_mad_u32 v63, v2, s5, v47
	v_lshl_add_u32 v1, v1, 9, v12
	s_delay_alu instid0(VALU_DEP_4) | instskip(NEXT) | instid1(VALU_DEP_4)
	v_dual_mov_b32 v13, 0 :: v_dual_add_nc_u32 v22, s36, v20
	v_add_nc_u32_e32 v58, 0x2940, v50
	v_dual_ashrrev_i32 v15, 31, v14 :: v_dual_ashrrev_i32 v17, 31, v16
	s_delay_alu instid0(VALU_DEP_3) | instskip(SKIP_3) | instid1(VALU_DEP_4)
	v_dual_ashrrev_i32 v21, 31, v20 :: v_dual_add_nc_u32 v24, s36, v22
	v_add_nc_u32_e32 v26, s3, v18
	v_ashrrev_i32_e32 v23, 31, v22
	v_dual_mov_b32 v84, v13 :: v_dual_add_nc_u32 v57, 0x2100, v50
	v_dual_add_nc_u32 v28, s36, v24 :: v_dual_ashrrev_i32 v25, 31, v24
	s_delay_alu instid0(VALU_DEP_4) | instskip(SKIP_1) | instid1(VALU_DEP_3)
	v_add_nc_u32_e32 v30, s3, v26
	v_dual_mov_b32 v82, v13 :: v_dual_add_nc_u32 v59, 0x3180, v50
	v_dual_add_nc_u32 v32, s36, v28 :: v_dual_ashrrev_i32 v29, 31, v28
	s_delay_alu instid0(VALU_DEP_3) | instskip(SKIP_1) | instid1(VALU_DEP_3)
	v_add_nc_u32_e32 v34, s3, v30
	v_dual_mov_b32 v51, 32 :: v_dual_add_nc_u32 v60, 0x39c0, v50
	v_ashrrev_i32_e32 v33, 31, v32
	v_mul_u32_u24_e32 v62, 0x210, v47
	s_delay_alu instid0(VALU_DEP_4) | instskip(SKIP_3) | instid1(VALU_DEP_4)
	v_add_nc_u32_e32 v36, s3, v34
	v_ashrrev_i32_e32 v27, 31, v26
	v_lshl_add_u32 v64, v47, 1, v61
	v_dual_add_nc_u32 v65, v0, v12 :: v_dual_ashrrev_i32 v19, 31, v18
	v_add_nc_u32_e32 v38, s3, v36
	v_dual_mov_b32 v85, v13 :: v_dual_add_nc_u32 v66, 0x800, v1
	v_dual_mov_b32 v80, v13 :: v_dual_add_nc_u32 v67, 0x1000, v1
	s_delay_alu instid0(VALU_DEP_3) | instskip(SKIP_2) | instid1(VALU_DEP_3)
	v_dual_add_nc_u32 v40, s3, v38 :: v_dual_ashrrev_i32 v39, 31, v38
	v_ashrrev_i32_e32 v35, 31, v34
	v_dual_ashrrev_i32 v31, 31, v30 :: v_dual_ashrrev_i32 v37, 31, v36
	v_add_nc_u32_e32 v42, s3, v40
	v_dual_mov_b32 v81, v13 :: v_dual_add_nc_u32 v68, 0x1800, v1
	v_add_nc_u32_e32 v69, 0x2000, v1
	v_add_nc_u32_e32 v70, 0x2800, v1
	;; [unrolled: 1-line block ×3, first 2 shown]
	v_dual_ashrrev_i32 v41, 31, v40 :: v_dual_ashrrev_i32 v43, 31, v42
	v_add_nc_u32_e32 v72, 0x3800, v1
	v_xor_b32_e32 v56, 16, v49
	v_xor_b32_e32 v55, 8, v49
	;; [unrolled: 1-line block ×5, first 2 shown]
	v_add_nc_u32_e32 v73, 0x800, v45
	v_add_nc_u32_e32 v74, 0x1000, v45
	;; [unrolled: 1-line block ×7, first 2 shown]
	v_mov_b32_e32 v44, 0xfeffffff
	s_add_nc_u64 s[8:9], s[8:9], s[34:35]
	s_ashr_i32 s21, s20, 31
	s_ashr_i32 s25, s24, 31
	s_add_nc_u64 s[6:7], s[6:7], s[20:21]
	s_add_nc_u64 s[8:9], s[8:9], s[24:25]
	s_ashr_i32 s15, s14, 31
	s_ashr_i32 s11, s10, 31
	s_add_nc_u64 s[20:21], s[0:1], 0xd0
.LBB36_9:                               ; =>This Inner Loop Header: Depth=1
	v_cmp_gt_i32_e32 vcc_lo, 32, v56
	v_add_nc_u32_e32 v1, s4, v63
	s_ashr_i32 s5, s4, 31
	v_dual_mov_b32 v2, 0 :: v_dual_mov_b32 v0, v44
	v_cndmask_b32_e32 v3, v49, v56, vcc_lo
	v_cmp_gt_i32_e32 vcc_lo, 32, v55
	s_mul_u64 s[24:25], s[4:5], s[14:15]
	s_mul_u64 s[26:27], s[4:5], s[10:11]
	s_lshl_b64 s[24:25], s[24:25], 2
	v_dual_max_num_f32 v44, v0, v0 :: v_dual_lshlrev_b32 v83, 2, v3
	v_cndmask_b32_e32 v4, v49, v55, vcc_lo
	v_cmp_gt_i32_e32 vcc_lo, 32, v54
	s_add_nc_u64 s[34:35], s[6:7], s[24:25]
	v_add_nc_u32_e32 v3, 0x840, v50
	s_lshl_b64 s[26:27], s[26:27], 2
	v_cndmask_b32_e32 v5, v49, v54, vcc_lo
	v_cmp_gt_i32_e32 vcc_lo, 32, v53
	v_lshlrev_b32_e32 v98, 2, v4
	s_add_nc_u64 s[24:25], s[8:9], s[26:27]
	s_delay_alu instid0(VALU_DEP_3)
	v_lshlrev_b32_e32 v99, 2, v5
	v_cndmask_b32_e32 v6, v49, v53, vcc_lo
	v_cmp_gt_i32_e32 vcc_lo, 32, v52
	v_lshl_add_u64 v[4:5], v[10:11], 2, s[34:35]
	v_lshl_add_u64 v[92:93], v[30:31], 2, s[24:25]
	;; [unrolled: 1-line block ×4, first 2 shown]
	v_dual_cndmask_b32 v7, v49, v52 :: v_dual_lshlrev_b32 v100, 2, v6
	v_add_nc_u64_e32 v[4:5], v[4:5], v[12:13]
	s_delay_alu instid0(VALU_DEP_2) | instskip(SKIP_1) | instid1(VALU_DEP_1)
	v_lshlrev_b32_e32 v101, 2, v7
	v_lshl_add_u64 v[6:7], v[14:15], 2, s[34:35]
	v_add_nc_u64_e32 v[86:87], v[6:7], v[12:13]
	s_clause 0x1
	global_load_b128 v[4:7], v[4:5], off
	global_load_b128 v[86:89], v[86:87], off
	s_wait_loadcnt 0x1
	ds_store_b128 v50, v[4:7]
	v_lshl_add_u64 v[4:5], v[16:17], 2, s[34:35]
	v_lshl_add_u64 v[6:7], v[20:21], 2, s[34:35]
	s_wait_loadcnt 0x0
	ds_store_b128 v3, v[86:89]
	v_add_nc_u32_e32 v3, 0x1080, v50
	v_add_nc_u64_e32 v[4:5], v[4:5], v[12:13]
	v_add_nc_u64_e32 v[90:91], v[6:7], v[12:13]
	s_clause 0x1
	global_load_b128 v[4:7], v[4:5], off
	global_load_b128 v[86:89], v[90:91], off
	s_wait_loadcnt 0x1
	ds_store_b128 v3, v[4:7]
	v_lshl_add_u64 v[4:5], v[22:23], 2, s[34:35]
	v_lshl_add_u64 v[6:7], v[24:25], 2, s[34:35]
	v_add_nc_u32_e32 v3, 0x18c0, v50
	s_delay_alu instid0(VALU_DEP_3) | instskip(SKIP_1) | instid1(VALU_DEP_3)
	v_add_nc_u64_e32 v[4:5], v[4:5], v[12:13]
	s_wait_xcnt 0x0
	v_add_nc_u64_e32 v[90:91], v[6:7], v[12:13]
	s_wait_loadcnt 0x0
	ds_store_b128 v3, v[86:89]
	s_clause 0x1
	global_load_b128 v[4:7], v[4:5], off
	global_load_b128 v[86:89], v[90:91], off
	s_wait_loadcnt 0x1
	ds_store_b128 v57, v[4:7]
	v_lshl_add_u64 v[4:5], v[28:29], 2, s[34:35]
	v_lshl_add_u64 v[6:7], v[32:33], 2, s[34:35]
	s_wait_loadcnt 0x0
	ds_store_b128 v58, v[86:89]
	v_add_nc_u64_e32 v[4:5], v[4:5], v[12:13]
	v_add_nc_u64_e32 v[90:91], v[6:7], v[12:13]
	s_clause 0x1
	global_load_b128 v[4:7], v[4:5], off
	global_load_b128 v[86:89], v[90:91], off
	s_wait_loadcnt 0x1
	ds_store_b128 v59, v[4:7]
	s_wait_loadcnt 0x0
	ds_store_b128 v60, v[86:89]
	s_wait_dscnt 0x0
	s_barrier_signal -1
	s_barrier_wait -1
	ds_load_b128 v[4:7], v62
	ds_load_b128 v[86:89], v48
	s_wait_dscnt 0x0
	;;#ASMSTART
	v_dot2_f32_f16 v2, v4, v86, v2
	;;#ASMEND
	;;#ASMSTART
	v_dot2_f32_f16 v2, v5, v87, v2
	;;#ASMEND
	;;#ASMSTART
	v_dot2_f32_f16 v2, v6, v88, v2
	;;#ASMEND
	;;#ASMSTART
	v_dot2_f32_f16 v2, v7, v89, v2
	;;#ASMEND
	ds_load_b128 v[4:7], v62 offset:16
	ds_load_b128 v[86:89], v48 offset:16
	s_wait_dscnt 0x0
	;;#ASMSTART
	v_dot2_f32_f16 v2, v4, v86, v2
	;;#ASMEND
	;;#ASMSTART
	v_dot2_f32_f16 v2, v5, v87, v2
	;;#ASMEND
	;;#ASMSTART
	v_dot2_f32_f16 v2, v6, v88, v2
	;;#ASMEND
	;;#ASMSTART
	v_dot2_f32_f16 v2, v7, v89, v2
	;;#ASMEND
	ds_load_b128 v[4:7], v62 offset:32
	ds_load_b128 v[86:89], v48 offset:32
	;; [unrolled: 15-line block ×31, first 2 shown]
	s_wait_dscnt 0x0
	;;#ASMSTART
	v_dot2_f32_f16 v2, v4, v86, v2
	;;#ASMEND
	;;#ASMSTART
	v_dot2_f32_f16 v2, v5, v87, v2
	;;#ASMEND
	;; [unrolled: 3-line block ×4, first 2 shown]
	global_load_u16 v1, v1, s[30:31] scale_offset
	v_lshl_add_u64 v[4:5], v[18:19], 2, s[24:25]
	v_lshl_add_u64 v[6:7], v[26:27], 2, s[24:25]
	s_wait_loadcnt 0x0
	s_barrier_signal -1
	s_barrier_wait -1
	s_delay_alu instid0(VALU_DEP_1) | instskip(SKIP_3) | instid1(VALU_DEP_1)
	v_add_nc_u64_e32 v[6:7], v[6:7], v[12:13]
	global_load_b128 v[88:91], v[6:7], off
	s_wait_xcnt 0x0
	v_lshl_add_u64 v[6:7], v[38:39], 2, s[24:25]
	v_add_nc_u64_e32 v[6:7], v[6:7], v[12:13]
	v_cvt_f32_f16_e32 v1, v1
	s_delay_alu instid0(VALU_DEP_1) | instskip(NEXT) | instid1(VALU_DEP_1)
	v_add_f32_e32 v1, v2, v1
	v_add_f32_e32 v2, 0x40051340, v1
	s_delay_alu instid0(VALU_DEP_1) | instskip(SKIP_4) | instid1(VALU_DEP_1)
	v_max_num_f32_e32 v44, v44, v2
	v_add_nc_u64_e32 v[2:3], v[4:5], v[12:13]
	ds_bpermute_b32 v4, v83, v44
	s_wait_dscnt 0x0
	v_max_num_f32_e32 v4, v4, v4
	v_max_num_f32_e32 v4, v44, v4
	ds_bpermute_b32 v5, v98, v4
	s_wait_dscnt 0x0
	v_max_num_f32_e32 v5, v5, v5
	s_delay_alu instid0(VALU_DEP_1) | instskip(SKIP_4) | instid1(VALU_DEP_1)
	v_max_num_f32_e32 v4, v4, v5
	ds_bpermute_b32 v5, v99, v4
	v_lshl_add_u64 v[98:99], v[40:41], 2, s[24:25]
	s_wait_dscnt 0x0
	v_max_num_f32_e32 v5, v5, v5
	v_max_num_f32_e32 v4, v4, v5
	ds_bpermute_b32 v5, v100, v4
	s_wait_dscnt 0x0
	v_max_num_f32_e32 v5, v5, v5
	s_delay_alu instid0(VALU_DEP_1) | instskip(SKIP_3) | instid1(VALU_DEP_1)
	v_max_num_f32_e32 v4, v4, v5
	ds_bpermute_b32 v5, v101, v4
	s_wait_dscnt 0x0
	v_max_num_f32_e32 v5, v5, v5
	v_max_num_f32_e32 v44, v4, v5
	s_delay_alu instid0(VALU_DEP_1) | instskip(NEXT) | instid1(VALU_DEP_1)
	v_sub_f32_e32 v1, v1, v44
	v_mul_f32_e32 v4, 0x3fb8aa3b, v1
	v_cmp_ngt_f32_e32 vcc_lo, 0xc2ce8ed0, v1
	s_delay_alu instid0(VALU_DEP_2) | instskip(SKIP_1) | instid1(VALU_DEP_1)
	v_fma_f32 v5, 0x3fb8aa3b, v1, -v4
	v_rndne_f32_e32 v83, v4
	v_dual_fmac_f32 v5, 0x32a5705f, v1 :: v_dual_sub_f32 v4, v4, v83
	v_cvt_i32_f32_e32 v83, v83
	s_delay_alu instid0(VALU_DEP_2) | instskip(SKIP_3) | instid1(TRANS32_DEP_1)
	v_add_f32_e32 v86, v4, v5
	global_load_b128 v[2:5], v[2:3], off
	v_exp_f32_e32 v86, v86
	v_nop
	v_ldexp_f32 v83, v86, v83
	s_delay_alu instid0(VALU_DEP_1) | instskip(SKIP_1) | instid1(VALU_DEP_2)
	v_cndmask_b32_e32 v83, 0, v83, vcc_lo
	v_cmp_nlt_f32_e32 vcc_lo, 0x42b17218, v1
	v_cndmask_b32_e32 v86, 0x7f800000, v83, vcc_lo
	s_delay_alu instid0(VALU_DEP_1)
	v_cvt_f16_f32_e32 v1, v86
	ds_store_b16 v64, v1
	s_wait_loadcnt 0x0
	ds_store_b128 v65, v[2:5]
	v_add_nc_u64_e32 v[2:3], v[92:93], v[12:13]
	v_add_nc_u64_e32 v[92:93], v[94:95], v[12:13]
	ds_store_b128 v66, v[88:91]
	s_clause 0x1
	global_load_b128 v[2:5], v[2:3], off
	global_load_b128 v[88:91], v[92:93], off
	s_wait_xcnt 0x0
	v_add_nc_u64_e32 v[92:93], v[98:99], v[12:13]
	s_wait_loadcnt 0x1
	ds_store_b128 v67, v[2:5]
	v_add_nc_u64_e32 v[4:5], v[96:97], v[12:13]
	v_lshl_add_u64 v[2:3], v[42:43], 2, s[24:25]
	s_wait_loadcnt 0x0
	ds_store_b128 v68, v[88:91]
	v_add_nc_u64_e32 v[96:97], v[2:3], v[12:13]
	s_clause 0x2
	global_load_b128 v[2:5], v[4:5], off
	global_load_b128 v[88:91], v[6:7], off
	;; [unrolled: 1-line block ×3, first 2 shown]
	s_wait_xcnt 0x1
	v_sub_f32_e32 v6, v0, v44
	s_delay_alu instid0(VALU_DEP_1) | instskip(SKIP_1) | instid1(VALU_DEP_2)
	v_mul_f32_e32 v0, 0x3fb8aa3b, v6
	v_cmp_ngt_f32_e32 vcc_lo, 0xc2ce8ed0, v6
	v_fma_f32 v1, 0x3fb8aa3b, v6, -v0
	s_wait_loadcnt 0x2
	ds_store_b128 v69, v[2:5]
	v_rndne_f32_e32 v4, v0
	s_delay_alu instid0(VALU_DEP_1) | instskip(SKIP_1) | instid1(VALU_DEP_2)
	v_dual_fmac_f32 v1, 0x32a5705f, v6 :: v_dual_sub_f32 v0, v0, v4
	v_cvt_i32_f32_e32 v4, v4
	v_add_f32_e32 v5, v0, v1
	global_load_b128 v[0:3], v[96:97], off
	s_wait_loadcnt 0x2
	ds_store_b128 v70, v[88:91]
	s_wait_loadcnt 0x1
	ds_store_b128 v71, v[92:95]
	;; [unrolled: 2-line block ×3, first 2 shown]
	v_exp_f32_e32 v5, v5
	s_wait_dscnt 0x0
	s_barrier_signal -1
	s_barrier_wait -1
	v_nop
	s_delay_alu instid0(TRANS32_DEP_1) | instskip(NEXT) | instid1(VALU_DEP_1)
	v_ldexp_f32 v4, v5, v4
	v_cndmask_b32_e32 v4, 0, v4, vcc_lo
	v_cmp_nlt_f32_e32 vcc_lo, 0x42b17218, v6
	s_delay_alu instid0(VALU_DEP_2) | instskip(SKIP_4) | instid1(VALU_DEP_1)
	v_cndmask_b32_e32 v83, 0x7f800000, v4, vcc_lo
	ds_load_b128 v[4:7], v61
	ds_load_2addr_b64 v[90:93], v45 offset1:32
	ds_load_b128 v[0:3], v61 offset:16
	v_cvt_f16_f32_e32 v87, v83
	v_and_b32_e32 v87, 0xffff, v87
	s_delay_alu instid0(VALU_DEP_1) | instskip(NEXT) | instid1(VALU_DEP_1)
	v_mul_u32_u24_e32 v87, 0x10001, v87
	v_pk_mul_f16 v88, v84, v87
	s_wait_dscnt 0x2
	v_and_b32_e32 v84, 0xffff, v4
	v_pk_mul_f16 v85, v85, v87
	v_lshrrev_b32_e32 v4, 16, v4
	s_delay_alu instid0(VALU_DEP_3) | instskip(NEXT) | instid1(VALU_DEP_2)
	v_mul_u32_u24_e32 v94, 0x10001, v84
	v_mul_u32_u24_e32 v4, 0x10001, v4
	s_wait_dscnt 0x1
	s_delay_alu instid0(VALU_DEP_2)
	v_pk_fma_f16 v84, v92, v94, v85
	v_pk_fma_f16 v85, v93, v94, v88
	v_pk_mul_f16 v89, v90, v94
	v_pk_mul_f16 v88, v91, v94
	ds_load_2addr_b64 v[92:95], v45 offset0:64 offset1:96
	v_mov_b32_e32 v90, v80
	v_and_b32_e32 v91, 0xffff, v7
	v_pk_fma_f16 v82, v82, v87, v89
	v_pk_fma_f16 v81, v81, v87, v88
	s_delay_alu instid0(VALU_DEP_3)
	v_mul_u32_u24_e32 v91, 0x10001, v91
	s_wait_dscnt 0x0
	v_pk_fma_f16 v88, v94, v4, v84
	v_pk_fma_f16 v89, v95, v4, v85
	;; [unrolled: 1-line block ×4, first 2 shown]
	v_and_b32_e32 v81, 0xffff, v5
	v_dual_mov_b32 v80, v86 :: v_dual_lshrrev_b32 v5, 16, v5
	ds_load_2addr_b64 v[84:87], v45 offset0:128 offset1:160
	v_lshrrev_b32_e32 v92, 16, v7
	v_mul_u32_u24_e32 v81, 0x10001, v81
	v_mul_u32_u24_e32 v5, 0x10001, v5
	v_fmac_f32_e32 v80, v90, v83
	s_wait_dscnt 0x0
	s_delay_alu instid0(VALU_DEP_3)
	v_pk_fma_f16 v88, v86, v81, v88
	v_pk_fma_f16 v89, v87, v81, v89
	v_pk_fma_f16 v82, v84, v81, v82
	v_pk_fma_f16 v4, v85, v81, v4
	ds_load_2addr_b64 v[84:87], v45 offset0:192 offset1:224
	s_wait_dscnt 0x0
	v_pk_fma_f16 v81, v86, v5, v88
	v_pk_fma_f16 v88, v87, v5, v89
	;; [unrolled: 1-line block ×4, first 2 shown]
	ds_load_2addr_b64 v[84:87], v73 offset1:32
	v_and_b32_e32 v5, 0xffff, v6
	s_delay_alu instid0(VALU_DEP_1) | instskip(SKIP_1) | instid1(VALU_DEP_1)
	v_mul_u32_u24_e32 v5, 0x10001, v5
	s_wait_dscnt 0x0
	v_pk_fma_f16 v81, v86, v5, v81
	v_pk_fma_f16 v88, v87, v5, v88
	;; [unrolled: 1-line block ×4, first 2 shown]
	ds_load_2addr_b64 v[84:87], v73 offset0:64 offset1:96
	v_lshrrev_b32_e32 v5, 16, v6
	s_delay_alu instid0(VALU_DEP_1) | instskip(SKIP_1) | instid1(VALU_DEP_1)
	v_mul_u32_u24_e32 v5, 0x10001, v5
	s_wait_dscnt 0x0
	v_pk_fma_f16 v81, v86, v5, v81
	v_pk_fma_f16 v88, v87, v5, v88
	;; [unrolled: 1-line block ×4, first 2 shown]
	ds_load_2addr_b64 v[84:87], v73 offset0:128 offset1:160
	ds_load_2addr_b64 v[4:7], v73 offset0:192 offset1:224
	s_wait_dscnt 0x1
	v_pk_fma_f16 v81, v86, v91, v81
	v_pk_fma_f16 v88, v87, v91, v88
	;; [unrolled: 1-line block ×4, first 2 shown]
	ds_load_2addr_b64 v[84:87], v74 offset1:32
	v_mul_u32_u24_e32 v91, 0x10001, v92
	ds_load_2addr_b64 v[92:95], v75 offset0:192 offset1:224
	s_wait_dscnt 0x2
	v_pk_fma_f16 v81, v6, v91, v81
	v_pk_fma_f16 v88, v7, v91, v88
	;; [unrolled: 1-line block ×4, first 2 shown]
	ds_load_2addr_b64 v[4:7], v74 offset0:64 offset1:96
	v_and_b32_e32 v91, 0xffff, v0
	v_lshrrev_b32_e32 v0, 16, v0
	s_delay_alu instid0(VALU_DEP_2) | instskip(NEXT) | instid1(VALU_DEP_2)
	v_mul_u32_u24_e32 v91, 0x10001, v91
	v_mul_u32_u24_e32 v0, 0x10001, v0
	s_wait_dscnt 0x2
	s_delay_alu instid0(VALU_DEP_2)
	v_pk_fma_f16 v81, v86, v91, v81
	v_pk_fma_f16 v88, v87, v91, v88
	v_pk_fma_f16 v82, v84, v91, v82
	v_pk_fma_f16 v89, v85, v91, v89
	ds_load_2addr_b64 v[84:87], v74 offset0:128 offset1:160
	s_wait_dscnt 0x1
	v_pk_fma_f16 v81, v6, v0, v81
	v_pk_fma_f16 v88, v7, v0, v88
	;; [unrolled: 1-line block ×4, first 2 shown]
	ds_load_2addr_b64 v[4:7], v74 offset0:192 offset1:224
	v_and_b32_e32 v89, 0xffff, v1
	v_lshrrev_b32_e32 v1, 16, v1
	s_delay_alu instid0(VALU_DEP_2) | instskip(NEXT) | instid1(VALU_DEP_2)
	v_mul_u32_u24_e32 v89, 0x10001, v89
	v_mul_u32_u24_e32 v1, 0x10001, v1
	s_wait_dscnt 0x1
	s_delay_alu instid0(VALU_DEP_2)
	v_pk_fma_f16 v81, v86, v89, v81
	v_pk_fma_f16 v88, v87, v89, v88
	v_pk_fma_f16 v82, v84, v89, v82
	v_pk_fma_f16 v0, v85, v89, v0
	ds_load_2addr_b64 v[84:87], v75 offset1:32
	s_wait_dscnt 0x1
	v_pk_fma_f16 v81, v6, v1, v81
	v_pk_fma_f16 v88, v7, v1, v88
	;; [unrolled: 1-line block ×4, first 2 shown]
	ds_load_2addr_b64 v[4:7], v75 offset0:64 offset1:96
	v_and_b32_e32 v1, 0xffff, v2
	s_delay_alu instid0(VALU_DEP_1) | instskip(SKIP_1) | instid1(VALU_DEP_1)
	v_mul_u32_u24_e32 v1, 0x10001, v1
	s_wait_dscnt 0x1
	v_pk_fma_f16 v81, v86, v1, v81
	v_pk_fma_f16 v88, v87, v1, v88
	;; [unrolled: 1-line block ×4, first 2 shown]
	ds_load_2addr_b64 v[84:87], v75 offset0:128 offset1:160
	v_lshrrev_b32_e32 v1, 16, v2
	s_delay_alu instid0(VALU_DEP_1) | instskip(SKIP_1) | instid1(VALU_DEP_1)
	v_mul_u32_u24_e32 v1, 0x10001, v1
	s_wait_dscnt 0x1
	v_pk_fma_f16 v2, v6, v1, v81
	v_pk_fma_f16 v81, v7, v1, v88
	;; [unrolled: 1-line block ×4, first 2 shown]
	v_and_b32_e32 v1, 0xffff, v3
	ds_load_b128 v[4:7], v61 offset:32
	v_lshrrev_b32_e32 v3, 16, v3
	v_mul_u32_u24_e32 v1, 0x10001, v1
	s_wait_dscnt 0x1
	s_delay_alu instid0(VALU_DEP_1)
	v_pk_fma_f16 v2, v86, v1, v2
	v_pk_fma_f16 v81, v87, v1, v81
	;; [unrolled: 1-line block ×4, first 2 shown]
	ds_load_2addr_b64 v[84:87], v76 offset1:32
	v_mul_u32_u24_e32 v1, 0x10001, v3
	s_delay_alu instid0(VALU_DEP_1)
	v_pk_fma_f16 v88, v94, v1, v2
	v_pk_fma_f16 v81, v95, v1, v81
	;; [unrolled: 1-line block ×4, first 2 shown]
	ds_load_b128 v[0:3], v61 offset:48
	s_wait_dscnt 0x2
	v_and_b32_e32 v91, 0xffff, v4
	v_lshrrev_b32_e32 v4, 16, v4
	s_delay_alu instid0(VALU_DEP_2) | instskip(NEXT) | instid1(VALU_DEP_2)
	v_mul_u32_u24_e32 v91, 0x10001, v91
	v_mul_u32_u24_e32 v4, 0x10001, v4
	s_wait_dscnt 0x1
	s_delay_alu instid0(VALU_DEP_2)
	v_pk_fma_f16 v88, v86, v91, v88
	v_pk_fma_f16 v81, v87, v91, v81
	;; [unrolled: 1-line block ×4, first 2 shown]
	ds_load_2addr_b64 v[84:87], v76 offset0:64 offset1:96
	s_wait_dscnt 0x1
	v_lshrrev_b32_e32 v92, 16, v3
	s_wait_dscnt 0x0
	v_pk_fma_f16 v88, v86, v4, v88
	v_pk_fma_f16 v81, v87, v4, v81
	;; [unrolled: 1-line block ×4, first 2 shown]
	ds_load_2addr_b64 v[84:87], v76 offset0:128 offset1:160
	v_and_b32_e32 v89, 0xffff, v5
	v_lshrrev_b32_e32 v5, 16, v5
	s_delay_alu instid0(VALU_DEP_2) | instskip(NEXT) | instid1(VALU_DEP_2)
	v_mul_u32_u24_e32 v89, 0x10001, v89
	v_mul_u32_u24_e32 v5, 0x10001, v5
	s_wait_dscnt 0x0
	s_delay_alu instid0(VALU_DEP_2)
	v_pk_fma_f16 v88, v86, v89, v88
	v_pk_fma_f16 v81, v87, v89, v81
	;; [unrolled: 1-line block ×4, first 2 shown]
	ds_load_2addr_b64 v[84:87], v76 offset0:192 offset1:224
	s_wait_dscnt 0x0
	v_pk_fma_f16 v88, v86, v5, v88
	v_pk_fma_f16 v81, v87, v5, v81
	;; [unrolled: 1-line block ×4, first 2 shown]
	ds_load_2addr_b64 v[84:87], v77 offset1:32
	v_and_b32_e32 v5, 0xffff, v6
	s_delay_alu instid0(VALU_DEP_1) | instskip(SKIP_1) | instid1(VALU_DEP_1)
	v_mul_u32_u24_e32 v5, 0x10001, v5
	s_wait_dscnt 0x0
	v_pk_fma_f16 v88, v86, v5, v88
	v_pk_fma_f16 v81, v87, v5, v81
	;; [unrolled: 1-line block ×4, first 2 shown]
	ds_load_2addr_b64 v[84:87], v77 offset0:64 offset1:96
	v_lshrrev_b32_e32 v5, 16, v6
	s_delay_alu instid0(VALU_DEP_1) | instskip(SKIP_1) | instid1(VALU_DEP_1)
	v_mul_u32_u24_e32 v5, 0x10001, v5
	s_wait_dscnt 0x0
	v_pk_fma_f16 v6, v86, v5, v88
	v_pk_fma_f16 v81, v87, v5, v81
	v_pk_fma_f16 v82, v84, v5, v82
	v_pk_fma_f16 v4, v85, v5, v4
	ds_load_2addr_b64 v[84:87], v77 offset0:128 offset1:160
	v_and_b32_e32 v5, 0xffff, v7
	ds_load_2addr_b64 v[88:91], v78 offset1:32
	v_mul_u32_u24_e32 v5, 0x10001, v5
	s_wait_dscnt 0x1
	s_delay_alu instid0(VALU_DEP_1)
	v_pk_fma_f16 v6, v86, v5, v6
	v_pk_fma_f16 v81, v87, v5, v81
	v_pk_fma_f16 v82, v84, v5, v82
	v_pk_fma_f16 v4, v85, v5, v4
	ds_load_2addr_b64 v[84:87], v77 offset0:192 offset1:224
	v_lshrrev_b32_e32 v5, 16, v7
	s_delay_alu instid0(VALU_DEP_1) | instskip(SKIP_1) | instid1(VALU_DEP_1)
	v_mul_u32_u24_e32 v5, 0x10001, v5
	s_wait_dscnt 0x0
	v_pk_fma_f16 v83, v86, v5, v6
	v_pk_fma_f16 v81, v87, v5, v81
	;; [unrolled: 1-line block ×4, first 2 shown]
	ds_load_2addr_b64 v[4:7], v78 offset0:64 offset1:96
	v_and_b32_e32 v85, 0xffff, v0
	v_lshrrev_b32_e32 v0, 16, v0
	s_delay_alu instid0(VALU_DEP_2) | instskip(NEXT) | instid1(VALU_DEP_2)
	v_mul_u32_u24_e32 v85, 0x10001, v85
	v_mul_u32_u24_e32 v0, 0x10001, v0
	s_delay_alu instid0(VALU_DEP_2)
	v_pk_fma_f16 v86, v90, v85, v83
	v_pk_fma_f16 v81, v91, v85, v81
	;; [unrolled: 1-line block ×4, first 2 shown]
	ds_load_2addr_b64 v[82:85], v78 offset0:128 offset1:160
	v_lshrrev_b32_e32 v90, 16, v2
	v_and_b32_e32 v89, 0xffff, v2
	v_and_b32_e32 v91, 0xffff, v3
	s_wait_dscnt 0x1
	v_pk_fma_f16 v86, v6, v0, v86
	v_pk_fma_f16 v81, v7, v0, v81
	;; [unrolled: 1-line block ×4, first 2 shown]
	v_and_b32_e32 v88, 0xffff, v1
	ds_load_2addr_b64 v[4:7], v78 offset0:192 offset1:224
	v_lshrrev_b32_e32 v1, 16, v1
	v_mul_u32_u24_e32 v89, 0x10001, v89
	v_mul_u32_u24_e32 v88, 0x10001, v88
	s_delay_alu instid0(VALU_DEP_3) | instskip(SKIP_1) | instid1(VALU_DEP_2)
	v_mul_u32_u24_e32 v1, 0x10001, v1
	s_wait_dscnt 0x1
	v_pk_fma_f16 v86, v84, v88, v86
	v_pk_fma_f16 v81, v85, v88, v81
	;; [unrolled: 1-line block ×4, first 2 shown]
	ds_load_2addr_b64 v[82:85], v79 offset1:32
	s_wait_dscnt 0x1
	v_pk_fma_f16 v86, v6, v1, v86
	v_pk_fma_f16 v81, v7, v1, v81
	;; [unrolled: 1-line block ×4, first 2 shown]
	ds_load_2addr_b64 v[4:7], v79 offset0:64 offset1:96
	ds_load_2addr_b64 v[0:3], v79 offset0:128 offset1:160
	s_wait_dscnt 0x2
	v_pk_fma_f16 v84, v84, v89, v86
	v_pk_fma_f16 v81, v85, v89, v81
	;; [unrolled: 1-line block ×4, first 2 shown]
	ds_load_2addr_b64 v[86:89], v79 offset0:192 offset1:224
	s_wait_dscnt 0x0
	s_barrier_signal -1
	s_barrier_wait -1
	s_load_b32 s3, s[20:21], 0x4
	v_mul_u32_u24_e32 v85, 0x10001, v90
	v_mul_u32_u24_e32 v90, 0x10001, v91
	s_delay_alu instid0(VALU_DEP_2)
	v_pk_fma_f16 v6, v6, v85, v84
	v_pk_fma_f16 v7, v7, v85, v81
	;; [unrolled: 1-line block ×4, first 2 shown]
	v_mul_u32_u24_e32 v81, 0x10001, v92
	v_pk_fma_f16 v2, v2, v90, v6
	v_pk_fma_f16 v3, v3, v90, v7
	v_pk_fma_f16 v0, v0, v90, v4
	v_pk_fma_f16 v1, v1, v90, v5
	s_delay_alu instid0(VALU_DEP_4) | instskip(NEXT) | instid1(VALU_DEP_4)
	v_pk_fma_f16 v85, v88, v81, v2
	v_pk_fma_f16 v84, v89, v81, v3
	s_delay_alu instid0(VALU_DEP_4) | instskip(NEXT) | instid1(VALU_DEP_4)
	v_pk_fma_f16 v82, v86, v81, v0
	v_pk_fma_f16 v81, v87, v81, v1
	s_wait_kmcnt 0x0
	s_lshl_b32 s3, s3, 5
	s_delay_alu instid0(SALU_CYCLE_1) | instskip(NEXT) | instid1(SALU_CYCLE_1)
	s_add_co_i32 s4, s3, s4
	s_cmp_ge_i32 s4, s28
	s_cbranch_scc0 .LBB36_9
; %bb.10:
	v_mov_b32_e32 v3, v49
.LBB36_11:
	v_cmp_lt_i32_e32 vcc_lo, v56, v51
	s_cmp_lg_u64 s[12:13], 0
	s_cselect_b32 s3, -1, 0
	s_cmp_eq_u32 s29, 0
	v_cndmask_b32_e32 v0, v3, v56, vcc_lo
	v_cmp_lt_i32_e32 vcc_lo, v55, v51
	s_cselect_b32 s4, -1, 0
	s_delay_alu instid0(SALU_CYCLE_1) | instskip(NEXT) | instid1(VALU_DEP_2)
	s_and_b32 s3, s4, s3
	v_dual_cndmask_b32 v1, v3, v55 :: v_dual_lshlrev_b32 v0, 2, v0
	v_cmp_lt_i32_e32 vcc_lo, v54, v51
	s_delay_alu instid0(VALU_DEP_2)
	v_lshlrev_b32_e32 v1, 2, v1
	ds_bpermute_b32 v0, v0, v80
	v_cndmask_b32_e32 v2, v3, v54, vcc_lo
	v_cmp_lt_i32_e32 vcc_lo, v53, v51
	s_wait_dscnt 0x0
	v_add_f32_e32 v0, v80, v0
	ds_bpermute_b32 v1, v1, v0
	s_wait_dscnt 0x0
	v_dual_lshlrev_b32 v2, 2, v2 :: v_dual_add_f32 v0, v0, v1
	ds_bpermute_b32 v1, v2, v0
	v_cndmask_b32_e32 v2, v3, v53, vcc_lo
	v_cmp_lt_i32_e32 vcc_lo, v52, v51
	s_wait_dscnt 0x0
	s_delay_alu instid0(VALU_DEP_2) | instskip(SKIP_4) | instid1(VALU_DEP_1)
	v_dual_lshlrev_b32 v2, 2, v2 :: v_dual_add_f32 v0, v0, v1
	ds_bpermute_b32 v1, v2, v0
	v_cndmask_b32_e32 v2, v3, v52, vcc_lo
	s_and_b32 vcc_lo, exec_lo, s3
	s_wait_dscnt 0x0
	v_dual_add_f32 v0, v0, v1 :: v_dual_lshlrev_b32 v2, 2, v2
	ds_bpermute_b32 v1, v2, v0
	s_wait_dscnt 0x0
	v_dual_add_f32 v45, v0, v1 :: v_dual_add_nc_u32 v2, s33, v8
	s_cbranch_vccz .LBB36_14
; %bb.12:
	global_load_b32 v1, v2, s[12:13] scale_offset
	s_wait_loadcnt 0x0
	v_dual_max_num_f32 v0, v44, v44 :: v_dual_max_num_f32 v3, v1, v1
	s_delay_alu instid0(VALU_DEP_1) | instskip(NEXT) | instid1(VALU_DEP_1)
	v_max_num_f32_e32 v0, v0, v3
	v_sub_f32_e32 v3, v44, v0
	s_delay_alu instid0(VALU_DEP_1) | instskip(NEXT) | instid1(VALU_DEP_1)
	v_mul_f32_e32 v4, 0x3fb8aa3b, v3
	v_fma_f32 v5, 0x3fb8aa3b, v3, -v4
	s_delay_alu instid0(VALU_DEP_1) | instskip(SKIP_2) | instid1(VALU_DEP_2)
	v_fmac_f32_e32 v5, 0x32a5705f, v3
	v_sub_f32_e32 v1, v1, v0
	v_cmp_ngt_f32_e32 vcc_lo, 0xc2ce8ed0, v3
	v_mul_f32_e32 v7, 0x3fb8aa3b, v1
	v_rndne_f32_e32 v6, v4
	s_delay_alu instid0(VALU_DEP_2) | instskip(NEXT) | instid1(VALU_DEP_2)
	v_rndne_f32_e32 v8, v7
	v_sub_f32_e32 v4, v4, v6
	v_cvt_i32_f32_e32 v6, v6
	s_delay_alu instid0(VALU_DEP_2) | instskip(SKIP_2) | instid1(VALU_DEP_3)
	v_add_f32_e32 v4, v4, v5
	v_fma_f32 v5, 0x3fb8aa3b, v1, -v7
	v_sub_f32_e32 v7, v7, v8
	v_exp_f32_e32 v4, v4
	s_delay_alu instid0(VALU_DEP_2) | instskip(NEXT) | instid1(TRANS32_DEP_1)
	v_fmac_f32_e32 v5, 0x32a5705f, v1
	v_ldexp_f32 v4, v4, v6
	s_delay_alu instid0(VALU_DEP_2) | instskip(SKIP_1) | instid1(VALU_DEP_3)
	v_add_f32_e32 v5, v7, v5
	v_cvt_i32_f32_e32 v6, v8
	v_cndmask_b32_e32 v4, 0, v4, vcc_lo
	s_delay_alu instid0(VALU_DEP_3) | instskip(SKIP_1) | instid1(VALU_DEP_2)
	v_exp_f32_e32 v5, v5
	v_cmp_nlt_f32_e32 vcc_lo, 0x42b17218, v3
	v_cndmask_b32_e32 v3, 0x7f800000, v4, vcc_lo
	s_delay_alu instid0(TRANS32_DEP_1) | instskip(SKIP_1) | instid1(VALU_DEP_3)
	v_ldexp_f32 v4, v5, v6
	v_cmp_ngt_f32_e32 vcc_lo, 0xc2ce8ed0, v1
	v_cvt_f16_f32_e32 v5, v3
	s_delay_alu instid0(VALU_DEP_3) | instskip(SKIP_1) | instid1(VALU_DEP_3)
	v_cndmask_b32_e32 v4, 0, v4, vcc_lo
	v_cmp_nlt_f32_e32 vcc_lo, 0x42b17218, v1
	v_and_b32_e32 v5, 0xffff, v5
	s_delay_alu instid0(VALU_DEP_3) | instskip(NEXT) | instid1(VALU_DEP_2)
	v_cndmask_b32_e32 v1, 0x7f800000, v4, vcc_lo
	v_mul_u32_u24_e32 v4, 0x10001, v5
	s_delay_alu instid0(VALU_DEP_2) | instskip(NEXT) | instid1(VALU_DEP_2)
	v_fmac_f32_e32 v1, v45, v3
	v_pk_mul_f16 v82, v82, v4
	v_pk_mul_f16 v81, v81, v4
	v_pk_mul_f16 v85, v85, v4
	s_delay_alu instid0(VALU_DEP_4)
	v_mov_b64_e32 v[44:45], v[0:1]
	v_pk_mul_f16 v84, v84, v4
	s_mov_b32 s3, exec_lo
	v_cmpx_gt_i32_e64 s22, v46
	s_cbranch_execnz .LBB36_15
.LBB36_13:
	s_sendmsg sendmsg(MSG_DEALLOC_VGPRS)
	s_endpgm
.LBB36_14:
	s_delay_alu instid0(VALU_DEP_1)
	v_mov_b32_e32 v1, v45
	s_mov_b32 s3, exec_lo
	v_cmpx_gt_i32_e64 s22, v46
	s_cbranch_execz .LBB36_13
.LBB36_15:
	s_delay_alu instid0(VALU_DEP_2) | instskip(SKIP_3) | instid1(VALU_DEP_3)
	v_div_scale_f32 v5, null, v1, v1, 1.0
	v_mad_u32 v0, s2, s22, v46
	s_load_b32 s1, s[0:1], 0xd4
	v_div_scale_f32 v8, vcc_lo, 1.0, v1, 1.0
	v_rcp_f32_e32 v7, v5
	v_dual_lshrrev_b32 v16, 16, v85 :: v_dual_lshrrev_b32 v17, 16, v84
	v_cvt_f32_f16_e32 v4, v82
	v_cvt_f32_f16_e32 v6, v81
	s_wait_xcnt 0x0
	v_cmp_eq_u32_e64 s0, 0, v47
	s_delay_alu instid0(TRANS32_DEP_1) | instskip(SKIP_1) | instid1(VALU_DEP_2)
	v_fma_f32 v3, -v5, v7, 1.0
	v_mad_u32 v0, v0, s23, v2
	v_dual_fmac_f32 v7, v3, v7 :: v_dual_mov_b32 v3, 0
	s_delay_alu instid0(VALU_DEP_1) | instskip(SKIP_2) | instid1(VALU_DEP_3)
	v_mul_f32_e32 v10, v8, v7
	s_wait_kmcnt 0x0
	s_cmp_lg_u32 s1, 1
	v_mad_u32 v0, s1, v0, s29
	s_cselect_b32 s1, -1, 0
	v_fma_f32 v2, -v5, v10, v8
	v_lshrrev_b32_e32 v11, 16, v82
	s_and_b32 s0, s0, s1
	s_delay_alu instid0(VALU_DEP_2) | instskip(NEXT) | instid1(VALU_DEP_1)
	v_dual_fmac_f32 v10, v2, v7 :: v_dual_lshrrev_b32 v15, 16, v81
	v_fma_f32 v2, -v5, v10, v8
	s_delay_alu instid0(VALU_DEP_3) | instskip(SKIP_2) | instid1(VALU_DEP_4)
	v_cvt_f32_f16_e32 v5, v11
	v_cvt_f32_f16_e32 v8, v85
	;; [unrolled: 1-line block ×3, first 2 shown]
	v_div_fmas_f32 v7, v2, v7, v10
	v_lshl_add_u32 v2, v0, 8, v9
	v_cvt_f32_f16_e32 v10, v84
	v_cvt_f32_f16_e32 v9, v16
	s_delay_alu instid0(VALU_DEP_4) | instskip(NEXT) | instid1(VALU_DEP_4)
	v_div_fixup_f32 v1, v7, v1, 1.0
	v_lshl_add_u64 v[12:13], v[2:3], 2, s[16:17]
	v_add_nc_u32_e32 v2, 0x80, v2
	v_cvt_f32_f16_e32 v7, v15
	s_delay_alu instid0(VALU_DEP_4) | instskip(NEXT) | instid1(VALU_DEP_3)
	v_cndmask_b32_e64 v14, v1, 1.0, s1
	v_lshl_add_u64 v[16:17], v[2:3], 2, s[16:17]
	s_delay_alu instid0(VALU_DEP_2) | instskip(NEXT) | instid1(VALU_DEP_4)
	v_pk_mul_f32 v[2:3], v[14:15], v[4:5] op_sel_hi:[0,1]
	v_pk_mul_f32 v[4:5], v[14:15], v[6:7] op_sel_hi:[0,1]
	;; [unrolled: 1-line block ×4, first 2 shown]
	s_clause 0x1
	global_store_b128 v[12:13], v[2:5], off
	global_store_b128 v[16:17], v[6:9], off
	s_wait_xcnt 0x0
	s_and_b32 exec_lo, exec_lo, s0
	s_cbranch_execz .LBB36_13
; %bb.16:
	global_store_b64 v0, v[44:45], s[18:19] scale_offset
	s_sendmsg sendmsg(MSG_DEALLOC_VGPRS)
	s_endpgm
	.section	.rodata,"a",@progbits
	.p2align	6, 0x0
	.amdhsa_kernel _ZL15flash_attn_tileILi256ELi256ELi2ELi2ELb0EEvPKcS1_S1_S1_S1_PKiPfP15HIP_vector_typeIfLj2EEffffjfiS5_IjLj3EEiiiiiiiiiiiliiliiiiil
		.amdhsa_group_segment_fixed_size 19200
		.amdhsa_private_segment_fixed_size 0
		.amdhsa_kernarg_size 464
		.amdhsa_user_sgpr_count 2
		.amdhsa_user_sgpr_dispatch_ptr 0
		.amdhsa_user_sgpr_queue_ptr 0
		.amdhsa_user_sgpr_kernarg_segment_ptr 1
		.amdhsa_user_sgpr_dispatch_id 0
		.amdhsa_user_sgpr_kernarg_preload_length 0
		.amdhsa_user_sgpr_kernarg_preload_offset 0
		.amdhsa_user_sgpr_private_segment_size 0
		.amdhsa_wavefront_size32 1
		.amdhsa_uses_dynamic_stack 0
		.amdhsa_enable_private_segment 0
		.amdhsa_system_sgpr_workgroup_id_x 1
		.amdhsa_system_sgpr_workgroup_id_y 1
		.amdhsa_system_sgpr_workgroup_id_z 1
		.amdhsa_system_sgpr_workgroup_info 0
		.amdhsa_system_vgpr_workitem_id 1
		.amdhsa_next_free_vgpr 102
		.amdhsa_next_free_sgpr 43
		.amdhsa_named_barrier_count 0
		.amdhsa_reserve_vcc 1
		.amdhsa_float_round_mode_32 0
		.amdhsa_float_round_mode_16_64 0
		.amdhsa_float_denorm_mode_32 3
		.amdhsa_float_denorm_mode_16_64 3
		.amdhsa_fp16_overflow 0
		.amdhsa_memory_ordered 1
		.amdhsa_forward_progress 1
		.amdhsa_inst_pref_size 53
		.amdhsa_round_robin_scheduling 0
		.amdhsa_exception_fp_ieee_invalid_op 0
		.amdhsa_exception_fp_denorm_src 0
		.amdhsa_exception_fp_ieee_div_zero 0
		.amdhsa_exception_fp_ieee_overflow 0
		.amdhsa_exception_fp_ieee_underflow 0
		.amdhsa_exception_fp_ieee_inexact 0
		.amdhsa_exception_int_div_zero 0
	.end_amdhsa_kernel
	.section	.text._ZL15flash_attn_tileILi256ELi256ELi2ELi2ELb0EEvPKcS1_S1_S1_S1_PKiPfP15HIP_vector_typeIfLj2EEffffjfiS5_IjLj3EEiiiiiiiiiiiliiliiiiil,"axG",@progbits,_ZL15flash_attn_tileILi256ELi256ELi2ELi2ELb0EEvPKcS1_S1_S1_S1_PKiPfP15HIP_vector_typeIfLj2EEffffjfiS5_IjLj3EEiiiiiiiiiiiliiliiiiil,comdat
.Lfunc_end36:
	.size	_ZL15flash_attn_tileILi256ELi256ELi2ELi2ELb0EEvPKcS1_S1_S1_S1_PKiPfP15HIP_vector_typeIfLj2EEffffjfiS5_IjLj3EEiiiiiiiiiiiliiliiiiil, .Lfunc_end36-_ZL15flash_attn_tileILi256ELi256ELi2ELi2ELb0EEvPKcS1_S1_S1_S1_PKiPfP15HIP_vector_typeIfLj2EEffffjfiS5_IjLj3EEiiiiiiiiiiiliiliiiiil
                                        ; -- End function
	.set _ZL15flash_attn_tileILi256ELi256ELi2ELi2ELb0EEvPKcS1_S1_S1_S1_PKiPfP15HIP_vector_typeIfLj2EEffffjfiS5_IjLj3EEiiiiiiiiiiiliiliiiiil.num_vgpr, 102
	.set _ZL15flash_attn_tileILi256ELi256ELi2ELi2ELb0EEvPKcS1_S1_S1_S1_PKiPfP15HIP_vector_typeIfLj2EEffffjfiS5_IjLj3EEiiiiiiiiiiiliiliiiiil.num_agpr, 0
	.set _ZL15flash_attn_tileILi256ELi256ELi2ELi2ELb0EEvPKcS1_S1_S1_S1_PKiPfP15HIP_vector_typeIfLj2EEffffjfiS5_IjLj3EEiiiiiiiiiiiliiliiiiil.numbered_sgpr, 43
	.set _ZL15flash_attn_tileILi256ELi256ELi2ELi2ELb0EEvPKcS1_S1_S1_S1_PKiPfP15HIP_vector_typeIfLj2EEffffjfiS5_IjLj3EEiiiiiiiiiiiliiliiiiil.num_named_barrier, 0
	.set _ZL15flash_attn_tileILi256ELi256ELi2ELi2ELb0EEvPKcS1_S1_S1_S1_PKiPfP15HIP_vector_typeIfLj2EEffffjfiS5_IjLj3EEiiiiiiiiiiiliiliiiiil.private_seg_size, 0
	.set _ZL15flash_attn_tileILi256ELi256ELi2ELi2ELb0EEvPKcS1_S1_S1_S1_PKiPfP15HIP_vector_typeIfLj2EEffffjfiS5_IjLj3EEiiiiiiiiiiiliiliiiiil.uses_vcc, 1
	.set _ZL15flash_attn_tileILi256ELi256ELi2ELi2ELb0EEvPKcS1_S1_S1_S1_PKiPfP15HIP_vector_typeIfLj2EEffffjfiS5_IjLj3EEiiiiiiiiiiiliiliiiiil.uses_flat_scratch, 0
	.set _ZL15flash_attn_tileILi256ELi256ELi2ELi2ELb0EEvPKcS1_S1_S1_S1_PKiPfP15HIP_vector_typeIfLj2EEffffjfiS5_IjLj3EEiiiiiiiiiiiliiliiiiil.has_dyn_sized_stack, 0
	.set _ZL15flash_attn_tileILi256ELi256ELi2ELi2ELb0EEvPKcS1_S1_S1_S1_PKiPfP15HIP_vector_typeIfLj2EEffffjfiS5_IjLj3EEiiiiiiiiiiiliiliiiiil.has_recursion, 0
	.set _ZL15flash_attn_tileILi256ELi256ELi2ELi2ELb0EEvPKcS1_S1_S1_S1_PKiPfP15HIP_vector_typeIfLj2EEffffjfiS5_IjLj3EEiiiiiiiiiiiliiliiiiil.has_indirect_call, 0
	.section	.AMDGPU.csdata,"",@progbits
; Kernel info:
; codeLenInByte = 6776
; TotalNumSgprs: 45
; NumVgprs: 102
; ScratchSize: 0
; MemoryBound: 0
; FloatMode: 240
; IeeeMode: 1
; LDSByteSize: 19200 bytes/workgroup (compile time only)
; SGPRBlocks: 0
; VGPRBlocks: 6
; NumSGPRsForWavesPerEU: 45
; NumVGPRsForWavesPerEU: 102
; NamedBarCnt: 0
; Occupancy: 9
; WaveLimiterHint : 1
; COMPUTE_PGM_RSRC2:SCRATCH_EN: 0
; COMPUTE_PGM_RSRC2:USER_SGPR: 2
; COMPUTE_PGM_RSRC2:TRAP_HANDLER: 0
; COMPUTE_PGM_RSRC2:TGID_X_EN: 1
; COMPUTE_PGM_RSRC2:TGID_Y_EN: 1
; COMPUTE_PGM_RSRC2:TGID_Z_EN: 1
; COMPUTE_PGM_RSRC2:TIDIG_COMP_CNT: 1
	.section	.text._ZL33flash_attn_stream_k_fixup_uniformILi256ELi2ELi2EEvPfPK15HIP_vector_typeIfLj2EEiiiiiiS1_IjLj3EES5_S5_,"axG",@progbits,_ZL33flash_attn_stream_k_fixup_uniformILi256ELi2ELi2EEvPfPK15HIP_vector_typeIfLj2EEiiiiiiS1_IjLj3EES5_S5_,comdat
	.globl	_ZL33flash_attn_stream_k_fixup_uniformILi256ELi2ELi2EEvPfPK15HIP_vector_typeIfLj2EEiiiiiiS1_IjLj3EES5_S5_ ; -- Begin function _ZL33flash_attn_stream_k_fixup_uniformILi256ELi2ELi2EEvPfPK15HIP_vector_typeIfLj2EEiiiiiiS1_IjLj3EES5_S5_
	.p2align	8
	.type	_ZL33flash_attn_stream_k_fixup_uniformILi256ELi2ELi2EEvPfPK15HIP_vector_typeIfLj2EEiiiiiiS1_IjLj3EES5_S5_,@function
_ZL33flash_attn_stream_k_fixup_uniformILi256ELi2ELi2EEvPfPK15HIP_vector_typeIfLj2EEiiiiiiS1_IjLj3EES5_S5_: ; @_ZL33flash_attn_stream_k_fixup_uniformILi256ELi2ELi2EEvPfPK15HIP_vector_typeIfLj2EEiiiiiiS1_IjLj3EES5_S5_
; %bb.0:
	s_load_b256 s[4:11], s[0:1], 0x1c
	s_bfe_u32 s2, ttmp6, 0x40014
	s_lshr_b32 s3, ttmp7, 16
	s_add_co_i32 s2, s2, 1
	s_bfe_u32 s13, ttmp6, 0x40010
	s_mul_i32 s2, s3, s2
	s_bfe_u32 s12, ttmp6, 0x40008
	s_and_b32 s15, ttmp7, 0xffff
	s_add_co_i32 s13, s13, 1
	s_bfe_u32 s14, ttmp6, 0x4000c
	s_add_co_i32 s12, s12, s2
	s_mul_i32 s2, s15, s13
	s_bfe_u32 s13, ttmp6, 0x40004
	s_add_co_i32 s14, s14, 1
	s_add_co_i32 s13, s13, s2
	s_and_b32 s2, ttmp6, 15
	s_mul_i32 s14, ttmp9, s14
	s_getreg_b32 s20, hwreg(HW_REG_IB_STS2, 6, 4)
	s_add_co_i32 s2, s2, s14
	s_load_b128 s[16:19], s[0:1], 0x3c
	s_cmp_eq_u32 s20, 0
	s_cselect_b32 s14, ttmp9, s2
	s_cselect_b32 s13, s15, s13
	s_wait_kmcnt 0x0
	s_mul_hi_u32 s2, s7, s14
	s_cselect_b32 s12, s3, s12
	s_add_co_i32 s2, s14, s2
	s_delay_alu instid0(SALU_CYCLE_1) | instskip(NEXT) | instid1(SALU_CYCLE_1)
	s_lshr_b32 s7, s2, s8
	s_mul_i32 s2, s7, s9
	s_delay_alu instid0(SALU_CYCLE_1) | instskip(NEXT) | instid1(SALU_CYCLE_1)
	s_sub_co_i32 s8, s14, s2
	s_mul_hi_u32 s2, s8, s10
	s_delay_alu instid0(SALU_CYCLE_1) | instskip(SKIP_2) | instid1(SALU_CYCLE_1)
	s_add_co_i32 s9, s8, s2
	s_load_b64 s[2:3], s[0:1], 0x10
	s_lshr_b32 s15, s9, s11
	s_mul_i32 s9, s15, s16
	s_delay_alu instid0(SALU_CYCLE_1) | instskip(NEXT) | instid1(SALU_CYCLE_1)
	s_sub_co_i32 s8, s8, s9
	s_mul_hi_u32 s9, s8, s17
	s_delay_alu instid0(SALU_CYCLE_1) | instskip(NEXT) | instid1(SALU_CYCLE_1)
	s_add_co_i32 s9, s8, s9
	s_lshr_b32 s9, s9, s18
	s_delay_alu instid0(SALU_CYCLE_1) | instskip(SKIP_2) | instid1(SALU_CYCLE_1)
	s_mul_i32 s10, s9, s19
	s_lshl_b32 s17, s9, 1
	s_sub_co_i32 s16, s8, s10
	s_lshl_b32 s8, s16, 1
	s_delay_alu instid0(SALU_CYCLE_1) | instskip(SKIP_4) | instid1(SALU_CYCLE_1)
	s_add_co_i32 s8, s8, s13
	s_wait_kmcnt 0x0
	s_cmp_lt_i32 s8, s2
	s_cselect_b32 s8, -1, 0
	s_add_co_i32 s9, s17, s12
	s_cmp_lt_i32 s9, s5
	s_cselect_b32 s9, -1, 0
	s_delay_alu instid0(SALU_CYCLE_1) | instskip(NEXT) | instid1(SALU_CYCLE_1)
	s_and_b32 s8, s8, s9
	s_and_not1_b32 vcc_lo, exec_lo, s8
	s_cbranch_vccnz .LBB37_6
; %bb.1:
	s_mul_i32 s2, s7, s2
	s_load_b128 s[8:11], s[0:1], 0x0
	s_wait_xcnt 0x0
	s_add_co_i32 s0, s2, s13
	s_mul_i32 s15, s15, s5
	s_mul_i32 s0, s0, s3
	;; [unrolled: 1-line block ×3, first 2 shown]
	s_add_co_i32 s0, s0, s12
	s_lshl_b32 s1, s1, 9
	s_add_co_i32 s0, s0, s15
	s_mul_i32 s7, s6, s14
	s_add_co_i32 s0, s0, s17
	s_lshl_b32 s5, s13, 1
	s_lshl_b32 s0, s0, 8
	s_add_co_i32 s15, s7, s6
	s_add_co_i32 s1, s1, s0
	s_add_co_i32 s0, s5, s12
	v_or_b32_e32 v4, s1, v0
	s_lshl_b32 s1, s15, 2
	s_add_co_i32 s2, s15, -2
	s_add_co_i32 s0, s0, s1
	s_delay_alu instid0(SALU_CYCLE_1)
	s_add_co_i32 s0, s0, -4
	s_wait_kmcnt 0x0
	global_load_b32 v3, v4, s[8:9] scale_offset
	s_ashr_i32 s1, s0, 31
	v_ashrrev_i32_e32 v5, 31, v4
	s_lshl_b64 s[0:1], s[0:1], 3
	s_cmp_lt_i32 s2, s7
	s_add_nc_u64 s[0:1], s[10:11], s[0:1]
	s_load_b32 s16, s[0:1], 0x4
	s_cbranch_scc1 .LBB37_4
; %bb.2:
	s_wait_xcnt 0x0
	s_load_b32 s0, s[0:1], 0x0
	s_add_co_i32 s14, s14, 1
	s_lshl_b32 s3, s13, 9
	s_wait_xcnt 0x0
	s_mul_i32 s1, s6, s14
	s_lshl_b32 s6, s12, 8
	s_lshl_b32 s13, s1, 10
	s_add_co_i32 s6, s6, s3
	s_lshl_b32 s1, s1, 2
	s_add_co_i32 s6, s6, s13
	s_lshl_b32 s2, s4, 4
	s_wait_kmcnt 0x0
	v_dual_mov_b32 v2, s16 :: v_dual_bitop2_b32 v0, s6, v0 bitop3:0x54
	s_add_co_i32 s1, s12, s1
	s_lshl_b32 s4, s4, 2
	s_ashr_i32 s3, s2, 31
	s_add_co_i32 s1, s1, s4
	v_add_nc_u32_e32 v0, 0xfffff800, v0
	s_lshl_b64 s[2:3], s[2:3], 2
	s_add_co_i32 s4, s1, s5
	s_add_nc_u64 s[2:3], s[10:11], s[2:3]
	s_add_co_i32 s1, s15, -1
	s_add_co_i32 s4, s4, -8
.LBB37_3:                               ; =>This Inner Loop Header: Depth=1
	global_load_b32 v7, v0, s[2:3] scale_offset
	s_ashr_i32 s5, s4, 31
	v_max_num_f32_e64 v1, s0, s0
	s_lshl_b64 s[12:13], s[4:5], 3
	s_delay_alu instid0(SALU_CYCLE_1) | instskip(SKIP_1) | instid1(VALU_DEP_1)
	s_add_nc_u64 s[12:13], s[10:11], s[12:13]
	s_load_b64 s[12:13], s[12:13], 0x0
	v_readfirstlane_b32 s5, v1
	v_add_nc_u32_e32 v0, 0xfffffc00, v0
	s_wait_kmcnt 0x0
	v_max_num_f32_e64 v1, s12, s12
	s_delay_alu instid0(VALU_DEP_1) | instskip(SKIP_1) | instid1(SALU_CYCLE_3)
	v_readfirstlane_b32 s6, v1
	s_max_num_f32 s5, s5, s6
	s_sub_f32 s0, s0, s5
	s_sub_f32 s6, s12, s5
	s_delay_alu instid0(SALU_CYCLE_2) | instskip(NEXT) | instid1(SALU_CYCLE_2)
	s_mul_f32 s12, s0, 0x3fb8aa3b
	s_mul_f32 s14, s6, 0x3fb8aa3b
	s_delay_alu instid0(SALU_CYCLE_2)
	s_xor_b32 s15, s12, 0x80000000
	s_rndne_f32 s16, s12
	s_fmamk_f32 s15, s0, 0x3fb8aa3b, s15
	s_cmp_nlt_f32 s0, 0xc2ce8ed0
	s_rndne_f32 s17, s14
	s_sub_f32 s12, s12, s16
	s_fmamk_f32 s15, s0, 0x32a5705f, s15
	s_cselect_b32 vcc_lo, -1, 0
	s_cmp_ngt_f32 s0, 0x42b17218
	s_delay_alu instid0(SALU_CYCLE_1) | instskip(SKIP_2) | instid1(SALU_CYCLE_1)
	s_add_f32 s12, s12, s15
	s_cvt_i32_f32 s15, s16
	s_sub_f32 s16, s14, s17
	v_s_exp_f32 s12, s12
	v_nop
	s_delay_alu instid0(TRANS32_DEP_1) | instskip(SKIP_1) | instid1(VALU_DEP_1)
	v_ldexp_f32 v1, s12, s15
	s_cvt_i32_f32 s12, s17
	v_cndmask_b32_e32 v1, 0, v1, vcc_lo
	s_cselect_b32 vcc_lo, -1, 0
	s_cmp_ge_f32 s0, 0xc1a00000
	s_delay_alu instid0(VALU_DEP_1)
	v_cndmask_b32_e32 v1, 0x7f800000, v1, vcc_lo
	s_cselect_b32 vcc_lo, -1, 0
	s_xor_b32 s0, s14, 0x80000000
	s_cmp_nlt_f32 s6, 0xc2ce8ed0
	s_fmamk_f32 s0, s6, 0x3fb8aa3b, s0
	v_cndmask_b32_e32 v10, 0, v1, vcc_lo
	s_delay_alu instid0(SALU_CYCLE_2) | instskip(NEXT) | instid1(SALU_CYCLE_3)
	s_fmamk_f32 s0, s6, 0x32a5705f, s0
	s_add_f32 s0, s16, s0
	s_delay_alu instid0(SALU_CYCLE_3) | instskip(SKIP_1) | instid1(TRANS32_DEP_1)
	v_s_exp_f32 s0, s0
	v_nop
	v_ldexp_f32 v6, s0, s12
	s_cselect_b32 s0, -1, 0
	s_cmp_ngt_f32 s6, 0x42b17218
	s_delay_alu instid0(VALU_DEP_1) | instskip(SKIP_2) | instid1(VALU_DEP_1)
	v_cndmask_b32_e64 v6, 0, v6, s0
	s_cselect_b32 s0, -1, 0
	s_cmp_ge_f32 s6, 0xc1a00000
	v_cndmask_b32_e64 v8, 0x7f800000, v6, s0
	s_cselect_b32 s0, -1, 0
	v_mov_b32_e32 v6, s13
	s_add_co_i32 s1, s1, -1
	s_add_co_i32 s4, s4, -4
	v_cndmask_b32_e64 v8, 0, v8, s0
	s_cmp_le_i32 s1, s7
	s_mov_b32 s0, s5
	s_wait_loadcnt 0x0
	s_delay_alu instid0(VALU_DEP_1) | instskip(NEXT) | instid1(VALU_DEP_1)
	v_pk_mul_f32 v[6:7], v[6:7], v[8:9] op_sel_hi:[1,0]
	v_pk_fma_f32 v[2:3], v[2:3], v[10:11], v[6:7] op_sel_hi:[1,0,1]
	s_cbranch_scc0 .LBB37_3
	s_branch .LBB37_5
.LBB37_4:
	s_wait_kmcnt 0x0
	v_mov_b32_e32 v2, s16
.LBB37_5:
	v_lshl_add_u64 v[0:1], v[4:5], 2, s[8:9]
	s_wait_loadcnt 0x0
	s_delay_alu instid0(VALU_DEP_2) | instskip(NEXT) | instid1(VALU_DEP_1)
	v_div_scale_f32 v4, null, v2, v2, v3
	v_rcp_f32_e32 v5, v4
	v_nop
	s_delay_alu instid0(TRANS32_DEP_1) | instskip(NEXT) | instid1(VALU_DEP_1)
	v_fma_f32 v6, -v4, v5, 1.0
	v_fmac_f32_e32 v5, v6, v5
	v_div_scale_f32 v6, vcc_lo, v3, v2, v3
	s_delay_alu instid0(VALU_DEP_1) | instskip(NEXT) | instid1(VALU_DEP_1)
	v_mul_f32_e32 v7, v6, v5
	v_fma_f32 v8, -v4, v7, v6
	s_delay_alu instid0(VALU_DEP_1) | instskip(NEXT) | instid1(VALU_DEP_1)
	v_fmac_f32_e32 v7, v8, v5
	v_fma_f32 v4, -v4, v7, v6
	s_delay_alu instid0(VALU_DEP_1) | instskip(NEXT) | instid1(VALU_DEP_1)
	v_div_fmas_f32 v4, v4, v5, v7
	v_div_fixup_f32 v2, v4, v2, v3
	global_store_b32 v[0:1], v2, off
.LBB37_6:
	s_endpgm
	.section	.rodata,"a",@progbits
	.p2align	6, 0x0
	.amdhsa_kernel _ZL33flash_attn_stream_k_fixup_uniformILi256ELi2ELi2EEvPfPK15HIP_vector_typeIfLj2EEiiiiiiS1_IjLj3EES5_S5_
		.amdhsa_group_segment_fixed_size 0
		.amdhsa_private_segment_fixed_size 0
		.amdhsa_kernarg_size 76
		.amdhsa_user_sgpr_count 2
		.amdhsa_user_sgpr_dispatch_ptr 0
		.amdhsa_user_sgpr_queue_ptr 0
		.amdhsa_user_sgpr_kernarg_segment_ptr 1
		.amdhsa_user_sgpr_dispatch_id 0
		.amdhsa_user_sgpr_kernarg_preload_length 0
		.amdhsa_user_sgpr_kernarg_preload_offset 0
		.amdhsa_user_sgpr_private_segment_size 0
		.amdhsa_wavefront_size32 1
		.amdhsa_uses_dynamic_stack 0
		.amdhsa_enable_private_segment 0
		.amdhsa_system_sgpr_workgroup_id_x 1
		.amdhsa_system_sgpr_workgroup_id_y 1
		.amdhsa_system_sgpr_workgroup_id_z 1
		.amdhsa_system_sgpr_workgroup_info 0
		.amdhsa_system_vgpr_workitem_id 0
		.amdhsa_next_free_vgpr 12
		.amdhsa_next_free_sgpr 21
		.amdhsa_named_barrier_count 0
		.amdhsa_reserve_vcc 1
		.amdhsa_float_round_mode_32 0
		.amdhsa_float_round_mode_16_64 0
		.amdhsa_float_denorm_mode_32 3
		.amdhsa_float_denorm_mode_16_64 3
		.amdhsa_fp16_overflow 0
		.amdhsa_memory_ordered 1
		.amdhsa_forward_progress 1
		.amdhsa_inst_pref_size 9
		.amdhsa_round_robin_scheduling 0
		.amdhsa_exception_fp_ieee_invalid_op 0
		.amdhsa_exception_fp_denorm_src 0
		.amdhsa_exception_fp_ieee_div_zero 0
		.amdhsa_exception_fp_ieee_overflow 0
		.amdhsa_exception_fp_ieee_underflow 0
		.amdhsa_exception_fp_ieee_inexact 0
		.amdhsa_exception_int_div_zero 0
	.end_amdhsa_kernel
	.section	.text._ZL33flash_attn_stream_k_fixup_uniformILi256ELi2ELi2EEvPfPK15HIP_vector_typeIfLj2EEiiiiiiS1_IjLj3EES5_S5_,"axG",@progbits,_ZL33flash_attn_stream_k_fixup_uniformILi256ELi2ELi2EEvPfPK15HIP_vector_typeIfLj2EEiiiiiiS1_IjLj3EES5_S5_,comdat
.Lfunc_end37:
	.size	_ZL33flash_attn_stream_k_fixup_uniformILi256ELi2ELi2EEvPfPK15HIP_vector_typeIfLj2EEiiiiiiS1_IjLj3EES5_S5_, .Lfunc_end37-_ZL33flash_attn_stream_k_fixup_uniformILi256ELi2ELi2EEvPfPK15HIP_vector_typeIfLj2EEiiiiiiS1_IjLj3EES5_S5_
                                        ; -- End function
	.set _ZL33flash_attn_stream_k_fixup_uniformILi256ELi2ELi2EEvPfPK15HIP_vector_typeIfLj2EEiiiiiiS1_IjLj3EES5_S5_.num_vgpr, 12
	.set _ZL33flash_attn_stream_k_fixup_uniformILi256ELi2ELi2EEvPfPK15HIP_vector_typeIfLj2EEiiiiiiS1_IjLj3EES5_S5_.num_agpr, 0
	.set _ZL33flash_attn_stream_k_fixup_uniformILi256ELi2ELi2EEvPfPK15HIP_vector_typeIfLj2EEiiiiiiS1_IjLj3EES5_S5_.numbered_sgpr, 21
	.set _ZL33flash_attn_stream_k_fixup_uniformILi256ELi2ELi2EEvPfPK15HIP_vector_typeIfLj2EEiiiiiiS1_IjLj3EES5_S5_.num_named_barrier, 0
	.set _ZL33flash_attn_stream_k_fixup_uniformILi256ELi2ELi2EEvPfPK15HIP_vector_typeIfLj2EEiiiiiiS1_IjLj3EES5_S5_.private_seg_size, 0
	.set _ZL33flash_attn_stream_k_fixup_uniformILi256ELi2ELi2EEvPfPK15HIP_vector_typeIfLj2EEiiiiiiS1_IjLj3EES5_S5_.uses_vcc, 1
	.set _ZL33flash_attn_stream_k_fixup_uniformILi256ELi2ELi2EEvPfPK15HIP_vector_typeIfLj2EEiiiiiiS1_IjLj3EES5_S5_.uses_flat_scratch, 0
	.set _ZL33flash_attn_stream_k_fixup_uniformILi256ELi2ELi2EEvPfPK15HIP_vector_typeIfLj2EEiiiiiiS1_IjLj3EES5_S5_.has_dyn_sized_stack, 0
	.set _ZL33flash_attn_stream_k_fixup_uniformILi256ELi2ELi2EEvPfPK15HIP_vector_typeIfLj2EEiiiiiiS1_IjLj3EES5_S5_.has_recursion, 0
	.set _ZL33flash_attn_stream_k_fixup_uniformILi256ELi2ELi2EEvPfPK15HIP_vector_typeIfLj2EEiiiiiiS1_IjLj3EES5_S5_.has_indirect_call, 0
	.section	.AMDGPU.csdata,"",@progbits
; Kernel info:
; codeLenInByte = 1092
; TotalNumSgprs: 23
; NumVgprs: 12
; ScratchSize: 0
; MemoryBound: 0
; FloatMode: 240
; IeeeMode: 1
; LDSByteSize: 0 bytes/workgroup (compile time only)
; SGPRBlocks: 0
; VGPRBlocks: 0
; NumSGPRsForWavesPerEU: 23
; NumVGPRsForWavesPerEU: 12
; NamedBarCnt: 0
; Occupancy: 16
; WaveLimiterHint : 0
; COMPUTE_PGM_RSRC2:SCRATCH_EN: 0
; COMPUTE_PGM_RSRC2:USER_SGPR: 2
; COMPUTE_PGM_RSRC2:TRAP_HANDLER: 0
; COMPUTE_PGM_RSRC2:TGID_X_EN: 1
; COMPUTE_PGM_RSRC2:TGID_Y_EN: 1
; COMPUTE_PGM_RSRC2:TGID_Z_EN: 1
; COMPUTE_PGM_RSRC2:TIDIG_COMP_CNT: 0
	.section	.text._ZL33flash_attn_stream_k_fixup_generalILi256ELi2ELi2EEvPfPK15HIP_vector_typeIfLj2EEiiiiS1_IjLj3EES5_S5_S5_,"axG",@progbits,_ZL33flash_attn_stream_k_fixup_generalILi256ELi2ELi2EEvPfPK15HIP_vector_typeIfLj2EEiiiiS1_IjLj3EES5_S5_S5_,comdat
	.globl	_ZL33flash_attn_stream_k_fixup_generalILi256ELi2ELi2EEvPfPK15HIP_vector_typeIfLj2EEiiiiS1_IjLj3EES5_S5_S5_ ; -- Begin function _ZL33flash_attn_stream_k_fixup_generalILi256ELi2ELi2EEvPfPK15HIP_vector_typeIfLj2EEiiiiS1_IjLj3EES5_S5_S5_
	.p2align	8
	.type	_ZL33flash_attn_stream_k_fixup_generalILi256ELi2ELi2EEvPfPK15HIP_vector_typeIfLj2EEiiiiS1_IjLj3EES5_S5_S5_,@function
_ZL33flash_attn_stream_k_fixup_generalILi256ELi2ELi2EEvPfPK15HIP_vector_typeIfLj2EEiiiiS1_IjLj3EES5_S5_S5_: ; @_ZL33flash_attn_stream_k_fixup_generalILi256ELi2ELi2EEvPfPK15HIP_vector_typeIfLj2EEiiiiS1_IjLj3EES5_S5_S5_
; %bb.0:
	s_clause 0x1
	s_load_b128 s[4:7], s[0:1], 0x10
	s_load_b32 s16, s[0:1], 0x50
	s_bfe_u32 s2, ttmp6, 0x4000c
	s_and_b32 s3, ttmp6, 15
	s_add_co_i32 s2, s2, 1
	s_getreg_b32 s15, hwreg(HW_REG_IB_STS2, 6, 4)
	s_mul_i32 s2, ttmp9, s2
	s_mov_b32 s17, 0
	s_add_co_i32 s3, s3, s2
	s_cmp_eq_u32 s15, 0
	s_cselect_b32 s2, ttmp9, s3
	s_delay_alu instid0(SALU_CYCLE_1) | instskip(SKIP_3) | instid1(SALU_CYCLE_1)
	s_ashr_i32 s3, s2, 31
	s_wait_kmcnt 0x0
	s_ashr_i32 s19, s7, 31
	s_mov_b32 s18, s7
	s_mul_u64 s[8:9], s[18:19], s[2:3]
	s_delay_alu instid0(SALU_CYCLE_1) | instskip(NEXT) | instid1(SALU_CYCLE_1)
	s_and_b64 s[10:11], s[8:9], 0xffffffff00000000
	s_cmp_lg_u64 s[10:11], 0
	s_cbranch_scc0 .LBB38_21
; %bb.1:
	s_add_nc_u64 s[10:11], s[16:17], 0
	s_mov_b32 s23, s17
	s_xor_b64 s[10:11], s[10:11], 0
	s_mov_b32 s27, s17
	s_cvt_f32_u32 s3, s10
	s_cvt_f32_u32 s7, s11
	s_sub_nc_u64 s[20:21], 0, s[10:11]
	s_delay_alu instid0(SALU_CYCLE_2) | instskip(NEXT) | instid1(SALU_CYCLE_3)
	s_fmamk_f32 s3, s7, 0x4f800000, s3
	v_s_rcp_f32 s3, s3
	s_delay_alu instid0(TRANS32_DEP_1) | instskip(NEXT) | instid1(SALU_CYCLE_3)
	s_mul_f32 s3, s3, 0x5f7ffffc
	s_mul_f32 s7, s3, 0x2f800000
	s_delay_alu instid0(SALU_CYCLE_3) | instskip(NEXT) | instid1(SALU_CYCLE_3)
	s_trunc_f32 s7, s7
	s_fmamk_f32 s3, s7, 0xcf800000, s3
	s_cvt_u32_f32 s13, s7
	s_delay_alu instid0(SALU_CYCLE_2) | instskip(NEXT) | instid1(SALU_CYCLE_3)
	s_cvt_u32_f32 s12, s3
	s_mul_u64 s[24:25], s[20:21], s[12:13]
	s_delay_alu instid0(SALU_CYCLE_1)
	s_mul_hi_u32 s29, s12, s25
	s_mul_i32 s28, s12, s25
	s_mul_hi_u32 s22, s12, s24
	s_mul_i32 s7, s13, s24
	s_add_nc_u64 s[22:23], s[22:23], s[28:29]
	s_mul_hi_u32 s3, s13, s24
	s_mul_hi_u32 s14, s13, s25
	s_add_co_u32 s7, s22, s7
	s_add_co_ci_u32 s26, s23, s3
	s_mul_i32 s24, s13, s25
	s_add_co_ci_u32 s25, s14, 0
	s_delay_alu instid0(SALU_CYCLE_1) | instskip(SKIP_3) | instid1(SALU_CYCLE_1)
	s_add_nc_u64 s[22:23], s[26:27], s[24:25]
	s_mov_b32 s25, s17
	s_add_co_u32 s12, s12, s22
	s_cselect_b32 s3, -1, 0
	s_cmp_lg_u32 s3, 0
	s_add_co_ci_u32 s13, s13, s23
	s_mov_b32 s23, s17
	s_mul_u64 s[20:21], s[20:21], s[12:13]
	s_delay_alu instid0(SALU_CYCLE_1)
	s_mul_hi_u32 s27, s12, s21
	s_mul_i32 s26, s12, s21
	s_mul_hi_u32 s22, s12, s20
	s_mul_i32 s7, s13, s20
	s_add_nc_u64 s[22:23], s[22:23], s[26:27]
	s_mul_hi_u32 s3, s13, s20
	s_mul_hi_u32 s14, s13, s21
	s_add_co_u32 s7, s22, s7
	s_add_co_ci_u32 s24, s23, s3
	s_mul_i32 s20, s13, s21
	s_add_co_ci_u32 s21, s14, 0
	s_mov_b32 s23, s17
	s_add_nc_u64 s[20:21], s[24:25], s[20:21]
	s_delay_alu instid0(SALU_CYCLE_1) | instskip(SKIP_1) | instid1(SALU_CYCLE_1)
	s_add_co_u32 s3, s12, s20
	s_cselect_b32 s7, -1, 0
	s_cmp_lg_u32 s7, 0
	s_add_co_ci_u32 s7, s13, s21
	s_ashr_i32 s12, s9, 31
	s_delay_alu instid0(SALU_CYCLE_1) | instskip(NEXT) | instid1(SALU_CYCLE_1)
	s_mov_b32 s13, s12
	s_add_nc_u64 s[20:21], s[8:9], s[12:13]
	s_delay_alu instid0(SALU_CYCLE_1) | instskip(NEXT) | instid1(SALU_CYCLE_1)
	s_xor_b64 s[20:21], s[20:21], s[12:13]
	s_mul_hi_u32 s27, s20, s7
	s_mul_i32 s26, s20, s7
	s_mul_hi_u32 s22, s20, s3
	s_mul_hi_u32 s14, s21, s3
	s_mul_i32 s3, s21, s3
	s_add_nc_u64 s[22:23], s[22:23], s[26:27]
	s_mul_hi_u32 s9, s21, s7
	s_add_co_u32 s3, s22, s3
	s_add_co_ci_u32 s24, s23, s14
	s_mul_i32 s26, s21, s7
	s_add_co_ci_u32 s27, s9, 0
	s_delay_alu instid0(SALU_CYCLE_1) | instskip(NEXT) | instid1(SALU_CYCLE_1)
	s_add_nc_u64 s[22:23], s[24:25], s[26:27]
	s_and_b64 s[24:25], s[22:23], 0xffffffff00000000
	s_delay_alu instid0(SALU_CYCLE_1) | instskip(NEXT) | instid1(SALU_CYCLE_1)
	s_or_b32 s24, s24, s22
	s_mul_u64 s[22:23], s[10:11], s[24:25]
	s_add_nc_u64 s[26:27], s[24:25], 1
	s_sub_co_u32 s3, s20, s22
	s_cselect_b32 s7, -1, 0
	s_sub_co_i32 s9, s21, s23
	s_cmp_lg_u32 s7, 0
	s_add_nc_u64 s[28:29], s[24:25], 2
	s_sub_co_ci_u32 s9, s9, s11
	s_sub_co_u32 s14, s3, s10
	s_cselect_b32 s20, -1, 0
	s_delay_alu instid0(SALU_CYCLE_1) | instskip(SKIP_1) | instid1(SALU_CYCLE_1)
	s_cmp_lg_u32 s20, 0
	s_sub_co_ci_u32 s9, s9, 0
	s_cmp_ge_u32 s9, s11
	s_cselect_b32 s20, -1, 0
	s_cmp_ge_u32 s14, s10
	s_cselect_b32 s14, -1, 0
	s_cmp_eq_u32 s9, s11
	s_cselect_b32 s9, s14, s20
	s_delay_alu instid0(SALU_CYCLE_1) | instskip(SKIP_4) | instid1(SALU_CYCLE_1)
	s_cmp_lg_u32 s9, 0
	s_cselect_b32 s9, s28, s26
	s_cselect_b32 s14, s29, s27
	s_cmp_lg_u32 s7, 0
	s_sub_co_ci_u32 s7, s21, s23
	s_cmp_ge_u32 s7, s11
	s_cselect_b32 s20, -1, 0
	s_cmp_ge_u32 s3, s10
	s_cselect_b32 s3, -1, 0
	s_cmp_eq_u32 s7, s11
	s_cselect_b32 s3, s3, s20
	s_delay_alu instid0(SALU_CYCLE_1) | instskip(SKIP_4) | instid1(SALU_CYCLE_1)
	s_cmp_lg_u32 s3, 0
	s_mov_b32 s3, s17
	s_cselect_b32 s11, s14, s25
	s_cselect_b32 s10, s9, s24
	s_xor_b64 s[12:13], s[12:13], 0
	s_xor_b64 s[10:11], s[10:11], s[12:13]
	s_delay_alu instid0(SALU_CYCLE_1)
	s_sub_nc_u64 s[20:21], s[10:11], s[12:13]
	s_and_not1_b32 vcc_lo, exec_lo, s3
	s_cbranch_vccnz .LBB38_3
.LBB38_2:
	v_cvt_f32_u32_e32 v1, s16
	s_sub_co_i32 s7, 0, s16
	s_mov_b32 s21, 0
	s_delay_alu instid0(VALU_DEP_1) | instskip(SKIP_1) | instid1(TRANS32_DEP_1)
	v_rcp_iflag_f32_e32 v1, v1
	v_nop
	v_mul_f32_e32 v1, 0x4f7ffffe, v1
	s_delay_alu instid0(VALU_DEP_1) | instskip(NEXT) | instid1(VALU_DEP_1)
	v_cvt_u32_f32_e32 v1, v1
	v_readfirstlane_b32 s3, v1
	s_mul_i32 s7, s7, s3
	s_delay_alu instid0(SALU_CYCLE_1) | instskip(NEXT) | instid1(SALU_CYCLE_1)
	s_mul_hi_u32 s7, s3, s7
	s_add_co_i32 s3, s3, s7
	s_delay_alu instid0(SALU_CYCLE_1) | instskip(NEXT) | instid1(SALU_CYCLE_1)
	s_mul_hi_u32 s3, s8, s3
	s_mul_i32 s7, s3, s16
	s_delay_alu instid0(SALU_CYCLE_1)
	s_sub_co_i32 s7, s8, s7
	s_add_co_i32 s8, s3, 1
	s_sub_co_i32 s9, s7, s16
	s_cmp_ge_u32 s7, s16
	s_cselect_b32 s3, s8, s3
	s_cselect_b32 s7, s9, s7
	s_add_co_i32 s8, s3, 1
	s_cmp_ge_u32 s7, s16
	s_cselect_b32 s20, s8, s3
.LBB38_3:
	s_add_co_i32 s8, s2, 1
	s_delay_alu instid0(SALU_CYCLE_1) | instskip(NEXT) | instid1(SALU_CYCLE_1)
	s_ashr_i32 s9, s8, 31
	s_mul_u64 s[8:9], s[18:19], s[8:9]
	s_delay_alu instid0(SALU_CYCLE_1) | instskip(NEXT) | instid1(SALU_CYCLE_1)
	s_and_b64 s[10:11], s[8:9], 0xffffffff00000000
	s_cmp_lg_u64 s[10:11], 0
	s_cbranch_scc0 .LBB38_22
; %bb.4:
	s_add_nc_u64 s[10:11], s[16:17], 0
	s_delay_alu instid0(SALU_CYCLE_1) | instskip(SKIP_4) | instid1(SALU_CYCLE_2)
	s_xor_b64 s[12:13], s[10:11], 0
	s_mov_b32 s11, 0
	s_cvt_f32_u32 s3, s12
	s_cvt_f32_u32 s7, s13
	s_sub_nc_u64 s[24:25], 0, s[12:13]
	s_fmamk_f32 s3, s7, 0x4f800000, s3
	s_delay_alu instid0(SALU_CYCLE_3) | instskip(NEXT) | instid1(TRANS32_DEP_1)
	v_s_rcp_f32 s3, s3
	s_mul_f32 s3, s3, 0x5f7ffffc
	s_delay_alu instid0(SALU_CYCLE_3) | instskip(NEXT) | instid1(SALU_CYCLE_3)
	s_mul_f32 s7, s3, 0x2f800000
	s_trunc_f32 s7, s7
	s_delay_alu instid0(SALU_CYCLE_3) | instskip(SKIP_1) | instid1(SALU_CYCLE_2)
	s_fmamk_f32 s3, s7, 0xcf800000, s3
	s_cvt_u32_f32 s23, s7
	s_cvt_u32_f32 s22, s3
	s_delay_alu instid0(SALU_CYCLE_3) | instskip(NEXT) | instid1(SALU_CYCLE_1)
	s_mul_u64 s[26:27], s[24:25], s[22:23]
	s_mul_hi_u32 s29, s22, s27
	s_mul_i32 s28, s22, s27
	s_mul_hi_u32 s10, s22, s26
	s_mul_i32 s7, s23, s26
	s_add_nc_u64 s[28:29], s[10:11], s[28:29]
	s_mul_hi_u32 s3, s23, s26
	s_mul_hi_u32 s14, s23, s27
	s_add_co_u32 s7, s28, s7
	s_add_co_ci_u32 s10, s29, s3
	s_mul_i32 s26, s23, s27
	s_add_co_ci_u32 s27, s14, 0
	s_delay_alu instid0(SALU_CYCLE_1) | instskip(NEXT) | instid1(SALU_CYCLE_1)
	s_add_nc_u64 s[26:27], s[10:11], s[26:27]
	s_add_co_u32 s22, s22, s26
	s_cselect_b32 s3, -1, 0
	s_delay_alu instid0(SALU_CYCLE_1) | instskip(SKIP_1) | instid1(SALU_CYCLE_1)
	s_cmp_lg_u32 s3, 0
	s_add_co_ci_u32 s23, s23, s27
	s_mul_u64 s[24:25], s[24:25], s[22:23]
	s_delay_alu instid0(SALU_CYCLE_1)
	s_mul_hi_u32 s27, s22, s25
	s_mul_i32 s26, s22, s25
	s_mul_hi_u32 s10, s22, s24
	s_mul_i32 s7, s23, s24
	s_add_nc_u64 s[26:27], s[10:11], s[26:27]
	s_mul_hi_u32 s3, s23, s24
	s_mul_hi_u32 s14, s23, s25
	s_add_co_u32 s7, s26, s7
	s_add_co_ci_u32 s10, s27, s3
	s_mul_i32 s24, s23, s25
	s_add_co_ci_u32 s25, s14, 0
	s_delay_alu instid0(SALU_CYCLE_1) | instskip(NEXT) | instid1(SALU_CYCLE_1)
	s_add_nc_u64 s[24:25], s[10:11], s[24:25]
	s_add_co_u32 s3, s22, s24
	s_cselect_b32 s7, -1, 0
	s_delay_alu instid0(SALU_CYCLE_1) | instskip(SKIP_2) | instid1(SALU_CYCLE_1)
	s_cmp_lg_u32 s7, 0
	s_add_co_ci_u32 s7, s23, s25
	s_ashr_i32 s22, s9, 31
	s_mov_b32 s23, s22
	s_delay_alu instid0(SALU_CYCLE_1) | instskip(NEXT) | instid1(SALU_CYCLE_1)
	s_add_nc_u64 s[24:25], s[8:9], s[22:23]
	s_xor_b64 s[24:25], s[24:25], s[22:23]
	s_delay_alu instid0(SALU_CYCLE_1)
	s_mul_hi_u32 s27, s24, s7
	s_mul_i32 s26, s24, s7
	s_mul_hi_u32 s10, s24, s3
	s_mul_hi_u32 s14, s25, s3
	s_mul_i32 s3, s25, s3
	s_add_nc_u64 s[26:27], s[10:11], s[26:27]
	s_mul_hi_u32 s9, s25, s7
	s_add_co_u32 s3, s26, s3
	s_add_co_ci_u32 s10, s27, s14
	s_mul_i32 s28, s25, s7
	s_add_co_ci_u32 s29, s9, 0
	s_delay_alu instid0(SALU_CYCLE_1) | instskip(NEXT) | instid1(SALU_CYCLE_1)
	s_add_nc_u64 s[26:27], s[10:11], s[28:29]
	s_and_b64 s[28:29], s[26:27], 0xffffffff00000000
	s_delay_alu instid0(SALU_CYCLE_1) | instskip(NEXT) | instid1(SALU_CYCLE_1)
	s_or_b32 s28, s28, s26
	s_mul_u64 s[26:27], s[12:13], s[28:29]
	s_add_nc_u64 s[30:31], s[28:29], 1
	s_sub_co_u32 s3, s24, s26
	s_cselect_b32 s7, -1, 0
	s_sub_co_i32 s9, s25, s27
	s_cmp_lg_u32 s7, 0
	s_add_nc_u64 s[34:35], s[28:29], 2
	s_sub_co_ci_u32 s9, s9, s13
	s_sub_co_u32 s10, s3, s12
	s_cselect_b32 s14, -1, 0
	s_delay_alu instid0(SALU_CYCLE_1) | instskip(SKIP_1) | instid1(SALU_CYCLE_1)
	s_cmp_lg_u32 s14, 0
	s_sub_co_ci_u32 s9, s9, 0
	s_cmp_ge_u32 s9, s13
	s_cselect_b32 s14, -1, 0
	s_cmp_ge_u32 s10, s12
	s_cselect_b32 s10, -1, 0
	s_cmp_eq_u32 s9, s13
	s_cselect_b32 s9, s10, s14
	s_delay_alu instid0(SALU_CYCLE_1) | instskip(SKIP_4) | instid1(SALU_CYCLE_1)
	s_cmp_lg_u32 s9, 0
	s_cselect_b32 s9, s34, s30
	s_cselect_b32 s10, s35, s31
	s_cmp_lg_u32 s7, 0
	s_sub_co_ci_u32 s7, s25, s27
	s_cmp_ge_u32 s7, s13
	s_cselect_b32 s14, -1, 0
	s_cmp_ge_u32 s3, s12
	s_cselect_b32 s3, -1, 0
	s_cmp_eq_u32 s7, s13
	s_cselect_b32 s3, s3, s14
	s_delay_alu instid0(SALU_CYCLE_1) | instskip(SKIP_3) | instid1(SALU_CYCLE_1)
	s_cmp_lg_u32 s3, 0
	s_cselect_b32 s13, s10, s29
	s_cselect_b32 s12, s9, s28
	s_xor_b64 s[22:23], s[22:23], 0
	s_xor_b64 s[12:13], s[12:13], s[22:23]
	s_delay_alu instid0(SALU_CYCLE_1)
	s_sub_nc_u64 s[24:25], s[12:13], s[22:23]
	s_load_b96 s[12:14], s[0:1], 0x44
	s_cbranch_execnz .LBB38_6
.LBB38_5:
	v_cvt_f32_u32_e32 v1, s16
	s_sub_co_i32 s7, 0, s16
	s_delay_alu instid0(VALU_DEP_1) | instskip(SKIP_1) | instid1(TRANS32_DEP_1)
	v_rcp_iflag_f32_e32 v1, v1
	v_nop
	v_mul_f32_e32 v1, 0x4f7ffffe, v1
	s_delay_alu instid0(VALU_DEP_1) | instskip(NEXT) | instid1(VALU_DEP_1)
	v_cvt_u32_f32_e32 v1, v1
	v_readfirstlane_b32 s3, v1
	s_mul_i32 s7, s7, s3
	s_delay_alu instid0(SALU_CYCLE_1) | instskip(NEXT) | instid1(SALU_CYCLE_1)
	s_mul_hi_u32 s7, s3, s7
	s_add_co_i32 s3, s3, s7
	s_delay_alu instid0(SALU_CYCLE_1) | instskip(NEXT) | instid1(SALU_CYCLE_1)
	s_mul_hi_u32 s3, s8, s3
	s_mul_i32 s7, s3, s16
	s_delay_alu instid0(SALU_CYCLE_1)
	s_sub_co_i32 s7, s8, s7
	s_add_co_i32 s8, s3, 1
	s_sub_co_i32 s9, s7, s16
	s_cmp_ge_u32 s7, s16
	s_cselect_b32 s3, s8, s3
	s_cselect_b32 s7, s9, s7
	s_add_co_i32 s8, s3, 1
	s_cmp_ge_u32 s7, s16
	s_cselect_b32 s24, s8, s3
.LBB38_6:
	s_delay_alu instid0(SALU_CYCLE_1)
	s_cmp_eq_u32 s20, s24
	s_mov_b64 s[8:9], 0xffffffff
	s_cselect_b32 s3, -1, 0
	s_and_b64 s[8:9], s[20:21], s[8:9]
	s_mov_b32 s23, 0
	s_wait_kmcnt 0x0
	s_mov_b32 s22, s12
	s_mov_b32 s25, s23
	s_mul_u64 s[10:11], s[8:9], s[22:23]
	s_delay_alu instid0(SALU_CYCLE_1) | instskip(SKIP_2) | instid1(SALU_CYCLE_1)
	s_add_co_i32 s7, s11, s20
	s_mul_u64 s[10:11], s[24:25], s[22:23]
	s_lshr_b32 s12, s7, s13
	s_mul_i32 s7, s12, s14
	s_delay_alu instid0(SALU_CYCLE_1) | instskip(SKIP_2) | instid1(SALU_CYCLE_1)
	s_cmp_eq_u32 s7, s20
	s_cselect_b32 s7, -1, 0
	s_add_co_i32 s10, s11, s24
	s_lshr_b32 s10, s10, s13
	s_delay_alu instid0(SALU_CYCLE_1)
	s_cmp_eq_u32 s12, s10
	s_mul_i32 s10, s10, s14
	s_cselect_b32 s11, -1, 0
	s_cmp_lg_u32 s10, s24
	s_cselect_b32 s10, -1, 0
	s_or_b32 s3, s3, s7
	s_and_b32 s10, s11, s10
	s_delay_alu instid0(SALU_CYCLE_1) | instskip(NEXT) | instid1(SALU_CYCLE_1)
	s_or_b32 s3, s3, s10
	s_and_b32 vcc_lo, exec_lo, s3
	s_cbranch_vccnz .LBB38_24
; %bb.7:
	s_load_b256 s[24:31], s[0:1], 0x20
	s_bfe_u32 s7, ttmp6, 0x40014
	s_bfe_u32 s33, ttmp6, 0x40010
	s_lshr_b32 s3, ttmp7, 16
	s_add_co_i32 s7, s7, 1
	s_and_b32 s21, ttmp7, 0xffff
	s_add_co_i32 s33, s33, 1
	s_bfe_u32 s10, ttmp6, 0x40008
	s_mul_i32 s7, s3, s7
	s_bfe_u32 s34, ttmp6, 0x40004
	s_mul_i32 s33, s21, s33
	s_mov_b32 s11, s23
	s_add_co_i32 s35, s10, s7
	s_add_co_i32 s34, s34, s33
	s_cmp_eq_u32 s15, 0
	s_cselect_b32 s7, s21, s34
	s_cselect_b32 s3, s3, s35
	s_wait_kmcnt 0x0
	s_mov_b32 s10, s24
	s_delay_alu instid0(SALU_CYCLE_1) | instskip(NEXT) | instid1(SALU_CYCLE_1)
	s_mul_u64 s[8:9], s[8:9], s[10:11]
	s_add_co_i32 s8, s9, s20
	s_load_b32 s9, s[0:1], 0x40
	s_lshr_b32 s8, s8, s25
	s_delay_alu instid0(SALU_CYCLE_1) | instskip(NEXT) | instid1(SALU_CYCLE_1)
	s_mul_i32 s10, s8, s26
	s_sub_co_i32 s10, s20, s10
	s_delay_alu instid0(SALU_CYCLE_1) | instskip(NEXT) | instid1(SALU_CYCLE_1)
	s_mul_hi_u32 s11, s10, s27
	s_add_co_i32 s11, s10, s11
	s_delay_alu instid0(SALU_CYCLE_1) | instskip(NEXT) | instid1(SALU_CYCLE_1)
	s_lshr_b32 s15, s11, s28
	s_mul_i32 s11, s15, s29
	s_delay_alu instid0(SALU_CYCLE_1) | instskip(NEXT) | instid1(SALU_CYCLE_1)
	s_sub_co_i32 s10, s10, s11
	s_mul_hi_u32 s11, s10, s30
	s_delay_alu instid0(SALU_CYCLE_1) | instskip(NEXT) | instid1(SALU_CYCLE_1)
	s_add_co_i32 s11, s10, s11
	s_lshr_b32 s26, s11, s31
	s_mov_b32 s11, s23
	s_wait_kmcnt 0x0
	s_mul_i32 s9, s26, s9
	s_delay_alu instid0(SALU_CYCLE_1) | instskip(NEXT) | instid1(SALU_CYCLE_1)
	s_sub_co_i32 s10, s10, s9
	s_mul_u64 s[24:25], s[10:11], s[22:23]
	s_lshl_b32 s24, s26, 1
	s_add_co_i32 s9, s10, s25
	s_delay_alu instid0(SALU_CYCLE_1) | instskip(NEXT) | instid1(SALU_CYCLE_1)
	s_lshr_b32 s21, s9, s13
	s_lshl_b32 s9, s21, 1
	s_delay_alu instid0(SALU_CYCLE_1) | instskip(NEXT) | instid1(SALU_CYCLE_1)
	s_add_co_i32 s9, s9, s7
	s_cmp_lt_i32 s9, s4
	s_cselect_b32 s9, -1, 0
	s_add_co_i32 s10, s24, s3
	s_delay_alu instid0(SALU_CYCLE_1) | instskip(SKIP_1) | instid1(SALU_CYCLE_1)
	s_cmp_lt_i32 s10, s6
	s_cselect_b32 s10, -1, 0
	s_and_b32 s9, s9, s10
	s_delay_alu instid0(SALU_CYCLE_1)
	s_and_not1_b32 vcc_lo, exec_lo, s9
	s_cbranch_vccnz .LBB38_24
; %bb.8:
	s_mul_i32 s4, s8, s4
	s_load_b128 s[8:11], s[0:1], 0x0
	s_wait_xcnt 0x0
	s_add_co_i32 s0, s4, s7
	s_mul_i32 s15, s15, s6
	s_mul_i32 s0, s0, s5
	;; [unrolled: 1-line block ×3, first 2 shown]
	s_add_co_i32 s0, s0, s3
	s_lshl_b32 s1, s1, 9
	s_add_co_i32 s0, s0, s15
	s_lshl_b32 s15, s7, 1
	s_add_co_i32 s0, s0, s24
	s_add_co_i32 s15, s15, s3
	s_lshl_b32 s0, s0, 8
	v_lshl_or_b32 v6, s15, 8, v0
	s_add_co_i32 s1, s1, s0
	v_cvt_f32_u32_e32 v4, s16
	v_or_b32_e32 v2, s1, v0
	s_add_nc_u64 s[0:1], s[16:17], 0
	s_lshl_b32 s24, s16, 4
	s_xor_b64 s[6:7], s[0:1], 0
	s_lshl_b32 s0, s2, 2
	s_cvt_f32_u32 s3, s6
	s_add_co_i32 s0, s15, s0
	s_cvt_f32_u32 s4, s7
	s_ashr_i32 s1, s0, 31
	v_rcp_iflag_f32_e32 v4, v4
	s_lshl_b64 s[0:1], s[0:1], 3
	s_fmamk_f32 s3, s4, 0x4f800000, s3
	s_wait_kmcnt 0x0
	s_add_nc_u64 s[0:1], s[10:11], s[0:1]
	s_mov_b32 s25, 0
	s_load_b64 s[28:29], s[0:1], 0x0
	v_s_rcp_f32 s3, s3
	s_wait_xcnt 0x0
	s_lshl_b64 s[0:1], s[24:25], 2
	s_add_co_i32 s36, s2, -1
	s_add_nc_u64 s[26:27], s[10:11], s[0:1]
	s_sub_nc_u64 s[34:35], 0, s[6:7]
	v_mul_f32_e32 v4, 0x4f7ffffe, v4
	s_delay_alu instid0(TRANS32_DEP_1) | instskip(NEXT) | instid1(VALU_DEP_1)
	s_mul_f32 s3, s3, 0x5f7ffffc
	v_cvt_u32_f32_e32 v7, v4
	s_delay_alu instid0(SALU_CYCLE_2) | instskip(NEXT) | instid1(SALU_CYCLE_3)
	s_mul_f32 s4, s3, 0x2f800000
	s_trunc_f32 s4, s4
	s_wait_kmcnt 0x0
	v_mov_b32_e32 v0, s29
	global_load_b32 v1, v2, s[8:9] scale_offset
	v_ashrrev_i32_e32 v3, 31, v2
	s_fmamk_f32 s0, s4, 0xcf800000, s3
	s_cvt_u32_f32 s31, s4
	s_wait_xcnt 0x0
	s_delay_alu instid0(VALU_DEP_1)
	v_lshl_add_u64 v[2:3], v[2:3], 2, s[8:9]
	s_cvt_u32_f32 s30, s0
	s_mov_b64 s[8:9], 0xffffffff
.LBB38_9:                               ; =>This Inner Loop Header: Depth=1
	s_ashr_i32 s37, s36, 31
                                        ; implicit-def: $sgpr40_sgpr41
	s_delay_alu instid0(SALU_CYCLE_1) | instskip(NEXT) | instid1(SALU_CYCLE_1)
	s_mul_u64 s[0:1], s[36:37], s[18:19]
	s_and_b64 s[2:3], s[0:1], 0xffffffff00000000
	s_delay_alu instid0(SALU_CYCLE_1)
	s_cmp_lg_u64 s[2:3], 0
	s_mov_b32 s2, -1
	s_cbranch_scc0 .LBB38_11
; %bb.10:                               ;   in Loop: Header=BB38_9 Depth=1
	s_mul_u64 s[2:3], s[34:35], s[30:31]
	s_delay_alu instid0(SALU_CYCLE_1)
	s_mul_hi_u32 s5, s30, s3
	s_mul_i32 s4, s30, s3
	s_mul_hi_u32 s24, s30, s2
	s_mul_hi_u32 s17, s31, s2
	s_add_nc_u64 s[4:5], s[24:25], s[4:5]
	s_mul_i32 s2, s31, s2
	s_mul_hi_u32 s21, s31, s3
	s_add_co_u32 s2, s4, s2
	s_add_co_ci_u32 s24, s5, s17
	s_add_co_ci_u32 s5, s21, 0
	s_mul_i32 s4, s31, s3
	s_delay_alu instid0(SALU_CYCLE_1) | instskip(NEXT) | instid1(SALU_CYCLE_1)
	s_add_nc_u64 s[2:3], s[24:25], s[4:5]
	s_add_co_u32 s2, s30, s2
	s_cselect_b32 s4, -1, 0
	s_delay_alu instid0(SALU_CYCLE_1) | instskip(SKIP_1) | instid1(SALU_CYCLE_1)
	s_cmp_lg_u32 s4, 0
	s_add_co_ci_u32 s3, s31, s3
	s_mul_u64 s[4:5], s[34:35], s[2:3]
	s_delay_alu instid0(SALU_CYCLE_1)
	s_mul_hi_u32 s39, s2, s5
	s_mul_i32 s38, s2, s5
	s_mul_hi_u32 s24, s2, s4
	s_mul_hi_u32 s17, s3, s4
	s_mul_i32 s4, s3, s4
	s_add_nc_u64 s[38:39], s[24:25], s[38:39]
	s_mul_hi_u32 s21, s3, s5
	s_add_co_u32 s4, s38, s4
	s_add_co_ci_u32 s24, s39, s17
	s_mul_i32 s4, s3, s5
	s_add_co_ci_u32 s5, s21, 0
	s_delay_alu instid0(SALU_CYCLE_1) | instskip(NEXT) | instid1(SALU_CYCLE_1)
	s_add_nc_u64 s[4:5], s[24:25], s[4:5]
	s_add_co_u32 s17, s2, s4
	s_cselect_b32 s2, -1, 0
	s_delay_alu instid0(SALU_CYCLE_1) | instskip(SKIP_2) | instid1(SALU_CYCLE_1)
	s_cmp_lg_u32 s2, 0
	s_add_co_ci_u32 s21, s3, s5
	s_ashr_i32 s2, s1, 31
	s_mov_b32 s3, s2
	s_delay_alu instid0(SALU_CYCLE_1) | instskip(NEXT) | instid1(SALU_CYCLE_1)
	s_add_nc_u64 s[4:5], s[0:1], s[2:3]
	s_xor_b64 s[4:5], s[4:5], s[2:3]
	s_delay_alu instid0(SALU_CYCLE_1)
	s_mul_hi_u32 s39, s4, s21
	s_mul_i32 s38, s4, s21
	s_mul_hi_u32 s24, s4, s17
	s_mul_hi_u32 s29, s5, s17
	s_mul_i32 s17, s5, s17
	s_add_nc_u64 s[38:39], s[24:25], s[38:39]
	s_mul_hi_u32 s1, s5, s21
	s_add_co_u32 s17, s38, s17
	s_add_co_ci_u32 s24, s39, s29
	s_mul_i32 s40, s5, s21
	s_add_co_ci_u32 s41, s1, 0
	s_delay_alu instid0(SALU_CYCLE_1) | instskip(NEXT) | instid1(SALU_CYCLE_1)
	s_add_nc_u64 s[38:39], s[24:25], s[40:41]
	s_and_b64 s[40:41], s[38:39], 0xffffffff00000000
	s_delay_alu instid0(SALU_CYCLE_1) | instskip(NEXT) | instid1(SALU_CYCLE_1)
	s_or_b32 s40, s40, s38
	s_mul_u64 s[38:39], s[6:7], s[40:41]
	s_add_nc_u64 s[42:43], s[40:41], 1
	s_sub_co_u32 s1, s4, s38
	s_cselect_b32 s4, -1, 0
	s_sub_co_i32 s17, s5, s39
	s_cmp_lg_u32 s4, 0
	s_add_nc_u64 s[44:45], s[40:41], 2
	s_sub_co_ci_u32 s17, s17, s7
	s_sub_co_u32 s21, s1, s6
	s_cselect_b32 s24, -1, 0
	s_delay_alu instid0(SALU_CYCLE_1) | instskip(SKIP_1) | instid1(SALU_CYCLE_1)
	s_cmp_lg_u32 s24, 0
	s_sub_co_ci_u32 s17, s17, 0
	s_cmp_ge_u32 s17, s7
	s_cselect_b32 s24, -1, 0
	s_cmp_ge_u32 s21, s6
	s_cselect_b32 s21, -1, 0
	s_cmp_eq_u32 s17, s7
	s_cselect_b32 s17, s21, s24
	s_delay_alu instid0(SALU_CYCLE_1) | instskip(SKIP_4) | instid1(SALU_CYCLE_1)
	s_cmp_lg_u32 s17, 0
	s_cselect_b32 s17, s44, s42
	s_cselect_b32 s21, s45, s43
	s_cmp_lg_u32 s4, 0
	s_sub_co_ci_u32 s4, s5, s39
	s_cmp_ge_u32 s4, s7
	s_cselect_b32 s5, -1, 0
	s_cmp_ge_u32 s1, s6
	s_cselect_b32 s1, -1, 0
	s_cmp_eq_u32 s4, s7
	s_cselect_b32 s1, s1, s5
	s_delay_alu instid0(SALU_CYCLE_1) | instskip(SKIP_3) | instid1(SALU_CYCLE_1)
	s_cmp_lg_u32 s1, 0
	s_cselect_b32 s5, s21, s41
	s_cselect_b32 s4, s17, s40
	s_xor_b64 s[2:3], s[2:3], 0
	s_xor_b64 s[4:5], s[4:5], s[2:3]
	s_delay_alu instid0(SALU_CYCLE_1)
	s_sub_nc_u64 s[40:41], s[4:5], s[2:3]
	s_mov_b32 s2, 0
.LBB38_11:                              ;   in Loop: Header=BB38_9 Depth=1
	s_delay_alu instid0(SALU_CYCLE_1)
	s_and_not1_b32 vcc_lo, exec_lo, s2
	s_cbranch_vccnz .LBB38_13
; %bb.12:                               ;   in Loop: Header=BB38_9 Depth=1
	v_readfirstlane_b32 s1, v7
	s_sub_co_i32 s2, 0, s16
	s_delay_alu instid0(SALU_CYCLE_1) | instskip(NEXT) | instid1(SALU_CYCLE_1)
	s_mul_i32 s2, s2, s1
	s_mul_hi_u32 s2, s1, s2
	s_delay_alu instid0(SALU_CYCLE_1) | instskip(NEXT) | instid1(SALU_CYCLE_1)
	s_add_co_i32 s1, s1, s2
	s_mul_hi_u32 s1, s0, s1
	s_delay_alu instid0(SALU_CYCLE_1) | instskip(NEXT) | instid1(SALU_CYCLE_1)
	s_mul_i32 s2, s1, s16
	s_sub_co_i32 s0, s0, s2
	s_add_co_i32 s2, s1, 1
	s_sub_co_i32 s3, s0, s16
	s_cmp_ge_u32 s0, s16
	s_cselect_b32 s1, s2, s1
	s_cselect_b32 s0, s3, s0
	s_add_co_i32 s2, s1, 1
	s_cmp_ge_u32 s0, s16
	s_cselect_b32 s24, s2, s1
	s_delay_alu instid0(SALU_CYCLE_1)
	s_mov_b64 s[40:41], s[24:25]
.LBB38_13:                              ;   in Loop: Header=BB38_9 Depth=1
	s_delay_alu instid0(SALU_CYCLE_1)
	s_cmp_lg_u32 s20, s40
	s_mov_b32 s0, -1
                                        ; implicit-def: $vgpr4_vgpr5
                                        ; implicit-def: $sgpr24
                                        ; implicit-def: $sgpr17
                                        ; implicit-def: $sgpr21
                                        ; implicit-def: $sgpr29
	s_cbranch_scc0 .LBB38_18
; %bb.14:                               ;   in Loop: Header=BB38_9 Depth=1
	s_add_co_i32 s0, s36, s16
	v_max_num_f32_e64 v4, s28, s28
	s_lshl_b32 s0, s0, 2
	s_mov_b32 s29, s20
	s_add_co_i32 s0, s0, s15
	s_load_b64 s[38:39], s[10:11], s0 offset:0x0 scale_offset
	s_wait_xcnt 0x0
	v_readfirstlane_b32 s0, v4
	s_wait_kmcnt 0x0
	v_max_num_f32_e64 v5, s38, s38
	s_delay_alu instid0(VALU_DEP_1) | instskip(SKIP_1) | instid1(SALU_CYCLE_3)
	v_readfirstlane_b32 s1, v5
	s_max_num_f32 s17, s0, s1
	s_sub_f32 s33, s28, s17
	s_sub_f32 s37, s38, s17
	s_delay_alu instid0(SALU_CYCLE_2)
	s_cmp_nlt_f32 s33, 0xc2ce8ed0
	s_cselect_b32 s1, -1, 0
	s_cmp_ngt_f32 s33, 0x42b17218
	s_cselect_b32 s2, -1, 0
	s_cmp_ge_f32 s33, 0xc1a00000
	s_cselect_b32 s0, -1, 0
	s_cmp_nlt_f32 s37, 0xc2ce8ed0
	s_cselect_b32 s3, -1, 0
	s_cmp_ngt_f32 s37, 0x42b17218
	s_cselect_b32 s4, -1, 0
	s_cmp_ge_f32 s37, 0xc1a00000
	s_cselect_b32 s5, -1, 0
	s_and_b64 s[42:43], s[40:41], s[8:9]
	s_delay_alu instid0(SALU_CYCLE_1) | instskip(NEXT) | instid1(SALU_CYCLE_1)
	s_mul_u64 s[42:43], s[42:43], s[22:23]
	s_add_co_i32 s21, s43, s40
	s_delay_alu instid0(SALU_CYCLE_1) | instskip(NEXT) | instid1(SALU_CYCLE_1)
	s_lshr_b32 s21, s21, s13
	s_mul_i32 s24, s21, s14
	s_delay_alu instid0(SALU_CYCLE_1) | instskip(SKIP_3) | instid1(SALU_CYCLE_1)
	s_cmp_eq_u32 s24, s40
	s_cselect_b32 s24, -1, 0
	s_cmp_lt_u32 s21, s12
	s_cselect_b32 s21, -1, 0
	s_or_b32 s21, s21, s24
	s_mov_b32 s24, -1
	s_and_b32 vcc_lo, exec_lo, s21
	s_mov_b32 s21, s36
	s_cbranch_vccnz .LBB38_16
; %bb.15:                               ;   in Loop: Header=BB38_9 Depth=1
	s_add_co_i32 s21, s36, -1
	s_mov_b32 s24, 0
	s_mov_b32 s29, s40
.LBB38_16:                              ;   in Loop: Header=BB38_9 Depth=1
	v_lshl_add_u32 v4, s36, 10, v6
	s_mul_f32 s40, s33, 0x3fb8aa3b
	s_mul_f32 s38, s37, 0x3fb8aa3b
	s_delay_alu instid0(SALU_CYCLE_2)
	s_xor_b32 s42, s40, 0x80000000
	global_load_b32 v5, v4, s[26:27] scale_offset
	s_fmamk_f32 s42, s33, 0x3fb8aa3b, s42
	s_rndne_f32 s44, s40
	s_xor_b32 s41, s38, 0x80000000
	s_rndne_f32 s43, s38
	s_fmamk_f32 s33, s33, 0x32a5705f, s42
	s_sub_f32 s40, s40, s44
	s_fmamk_f32 s41, s37, 0x3fb8aa3b, s41
	s_sub_f32 s38, s38, s43
	s_delay_alu instid0(SALU_CYCLE_1) | instskip(NEXT) | instid1(SALU_CYCLE_1)
	s_add_f32 s33, s40, s33
	s_fmamk_f32 s37, s37, 0x32a5705f, s41
	s_cvt_i32_f32 s40, s44
	s_delay_alu instid0(SALU_CYCLE_1) | instskip(NEXT) | instid1(SALU_CYCLE_1)
	v_s_exp_f32 s33, s33
	s_add_f32 s37, s38, s37
	s_cvt_i32_f32 s38, s43
	s_delay_alu instid0(SALU_CYCLE_2) | instskip(NEXT) | instid1(TRANS32_DEP_2)
	v_s_exp_f32 s37, s37
	v_ldexp_f32 v8, s33, s40
	s_wait_xcnt 0x0
	s_delay_alu instid0(TRANS32_DEP_1) | instskip(NEXT) | instid1(VALU_DEP_2)
	v_ldexp_f32 v4, s37, s38
	v_cndmask_b32_e64 v8, 0, v8, s1
	s_delay_alu instid0(VALU_DEP_1) | instskip(NEXT) | instid1(VALU_DEP_1)
	v_cndmask_b32_e64 v9, 0x7f800000, v8, s2
	v_dual_cndmask_b32 v4, 0, v4, s3 :: v_dual_cndmask_b32 v10, 0, v9, s0
	s_delay_alu instid0(VALU_DEP_1) | instskip(NEXT) | instid1(VALU_DEP_1)
	v_cndmask_b32_e64 v4, 0x7f800000, v4, s4
	v_dual_cndmask_b32 v8, 0, v4, s5 :: v_dual_mov_b32 v4, s39
	s_wait_loadcnt 0x0
	s_delay_alu instid0(VALU_DEP_1) | instskip(NEXT) | instid1(VALU_DEP_1)
	v_pk_mul_f32 v[4:5], v[4:5], v[8:9] op_sel_hi:[1,0]
	v_pk_fma_f32 v[4:5], v[0:1], v[10:11], v[4:5] op_sel_hi:[1,0,1]
	s_cbranch_execz .LBB38_19
.LBB38_17:                              ;   in Loop: Header=BB38_9 Depth=1
	s_and_not1_b32 vcc_lo, exec_lo, s24
	s_cbranch_vccnz .LBB38_20
	s_branch .LBB38_23
.LBB38_18:                              ;   in Loop: Header=BB38_9 Depth=1
	s_and_not1_b32 vcc_lo, exec_lo, s0
	s_cbranch_vccnz .LBB38_17
.LBB38_19:                              ;   in Loop: Header=BB38_9 Depth=1
	s_wait_loadcnt 0x0
	v_mov_b64_e32 v[4:5], v[0:1]
	s_add_co_i32 s21, s36, -1
	s_mov_b32 s29, s20
	s_mov_b32 s17, s28
	s_cbranch_execz .LBB38_23
.LBB38_20:                              ;   in Loop: Header=BB38_9 Depth=1
	s_wait_loadcnt 0x0
	s_delay_alu instid0(VALU_DEP_1)
	v_mov_b64_e32 v[0:1], v[4:5]
	s_mov_b32 s20, s29
	s_mov_b32 s36, s21
	;; [unrolled: 1-line block ×3, first 2 shown]
	s_branch .LBB38_9
.LBB38_21:
                                        ; implicit-def: $sgpr20_sgpr21
	s_branch .LBB38_2
.LBB38_22:
                                        ; implicit-def: $sgpr24_sgpr25
	s_load_b96 s[12:14], s[0:1], 0x44
	s_branch .LBB38_5
.LBB38_23:
	s_delay_alu instid0(VALU_DEP_1) | instskip(SKIP_1) | instid1(VALU_DEP_1)
	v_div_scale_f32 v0, null, v4, v4, v5
	s_wait_loadcnt 0x0
	v_rcp_f32_e32 v1, v0
	v_nop
	s_delay_alu instid0(TRANS32_DEP_1) | instskip(NEXT) | instid1(VALU_DEP_1)
	v_fma_f32 v6, -v0, v1, 1.0
	v_fmac_f32_e32 v1, v6, v1
	v_div_scale_f32 v6, vcc_lo, v5, v4, v5
	s_delay_alu instid0(VALU_DEP_1) | instskip(NEXT) | instid1(VALU_DEP_1)
	v_mul_f32_e32 v7, v6, v1
	v_fma_f32 v8, -v0, v7, v6
	s_delay_alu instid0(VALU_DEP_1) | instskip(NEXT) | instid1(VALU_DEP_1)
	v_fmac_f32_e32 v7, v8, v1
	v_fma_f32 v0, -v0, v7, v6
	s_delay_alu instid0(VALU_DEP_1) | instskip(NEXT) | instid1(VALU_DEP_1)
	v_div_fmas_f32 v0, v0, v1, v7
	v_div_fixup_f32 v0, v0, v4, v5
	global_store_b32 v[2:3], v0, off
.LBB38_24:
	s_endpgm
	.section	.rodata,"a",@progbits
	.p2align	6, 0x0
	.amdhsa_kernel _ZL33flash_attn_stream_k_fixup_generalILi256ELi2ELi2EEvPfPK15HIP_vector_typeIfLj2EEiiiiS1_IjLj3EES5_S5_S5_
		.amdhsa_group_segment_fixed_size 0
		.amdhsa_private_segment_fixed_size 0
		.amdhsa_kernarg_size 336
		.amdhsa_user_sgpr_count 2
		.amdhsa_user_sgpr_dispatch_ptr 0
		.amdhsa_user_sgpr_queue_ptr 0
		.amdhsa_user_sgpr_kernarg_segment_ptr 1
		.amdhsa_user_sgpr_dispatch_id 0
		.amdhsa_user_sgpr_kernarg_preload_length 0
		.amdhsa_user_sgpr_kernarg_preload_offset 0
		.amdhsa_user_sgpr_private_segment_size 0
		.amdhsa_wavefront_size32 1
		.amdhsa_uses_dynamic_stack 0
		.amdhsa_enable_private_segment 0
		.amdhsa_system_sgpr_workgroup_id_x 1
		.amdhsa_system_sgpr_workgroup_id_y 1
		.amdhsa_system_sgpr_workgroup_id_z 1
		.amdhsa_system_sgpr_workgroup_info 0
		.amdhsa_system_vgpr_workitem_id 0
		.amdhsa_next_free_vgpr 12
		.amdhsa_next_free_sgpr 46
		.amdhsa_named_barrier_count 0
		.amdhsa_reserve_vcc 1
		.amdhsa_float_round_mode_32 0
		.amdhsa_float_round_mode_16_64 0
		.amdhsa_float_denorm_mode_32 3
		.amdhsa_float_denorm_mode_16_64 3
		.amdhsa_fp16_overflow 0
		.amdhsa_memory_ordered 1
		.amdhsa_forward_progress 1
		.amdhsa_inst_pref_size 27
		.amdhsa_round_robin_scheduling 0
		.amdhsa_exception_fp_ieee_invalid_op 0
		.amdhsa_exception_fp_denorm_src 0
		.amdhsa_exception_fp_ieee_div_zero 0
		.amdhsa_exception_fp_ieee_overflow 0
		.amdhsa_exception_fp_ieee_underflow 0
		.amdhsa_exception_fp_ieee_inexact 0
		.amdhsa_exception_int_div_zero 0
	.end_amdhsa_kernel
	.section	.text._ZL33flash_attn_stream_k_fixup_generalILi256ELi2ELi2EEvPfPK15HIP_vector_typeIfLj2EEiiiiS1_IjLj3EES5_S5_S5_,"axG",@progbits,_ZL33flash_attn_stream_k_fixup_generalILi256ELi2ELi2EEvPfPK15HIP_vector_typeIfLj2EEiiiiS1_IjLj3EES5_S5_S5_,comdat
.Lfunc_end38:
	.size	_ZL33flash_attn_stream_k_fixup_generalILi256ELi2ELi2EEvPfPK15HIP_vector_typeIfLj2EEiiiiS1_IjLj3EES5_S5_S5_, .Lfunc_end38-_ZL33flash_attn_stream_k_fixup_generalILi256ELi2ELi2EEvPfPK15HIP_vector_typeIfLj2EEiiiiS1_IjLj3EES5_S5_S5_
                                        ; -- End function
	.set _ZL33flash_attn_stream_k_fixup_generalILi256ELi2ELi2EEvPfPK15HIP_vector_typeIfLj2EEiiiiS1_IjLj3EES5_S5_S5_.num_vgpr, 12
	.set _ZL33flash_attn_stream_k_fixup_generalILi256ELi2ELi2EEvPfPK15HIP_vector_typeIfLj2EEiiiiS1_IjLj3EES5_S5_S5_.num_agpr, 0
	.set _ZL33flash_attn_stream_k_fixup_generalILi256ELi2ELi2EEvPfPK15HIP_vector_typeIfLj2EEiiiiS1_IjLj3EES5_S5_S5_.numbered_sgpr, 46
	.set _ZL33flash_attn_stream_k_fixup_generalILi256ELi2ELi2EEvPfPK15HIP_vector_typeIfLj2EEiiiiS1_IjLj3EES5_S5_S5_.num_named_barrier, 0
	.set _ZL33flash_attn_stream_k_fixup_generalILi256ELi2ELi2EEvPfPK15HIP_vector_typeIfLj2EEiiiiS1_IjLj3EES5_S5_S5_.private_seg_size, 0
	.set _ZL33flash_attn_stream_k_fixup_generalILi256ELi2ELi2EEvPfPK15HIP_vector_typeIfLj2EEiiiiS1_IjLj3EES5_S5_S5_.uses_vcc, 1
	.set _ZL33flash_attn_stream_k_fixup_generalILi256ELi2ELi2EEvPfPK15HIP_vector_typeIfLj2EEiiiiS1_IjLj3EES5_S5_S5_.uses_flat_scratch, 0
	.set _ZL33flash_attn_stream_k_fixup_generalILi256ELi2ELi2EEvPfPK15HIP_vector_typeIfLj2EEiiiiS1_IjLj3EES5_S5_S5_.has_dyn_sized_stack, 0
	.set _ZL33flash_attn_stream_k_fixup_generalILi256ELi2ELi2EEvPfPK15HIP_vector_typeIfLj2EEiiiiS1_IjLj3EES5_S5_S5_.has_recursion, 0
	.set _ZL33flash_attn_stream_k_fixup_generalILi256ELi2ELi2EEvPfPK15HIP_vector_typeIfLj2EEiiiiS1_IjLj3EES5_S5_S5_.has_indirect_call, 0
	.section	.AMDGPU.csdata,"",@progbits
; Kernel info:
; codeLenInByte = 3360
; TotalNumSgprs: 48
; NumVgprs: 12
; ScratchSize: 0
; MemoryBound: 0
; FloatMode: 240
; IeeeMode: 1
; LDSByteSize: 0 bytes/workgroup (compile time only)
; SGPRBlocks: 0
; VGPRBlocks: 0
; NumSGPRsForWavesPerEU: 48
; NumVGPRsForWavesPerEU: 12
; NamedBarCnt: 0
; Occupancy: 16
; WaveLimiterHint : 0
; COMPUTE_PGM_RSRC2:SCRATCH_EN: 0
; COMPUTE_PGM_RSRC2:USER_SGPR: 2
; COMPUTE_PGM_RSRC2:TRAP_HANDLER: 0
; COMPUTE_PGM_RSRC2:TGID_X_EN: 1
; COMPUTE_PGM_RSRC2:TGID_Y_EN: 1
; COMPUTE_PGM_RSRC2:TGID_Z_EN: 1
; COMPUTE_PGM_RSRC2:TIDIG_COMP_CNT: 0
	.section	.text._ZL15flash_attn_tileILi256ELi256ELi1ELi2ELb0EEvPKcS1_S1_S1_S1_PKiPfP15HIP_vector_typeIfLj2EEffffjfiS5_IjLj3EEiiiiiiiiiiiliiliiiiil,"axG",@progbits,_ZL15flash_attn_tileILi256ELi256ELi1ELi2ELb0EEvPKcS1_S1_S1_S1_PKiPfP15HIP_vector_typeIfLj2EEffffjfiS5_IjLj3EEiiiiiiiiiiiliiliiiiil,comdat
	.globl	_ZL15flash_attn_tileILi256ELi256ELi1ELi2ELb0EEvPKcS1_S1_S1_S1_PKiPfP15HIP_vector_typeIfLj2EEffffjfiS5_IjLj3EEiiiiiiiiiiiliiliiiiil ; -- Begin function _ZL15flash_attn_tileILi256ELi256ELi1ELi2ELb0EEvPKcS1_S1_S1_S1_PKiPfP15HIP_vector_typeIfLj2EEffffjfiS5_IjLj3EEiiiiiiiiiiiliiliiiiil
	.p2align	8
	.type	_ZL15flash_attn_tileILi256ELi256ELi1ELi2ELb0EEvPKcS1_S1_S1_S1_PKiPfP15HIP_vector_typeIfLj2EEffffjfiS5_IjLj3EEiiiiiiiiiiiliiliiiiil,@function
_ZL15flash_attn_tileILi256ELi256ELi1ELi2ELb0EEvPKcS1_S1_S1_S1_PKiPfP15HIP_vector_typeIfLj2EEffffjfiS5_IjLj3EEiiiiiiiiiiiliiliiiiil: ; @_ZL15flash_attn_tileILi256ELi256ELi1ELi2ELb0EEvPKcS1_S1_S1_S1_PKiPfP15HIP_vector_typeIfLj2EEffffjfiS5_IjLj3EEiiiiiiiiiiiliiliiiiil
; %bb.0:
	s_clause 0x1
	s_load_b128 s[20:23], s[0:1], 0x5c
	s_load_b64 s[28:29], s[0:1], 0x80
	s_bfe_u32 s5, ttmp6, 0x40014
	s_lshr_b32 s4, ttmp7, 16
	s_add_co_i32 s5, s5, 1
	s_bfe_u32 s6, ttmp6, 0x40008
	s_mul_i32 s5, s4, s5
	s_getreg_b32 s24, hwreg(HW_REG_IB_STS2, 6, 4)
	s_add_co_i32 s6, s6, s5
	s_load_b64 s[36:37], s[0:1], 0xb8
	s_mov_b32 s35, 0
	s_mov_b64 s[30:31], 0
	s_wait_kmcnt 0x0
	s_lshr_b32 s2, s23, 31
	s_delay_alu instid0(SALU_CYCLE_1) | instskip(NEXT) | instid1(SALU_CYCLE_1)
	s_add_co_i32 s2, s23, s2
	s_ashr_i32 s2, s2, 1
	s_delay_alu instid0(SALU_CYCLE_1) | instskip(SKIP_1) | instid1(SALU_CYCLE_2)
	s_cvt_f32_u32 s3, s2
	s_sub_co_i32 s7, 0, s2
	v_rcp_iflag_f32_e32 v1, s3
	v_nop
	s_delay_alu instid0(TRANS32_DEP_1) | instskip(SKIP_1) | instid1(SALU_CYCLE_3)
	v_readfirstlane_b32 s3, v1
	s_mul_f32 s3, s3, 0x4f7ffffe
	s_cvt_u32_f32 s3, s3
	s_delay_alu instid0(SALU_CYCLE_3) | instskip(NEXT) | instid1(SALU_CYCLE_1)
	s_mul_i32 s7, s7, s3
	s_mul_hi_u32 s7, s3, s7
	s_delay_alu instid0(SALU_CYCLE_1) | instskip(SKIP_2) | instid1(SALU_CYCLE_1)
	s_add_co_i32 s3, s3, s7
	s_cmp_eq_u32 s24, 0
	s_cselect_b32 s4, s4, s6
	s_mul_hi_u32 s3, s4, s3
	s_delay_alu instid0(SALU_CYCLE_1) | instskip(SKIP_2) | instid1(SALU_CYCLE_1)
	s_mul_i32 s5, s3, s2
	s_add_co_i32 s6, s3, 1
	s_sub_co_i32 s5, s4, s5
	s_sub_co_i32 s7, s5, s2
	s_cmp_ge_u32 s5, s2
	s_cselect_b32 s3, s6, s3
	s_cselect_b32 s5, s7, s5
	s_add_co_i32 s6, s3, 1
	s_cmp_ge_u32 s5, s2
	s_cselect_b32 s2, s6, s3
	s_abs_i32 s3, s29
	s_lshl_b32 s4, s4, 1
	s_cvt_f32_u32 s5, s3
	s_sub_co_i32 s6, 0, s3
	s_mul_i32 s7, s2, s23
	s_abs_i32 s8, s23
	v_rcp_iflag_f32_e32 v1, s5
	s_sub_co_i32 s33, s4, s7
	v_nop
	s_delay_alu instid0(TRANS32_DEP_1) | instskip(SKIP_1) | instid1(SALU_CYCLE_3)
	v_readfirstlane_b32 s5, v1
	s_mul_f32 s5, s5, 0x4f7ffffe
	s_cvt_u32_f32 s5, s5
	s_delay_alu instid0(SALU_CYCLE_3) | instskip(NEXT) | instid1(SALU_CYCLE_1)
	s_mul_i32 s6, s6, s5
	s_mul_hi_u32 s6, s5, s6
	s_delay_alu instid0(SALU_CYCLE_1) | instskip(NEXT) | instid1(SALU_CYCLE_1)
	s_add_co_i32 s5, s5, s6
	s_mul_hi_u32 s4, s8, s5
	s_xor_b32 s5, s23, s29
	s_mul_i32 s6, s4, s3
	s_ashr_i32 s25, s5, 31
	s_sub_co_i32 s5, s8, s6
	s_add_co_i32 s6, s4, 1
	s_sub_co_i32 s7, s5, s3
	s_cmp_ge_u32 s5, s3
	s_cselect_b32 s4, s6, s4
	s_cselect_b32 s5, s7, s5
	s_add_co_i32 s6, s4, 1
	s_cmp_ge_u32 s5, s3
	s_cselect_b32 s3, s6, s4
	s_load_b512 s[4:19], s[0:1], 0x0
	s_xor_b32 s3, s3, s25
	s_delay_alu instid0(SALU_CYCLE_1) | instskip(NEXT) | instid1(SALU_CYCLE_1)
	s_sub_co_i32 s3, s3, s25
	s_abs_i32 s38, s3
	s_delay_alu instid0(SALU_CYCLE_1) | instskip(NEXT) | instid1(SALU_CYCLE_3)
	s_cvt_f32_u32 s25, s38
	v_rcp_iflag_f32_e32 v1, s25
	v_nop
	s_delay_alu instid0(TRANS32_DEP_1)
	v_readfirstlane_b32 s34, v1
	s_wait_kmcnt 0x0
	s_cmp_eq_u64 s[10:11], 0
	s_cbranch_scc1 .LBB39_2
; %bb.1:
	s_abs_i32 s25, s36
	s_abs_i32 s29, s2
	s_cvt_f32_u32 s26, s25
	s_sub_co_i32 s27, 0, s25
	s_delay_alu instid0(SALU_CYCLE_2) | instskip(SKIP_1) | instid1(TRANS32_DEP_1)
	v_rcp_iflag_f32_e32 v1, s26
	v_nop
	v_readfirstlane_b32 s26, v1
	s_mul_f32 s26, s26, 0x4f7ffffe
	s_delay_alu instid0(SALU_CYCLE_3) | instskip(NEXT) | instid1(SALU_CYCLE_3)
	s_cvt_u32_f32 s26, s26
	s_mul_i32 s27, s27, s26
	s_delay_alu instid0(SALU_CYCLE_1) | instskip(NEXT) | instid1(SALU_CYCLE_1)
	s_mul_hi_u32 s27, s26, s27
	s_add_co_i32 s26, s26, s27
	s_delay_alu instid0(SALU_CYCLE_1) | instskip(SKIP_2) | instid1(SALU_CYCLE_1)
	s_mul_hi_u32 s30, s29, s26
	s_load_b64 s[26:27], s[0:1], 0xc8
	s_mul_i32 s30, s30, s25
	s_sub_co_i32 s29, s29, s30
	s_ashr_i32 s30, s2, 31
	s_sub_co_i32 s31, s29, s25
	s_cmp_ge_u32 s29, s25
	s_cselect_b32 s29, s31, s29
	s_delay_alu instid0(SALU_CYCLE_1) | instskip(SKIP_2) | instid1(SALU_CYCLE_1)
	s_sub_co_i32 s31, s29, s25
	s_cmp_ge_u32 s29, s25
	s_cselect_b32 s25, s31, s29
	s_xor_b32 s25, s25, s30
	s_delay_alu instid0(SALU_CYCLE_1) | instskip(NEXT) | instid1(SALU_CYCLE_1)
	s_sub_co_i32 s30, s25, s30
	s_ashr_i32 s31, s30, 31
	s_wait_kmcnt 0x0
	s_mul_u64 s[26:27], s[26:27], s[30:31]
	s_delay_alu instid0(SALU_CYCLE_1)
	s_add_nc_u64 s[30:31], s[10:11], s[26:27]
.LBB39_2:
	s_bfe_u32 s10, ttmp6, 0x4000c
	v_dual_lshrrev_b32 v1, 10, v0 :: v_dual_mov_b32 v13, 0
	s_add_co_i32 s10, s10, 1
	s_and_b32 s11, ttmp6, 15
	s_mul_i32 s10, ttmp9, s10
	s_delay_alu instid0(VALU_DEP_1)
	v_bfe_u32 v1, v1, 1, 9
	s_add_co_i32 s11, s11, s10
	s_cmp_eq_u32 s24, 0
	s_load_b96 s[40:42], s[0:1], 0x70
	s_cselect_b32 s10, ttmp9, s11
	v_bfe_u32 v12, v0, 10, 1
	v_add_nc_u32_e32 v36, s10, v1
	v_and_b32_e32 v37, 0x3ff, v0
	v_dual_mov_b32 v3, v13 :: v_dual_mov_b32 v9, v13
	s_delay_alu instid0(VALU_DEP_3) | instskip(NEXT) | instid1(VALU_DEP_3)
	v_mul_hi_u32 v1, s20, v36
	v_dual_lshlrev_b32 v8, 4, v37 :: v_dual_lshlrev_b32 v35, 3, v37
	s_delay_alu instid0(VALU_DEP_2) | instskip(SKIP_3) | instid1(SALU_CYCLE_1)
	v_add_nc_u32_e32 v1, v36, v1
	s_wait_kmcnt 0x0
	s_mov_b32 s20, s41
	s_mul_i32 s26, s33, s41
	s_ashr_i32 s27, s26, 31
	v_lshrrev_b32_e32 v1, s21, v1
	s_ashr_i32 s21, s41, 31
	s_ashr_i32 s41, s40, 31
	s_lshr_b64 s[20:21], s[20:21], 2
	s_delay_alu instid0(VALU_DEP_1) | instskip(SKIP_2) | instid1(VALU_DEP_2)
	v_mul_lo_u32 v1, v1, s22
	v_mul_u64_e32 v[4:5], s[20:21], v[12:13]
	s_lshr_b64 s[20:21], s[40:41], 2
	v_sub_nc_u32_e32 v2, v36, v1
	v_bfe_u32 v1, v0, 10, 10
	s_delay_alu instid0(VALU_DEP_2) | instskip(SKIP_1) | instid1(SALU_CYCLE_1)
	v_mul_u64_e32 v[6:7], s[20:21], v[2:3]
	s_mul_i32 s20, s2, s42
	s_ashr_i32 s21, s20, 31
	s_cmp_eq_u64 s[14:15], 0
	s_add_nc_u64 s[4:5], s[4:5], s[20:21]
	s_delay_alu instid0(SALU_CYCLE_1)
	s_add_nc_u64 s[4:5], s[4:5], s[26:27]
	s_delay_alu instid0(VALU_DEP_4) | instid1(SALU_CYCLE_1)
	v_lshl_add_u64 v[4:5], v[4:5], 2, s[4:5]
	s_load_b32 s4, s[0:1], 0x40
	s_delay_alu instid0(VALU_DEP_1) | instskip(NEXT) | instid1(VALU_DEP_1)
	v_lshl_add_u64 v[4:5], v[6:7], 2, v[4:5]
	v_add_nc_u64_e32 v[14:15], v[4:5], v[8:9]
	s_clause 0x1
	global_load_b128 v[4:7], v[14:15], off
	global_load_b128 v[8:11], v[14:15], off offset:512
	s_wait_loadcnt 0x1
	s_wait_kmcnt 0x0
	v_fma_mixlo_f16 v3, s4, v4, 0
	v_fma_mixlo_f16 v4, s4, v5, 0
	;; [unrolled: 1-line block ×4, first 2 shown]
	s_wait_loadcnt 0x0
	v_fma_mixlo_f16 v7, s4, v8, 0
	v_fma_mixlo_f16 v8, s4, v9, 0
	v_dual_lshlrev_b32 v0, 9, v1 :: v_dual_lshlrev_b32 v4, 16, v4
	v_fma_mixlo_f16 v9, s4, v10, 0
	v_fma_mixlo_f16 v10, s4, v11, 0
	v_and_b32_e32 v3, 0xffff, v3
	v_dual_lshlrev_b32 v6, 16, v6 :: v_dual_lshlrev_b32 v8, 16, v8
	v_and_b32_e32 v7, 0xffff, v7
	v_add_nc_u32_e32 v38, 0x1200, v0
	v_and_b32_e32 v5, 0xffff, v5
	v_dual_lshlrev_b32 v10, 16, v10 :: v_dual_bitop2_b32 v3, v4, v3 bitop3:0x54
	v_and_b32_e32 v9, 0xffff, v9
	v_or_b32_e32 v8, v8, v7
	v_add_nc_u32_e32 v11, v38, v35
	v_or3_b32 v5, v6, v5, 0
	v_or3_b32 v4, 0, 0, v3
	;; [unrolled: 1-line block ×4, first 2 shown]
	ds_store_2addr_b64 v11, v[4:5], v[6:7] offset1:32
	s_wait_dscnt 0x0
	s_barrier_signal -1
	s_barrier_wait -1
	s_cbranch_scc1 .LBB39_4
; %bb.3:
	s_load_b32 s4, s[0:1], 0xd0
	s_wait_kmcnt 0x0
	s_mul_i32 s4, s4, s2
	s_delay_alu instid0(SALU_CYCLE_1)
	s_add_co_i32 s4, s4, s10
	s_load_b32 s28, s[14:15], s4 offset:0x0 scale_offset
.LBB39_4:
	s_wait_xcnt 0x0
	s_bfe_u32 s4, ttmp6, 0x40010
	s_and_b32 s5, ttmp7, 0xffff
	s_add_co_i32 s4, s4, 1
	s_bfe_u32 s10, ttmp6, 0x40004
	s_mul_i32 s4, s5, s4
	v_lshlrev_b32_e32 v13, 2, v37
	s_add_co_i32 s10, s10, s4
	s_cmp_eq_u32 s24, 0
	v_mbcnt_lo_u32_b32 v39, -1, 0
	s_cselect_b32 s29, s5, s10
	s_mov_b32 s5, 0
	s_lshl_b32 s4, s29, 5
	s_wait_kmcnt 0x0
	s_cmp_lt_i32 s4, s28
	s_cbranch_scc1 .LBB39_7
; %bb.5:
	v_mbcnt_lo_u32_b32 v3, -1, 0
	s_delay_alu instid0(VALU_DEP_1)
	v_dual_mov_b32 v40, 32 :: v_dual_bitop2_b32 v45, 16, v3 bitop3:0x14
	v_xor_b32_e32 v44, 8, v3
	v_xor_b32_e32 v43, 4, v3
	;; [unrolled: 1-line block ×4, first 2 shown]
	s_and_not1_b32 vcc_lo, exec_lo, s5
	s_cbranch_vccz .LBB39_8
; %bb.6:
	v_dual_mov_b32 v62, 0 :: v_dual_mov_b32 v47, 0
	v_dual_mov_b32 v34, 0xfeffffff :: v_dual_mov_b32 v61, 0
	;; [unrolled: 1-line block ×3, first 2 shown]
	s_branch .LBB39_11
.LBB39_7:
                                        ; implicit-def: $vgpr3
                                        ; implicit-def: $vgpr40
                                        ; implicit-def: $vgpr45
                                        ; implicit-def: $vgpr44
                                        ; implicit-def: $vgpr43
                                        ; implicit-def: $vgpr42
                                        ; implicit-def: $vgpr41
.LBB39_8:
	s_clause 0x1
	s_load_b64 s[14:15], s[0:1], 0x8c
	s_load_b128 s[24:27], s[0:1], 0x98
	s_mul_f32 s5, s34, 0x4f7ffffe
	s_sub_co_i32 s10, 0, s38
	s_load_b64 s[20:21], s[0:1], 0xa8
	s_ashr_i32 s39, s3, 31
	s_cvt_u32_f32 s5, s5
	s_abs_i32 s34, s33
	s_mov_b32 s11, s35
	s_ashr_i32 s36, s33, 31
	s_mul_i32 s10, s10, s5
	v_lshl_add_u32 v51, v1, 6, 0x1600
	s_mul_hi_u32 s3, s5, s10
	v_mul_u32_u24_e32 v52, 0x90, v37
	s_add_co_i32 s10, s5, s3
	s_ashr_i32 s5, s37, 1
	s_mul_u64 s[10:11], s[34:35], s[10:11]
	s_ashr_i32 s3, s2, 31
	s_mul_i32 s10, s11, s38
	s_xor_b32 s35, s36, s39
	s_sub_co_i32 s34, s34, s10
	s_wait_kmcnt 0x0
	s_ashr_i32 s10, s26, 2
	s_ashr_i32 s14, s14, 2
	s_add_co_i32 s26, s11, 1
	s_sub_co_i32 s36, s34, s38
	s_cmp_ge_u32 s34, s38
	s_mul_u64 s[24:25], s[24:25], s[2:3]
	s_cselect_b32 s11, s26, s11
	s_cselect_b32 s26, s36, s34
	s_add_co_i32 s34, s11, 1
	s_cmp_ge_u32 s26, s38
	s_mul_u64 s[20:21], s[20:21], s[2:3]
	s_cselect_b32 s11, s34, s11
	s_lshl_b32 s3, s14, 3
	v_and_b32_e32 v4, 28, v13
	v_lshrrev_b32_e32 v3, 3, v37
	v_mul_lo_u32 v6, s10, v1
	v_mad_u32 v53, v2, s5, v37
	s_xor_b32 s11, s11, s35
	v_lshlrev_b32_e32 v5, 2, v4
	v_lshl_add_u32 v3, v1, 2, v3
	s_sub_co_i32 s11, s11, s35
	s_add_nc_u64 s[6:7], s[6:7], s[24:25]
	s_mul_i32 s24, s11, s15
	s_add_nc_u64 s[8:9], s[8:9], s[20:21]
	v_mul_lo_u32 v14, s14, v3
	v_mad_u32_u24 v46, 0x90, v3, v5
	s_mul_i32 s20, s11, s27
	v_lshl_add_u32 v54, v37, 1, v51
	v_mov_b32_e32 v34, 0xfeffffff
	s_delay_alu instid0(VALU_DEP_3)
	v_dual_mov_b32 v40, 32 :: v_dual_add_nc_u32 v49, 0x900, v46
	v_xor_b32_e32 v45, 16, v39
	v_xor_b32_e32 v43, 4, v39
	v_dual_mov_b32 v21, 0 :: v_dual_bitop2_b32 v42, 2, v39 bitop3:0x14
	v_dual_add_nc_u32 v16, s3, v14 :: v_dual_ashrrev_i32 v15, 31, v14
	v_add_nc_u32_e32 v48, 0x480, v46
	s_delay_alu instid0(VALU_DEP_3) | instskip(NEXT) | instid1(VALU_DEP_3)
	v_dual_mov_b32 v63, v21 :: v_dual_add_nc_u32 v50, 0xd80, v46
	v_dual_add_nc_u32 v18, s3, v16 :: v_dual_ashrrev_i32 v17, 31, v16
	v_dual_lshlrev_b32 v20, 2, v4 :: v_dual_bitop2_b32 v44, 8, v39 bitop3:0x14
	s_delay_alu instid0(VALU_DEP_2) | instskip(SKIP_2) | instid1(SALU_CYCLE_1)
	v_dual_mov_b32 v62, v21 :: v_dual_add_nc_u32 v22, s3, v18
	v_ashrrev_i32_e32 v19, 31, v18
	s_lshl_b32 s3, s10, 1
	v_dual_lshlrev_b32 v24, 2, v13 :: v_dual_add_nc_u32 v8, s3, v6
	s_delay_alu instid0(VALU_DEP_3) | instskip(SKIP_1) | instid1(VALU_DEP_3)
	v_ashrrev_i32_e32 v23, 31, v22
	v_dual_ashrrev_i32 v7, 31, v6 :: v_dual_bitop2_b32 v41, 1, v39 bitop3:0x14
	v_add_nc_u32_e32 v55, v0, v24
	s_delay_alu instid0(VALU_DEP_4) | instskip(SKIP_3) | instid1(VALU_DEP_4)
	v_add_nc_u32_e32 v2, s3, v8
	v_lshl_add_u32 v1, v1, 9, v24
	v_ashrrev_i32_e32 v9, 31, v8
	v_lshlrev_b64_e32 v[26:27], 2, v[6:7]
	v_dual_mov_b32 v25, v21 :: v_dual_add_nc_u32 v0, s3, v2
	s_delay_alu instid0(VALU_DEP_4)
	v_dual_mov_b32 v61, v21 :: v_dual_add_nc_u32 v56, 0x400, v1
	v_dual_mov_b32 v60, v21 :: v_dual_add_nc_u32 v57, 0x800, v1
	v_ashrrev_i32_e32 v3, 31, v2
	v_dual_mov_b32 v47, v21 :: v_dual_add_nc_u32 v58, 0xc00, v1
	v_ashrrev_i32_e32 v1, 31, v0
	v_lshlrev_b64_e32 v[28:29], 2, v[8:9]
	s_delay_alu instid0(VALU_DEP_4)
	v_lshlrev_b64_e32 v[30:31], 2, v[2:3]
	v_add_nc_u32_e32 v59, 0x800, v35
	s_ashr_i32 s25, s24, 31
	v_lshlrev_b64_e32 v[32:33], 2, v[0:1]
	s_ashr_i32 s21, s20, 31
	s_add_nc_u64 s[6:7], s[6:7], s[24:25]
	s_add_nc_u64 s[8:9], s[8:9], s[20:21]
	s_ashr_i32 s15, s14, 31
	s_ashr_i32 s11, s10, 31
	s_add_nc_u64 s[20:21], s[0:1], 0xd0
.LBB39_9:                               ; =>This Inner Loop Header: Depth=1
	v_cmp_gt_i32_e32 vcc_lo, 32, v45
	v_dual_mov_b32 v71, 0 :: v_dual_mov_b32 v64, v34
	s_ashr_i32 s5, s4, 31
	s_or_b32 s24, s4, 8
	v_cndmask_b32_e32 v0, v39, v45, vcc_lo
	v_cmp_gt_i32_e32 vcc_lo, 32, v44
	v_add_nc_u32_e32 v34, s4, v53
	s_mul_u64 s[34:35], s[4:5], s[14:15]
	s_mul_u64 s[36:37], s[4:5], s[10:11]
	s_lshl_b64 s[34:35], s[34:35], 2
	v_cndmask_b32_e32 v1, v39, v44, vcc_lo
	v_cmp_gt_i32_e32 vcc_lo, 32, v43
	s_add_nc_u64 s[42:43], s[6:7], s[34:35]
	v_max_num_f32_e32 v70, v64, v64
	v_lshl_add_u64 v[6:7], v[16:17], 2, s[42:43]
	v_lshl_add_u64 v[72:73], v[18:19], 2, s[42:43]
	v_cndmask_b32_e32 v2, v39, v43, vcc_lo
	v_cmp_gt_i32_e32 vcc_lo, 32, v42
	v_lshl_add_u64 v[74:75], v[22:23], 2, s[42:43]
	v_add_nc_u64_e32 v[10:11], v[6:7], v[20:21]
	v_lshlrev_b32_e32 v68, 2, v1
	s_ashr_i32 s25, s24, 31
	v_cndmask_b32_e32 v3, v39, v42, vcc_lo
	v_cmp_gt_i32_e32 vcc_lo, 32, v41
	v_add_nc_u64_e32 v[6:7], v[74:75], v[20:21]
	s_lshl_b64 s[36:37], s[36:37], 2
	s_mul_u64 s[38:39], s[24:25], s[10:11]
	s_add_nc_u64 s[24:25], s[8:9], s[36:37]
	v_dual_cndmask_b32 v4, v39, v41, vcc_lo :: v_dual_lshlrev_b32 v66, 2, v3
	v_dual_lshlrev_b32 v69, 2, v0 :: v_dual_lshlrev_b32 v67, 2, v2
	v_add_nc_u64_e32 v[2:3], s[24:25], v[28:29]
	s_delay_alu instid0(VALU_DEP_3)
	v_lshlrev_b32_e32 v65, 2, v4
	v_lshl_add_u64 v[4:5], v[14:15], 2, s[42:43]
	v_add_nc_u64_e32 v[0:1], s[24:25], v[26:27]
	v_add_nc_u64_e32 v[80:81], s[24:25], v[30:31]
	;; [unrolled: 1-line block ×3, first 2 shown]
	s_or_b32 s26, s4, 16
	v_add_nc_u64_e32 v[8:9], v[4:5], v[20:21]
	v_add_nc_u64_e32 v[4:5], v[72:73], v[20:21]
	s_clause 0x1
	global_load_b128 v[72:75], v[8:9], off
	global_load_b128 v[76:79], v[10:11], off
	v_add_nc_u64_e32 v[0:1], v[0:1], v[24:25]
	v_add_nc_u64_e32 v[80:81], v[80:81], v[24:25]
	;; [unrolled: 1-line block ×3, first 2 shown]
	s_ashr_i32 s27, s26, 31
	s_delay_alu instid0(SALU_CYCLE_1)
	s_mul_u64 s[40:41], s[26:27], s[10:11]
	s_lshl_b64 s[26:27], s[38:39], 2
	s_lshl_b64 s[34:35], s[40:41], 2
	s_add_nc_u64 s[26:27], s[8:9], s[26:27]
	s_add_nc_u64 s[24:25], s[8:9], s[34:35]
	s_wait_loadcnt 0x1
	ds_store_b128 v46, v[72:75]
	s_wait_loadcnt 0x0
	ds_store_b128 v48, v[76:79]
	s_clause 0x1
	global_load_b128 v[72:75], v[4:5], off
	global_load_b128 v[76:79], v[6:7], off
	s_wait_loadcnt 0x1
	ds_store_b128 v49, v[72:75]
	s_wait_loadcnt 0x0
	ds_store_b128 v50, v[76:79]
	s_wait_dscnt 0x0
	s_barrier_signal -1
	s_barrier_wait -1
	ds_load_b128 v[72:75], v52
	ds_load_b128 v[76:79], v38
	s_wait_dscnt 0x0
	;;#ASMSTART
	v_dot2_f32_f16 v71, v72, v76, v71
	;;#ASMEND
	;;#ASMSTART
	v_dot2_f32_f16 v71, v73, v77, v71
	;;#ASMEND
	;;#ASMSTART
	v_dot2_f32_f16 v71, v74, v78, v71
	;;#ASMEND
	;;#ASMSTART
	v_dot2_f32_f16 v71, v75, v79, v71
	;;#ASMEND
	ds_load_b128 v[72:75], v52 offset:16
	ds_load_b128 v[76:79], v38 offset:16
	s_wait_dscnt 0x0
	;;#ASMSTART
	v_dot2_f32_f16 v71, v72, v76, v71
	;;#ASMEND
	;;#ASMSTART
	v_dot2_f32_f16 v71, v73, v77, v71
	;;#ASMEND
	;;#ASMSTART
	v_dot2_f32_f16 v71, v74, v78, v71
	;;#ASMEND
	;;#ASMSTART
	v_dot2_f32_f16 v71, v75, v79, v71
	;;#ASMEND
	ds_load_b128 v[72:75], v52 offset:32
	ds_load_b128 v[76:79], v38 offset:32
	;; [unrolled: 15-line block ×7, first 2 shown]
	s_wait_dscnt 0x0
	;;#ASMSTART
	v_dot2_f32_f16 v71, v72, v76, v71
	;;#ASMEND
	;;#ASMSTART
	v_dot2_f32_f16 v71, v73, v77, v71
	;;#ASMEND
	;; [unrolled: 3-line block ×4, first 2 shown]
	s_barrier_signal -1
	s_barrier_wait -1
	s_clause 0x1
	global_load_b128 v[72:75], v[8:9], off offset:128
	global_load_b128 v[76:79], v[10:11], off offset:128
	s_wait_loadcnt 0x1
	ds_store_b128 v46, v[72:75]
	s_wait_loadcnt 0x0
	ds_store_b128 v48, v[76:79]
	s_clause 0x1
	global_load_b128 v[72:75], v[4:5], off offset:128
	global_load_b128 v[76:79], v[6:7], off offset:128
	s_wait_loadcnt 0x1
	ds_store_b128 v49, v[72:75]
	s_wait_loadcnt 0x0
	ds_store_b128 v50, v[76:79]
	s_wait_dscnt 0x0
	s_barrier_signal -1
	s_barrier_wait -1
	ds_load_b128 v[72:75], v52
	ds_load_b128 v[76:79], v38 offset:128
	s_wait_dscnt 0x0
	;;#ASMSTART
	v_dot2_f32_f16 v71, v72, v76, v71
	;;#ASMEND
	;;#ASMSTART
	v_dot2_f32_f16 v71, v73, v77, v71
	;;#ASMEND
	;;#ASMSTART
	v_dot2_f32_f16 v71, v74, v78, v71
	;;#ASMEND
	;;#ASMSTART
	v_dot2_f32_f16 v71, v75, v79, v71
	;;#ASMEND
	ds_load_b128 v[72:75], v52 offset:16
	ds_load_b128 v[76:79], v38 offset:144
	s_wait_dscnt 0x0
	;;#ASMSTART
	v_dot2_f32_f16 v71, v72, v76, v71
	;;#ASMEND
	;;#ASMSTART
	v_dot2_f32_f16 v71, v73, v77, v71
	;;#ASMEND
	;;#ASMSTART
	v_dot2_f32_f16 v71, v74, v78, v71
	;;#ASMEND
	;;#ASMSTART
	v_dot2_f32_f16 v71, v75, v79, v71
	;;#ASMEND
	ds_load_b128 v[72:75], v52 offset:32
	ds_load_b128 v[76:79], v38 offset:160
	s_wait_dscnt 0x0
	;;#ASMSTART
	v_dot2_f32_f16 v71, v72, v76, v71
	;;#ASMEND
	;;#ASMSTART
	v_dot2_f32_f16 v71, v73, v77, v71
	;;#ASMEND
	;;#ASMSTART
	v_dot2_f32_f16 v71, v74, v78, v71
	;;#ASMEND
	;;#ASMSTART
	v_dot2_f32_f16 v71, v75, v79, v71
	;;#ASMEND
	ds_load_b128 v[72:75], v52 offset:48
	ds_load_b128 v[76:79], v38 offset:176
	s_wait_dscnt 0x0
	;;#ASMSTART
	v_dot2_f32_f16 v71, v72, v76, v71
	;;#ASMEND
	;;#ASMSTART
	v_dot2_f32_f16 v71, v73, v77, v71
	;;#ASMEND
	;;#ASMSTART
	v_dot2_f32_f16 v71, v74, v78, v71
	;;#ASMEND
	;;#ASMSTART
	v_dot2_f32_f16 v71, v75, v79, v71
	;;#ASMEND
	ds_load_b128 v[72:75], v52 offset:64
	ds_load_b128 v[76:79], v38 offset:192
	s_wait_dscnt 0x0
	;;#ASMSTART
	v_dot2_f32_f16 v71, v72, v76, v71
	;;#ASMEND
	;;#ASMSTART
	v_dot2_f32_f16 v71, v73, v77, v71
	;;#ASMEND
	;;#ASMSTART
	v_dot2_f32_f16 v71, v74, v78, v71
	;;#ASMEND
	;;#ASMSTART
	v_dot2_f32_f16 v71, v75, v79, v71
	;;#ASMEND
	ds_load_b128 v[72:75], v52 offset:80
	ds_load_b128 v[76:79], v38 offset:208
	s_wait_dscnt 0x0
	;;#ASMSTART
	v_dot2_f32_f16 v71, v72, v76, v71
	;;#ASMEND
	;;#ASMSTART
	v_dot2_f32_f16 v71, v73, v77, v71
	;;#ASMEND
	;;#ASMSTART
	v_dot2_f32_f16 v71, v74, v78, v71
	;;#ASMEND
	;;#ASMSTART
	v_dot2_f32_f16 v71, v75, v79, v71
	;;#ASMEND
	ds_load_b128 v[72:75], v52 offset:96
	ds_load_b128 v[76:79], v38 offset:224
	s_wait_dscnt 0x0
	;;#ASMSTART
	v_dot2_f32_f16 v71, v72, v76, v71
	;;#ASMEND
	;;#ASMSTART
	v_dot2_f32_f16 v71, v73, v77, v71
	;;#ASMEND
	;;#ASMSTART
	v_dot2_f32_f16 v71, v74, v78, v71
	;;#ASMEND
	;;#ASMSTART
	v_dot2_f32_f16 v71, v75, v79, v71
	;;#ASMEND
	ds_load_b128 v[72:75], v52 offset:112
	ds_load_b128 v[76:79], v38 offset:240
	s_wait_dscnt 0x0
	;;#ASMSTART
	v_dot2_f32_f16 v71, v72, v76, v71
	;;#ASMEND
	;;#ASMSTART
	v_dot2_f32_f16 v71, v73, v77, v71
	;;#ASMEND
	;; [unrolled: 3-line block ×4, first 2 shown]
	s_barrier_signal -1
	s_barrier_wait -1
	s_clause 0x1
	global_load_b128 v[72:75], v[8:9], off offset:256
	global_load_b128 v[76:79], v[10:11], off offset:256
	s_wait_loadcnt 0x1
	ds_store_b128 v46, v[72:75]
	s_wait_loadcnt 0x0
	ds_store_b128 v48, v[76:79]
	s_clause 0x1
	global_load_b128 v[72:75], v[4:5], off offset:256
	global_load_b128 v[76:79], v[6:7], off offset:256
	s_wait_loadcnt 0x1
	ds_store_b128 v49, v[72:75]
	s_wait_loadcnt 0x0
	ds_store_b128 v50, v[76:79]
	s_wait_dscnt 0x0
	s_barrier_signal -1
	s_barrier_wait -1
	ds_load_b128 v[72:75], v52
	ds_load_b128 v[76:79], v38 offset:256
	s_wait_dscnt 0x0
	;;#ASMSTART
	v_dot2_f32_f16 v71, v72, v76, v71
	;;#ASMEND
	;;#ASMSTART
	v_dot2_f32_f16 v71, v73, v77, v71
	;;#ASMEND
	;;#ASMSTART
	v_dot2_f32_f16 v71, v74, v78, v71
	;;#ASMEND
	;;#ASMSTART
	v_dot2_f32_f16 v71, v75, v79, v71
	;;#ASMEND
	ds_load_b128 v[72:75], v52 offset:16
	ds_load_b128 v[76:79], v38 offset:272
	s_wait_dscnt 0x0
	;;#ASMSTART
	v_dot2_f32_f16 v71, v72, v76, v71
	;;#ASMEND
	;;#ASMSTART
	v_dot2_f32_f16 v71, v73, v77, v71
	;;#ASMEND
	;;#ASMSTART
	v_dot2_f32_f16 v71, v74, v78, v71
	;;#ASMEND
	;;#ASMSTART
	v_dot2_f32_f16 v71, v75, v79, v71
	;;#ASMEND
	ds_load_b128 v[72:75], v52 offset:32
	;; [unrolled: 15-line block ×7, first 2 shown]
	ds_load_b128 v[76:79], v38 offset:368
	s_wait_dscnt 0x0
	;;#ASMSTART
	v_dot2_f32_f16 v71, v72, v76, v71
	;;#ASMEND
	;;#ASMSTART
	v_dot2_f32_f16 v71, v73, v77, v71
	;;#ASMEND
	;; [unrolled: 3-line block ×4, first 2 shown]
	s_barrier_signal -1
	s_barrier_wait -1
	s_clause 0x1
	global_load_b128 v[72:75], v[8:9], off offset:384
	global_load_b128 v[76:79], v[10:11], off offset:384
	s_wait_xcnt 0x0
	v_add_nc_u64_e32 v[10:11], s[26:27], v[28:29]
	v_add_nc_u64_e32 v[8:9], s[26:27], v[26:27]
	s_delay_alu instid0(VALU_DEP_1)
	v_add_nc_u64_e32 v[8:9], v[8:9], v[24:25]
	s_wait_loadcnt 0x1
	ds_store_b128 v46, v[72:75]
	s_wait_loadcnt 0x0
	ds_store_b128 v48, v[76:79]
	s_clause 0x1
	global_load_b128 v[72:75], v[4:5], off offset:384
	global_load_b128 v[4:7], v[6:7], off offset:384
	v_add_nc_u64_e32 v[76:77], s[24:25], v[26:27]
	v_add_nc_u64_e32 v[78:79], s[24:25], v[28:29]
	s_wait_loadcnt 0x1
	ds_store_b128 v49, v[72:75]
	s_wait_loadcnt 0x0
	ds_store_b128 v50, v[4:7]
	s_wait_dscnt 0x0
	s_barrier_signal -1
	s_barrier_wait -1
	ds_load_b128 v[4:7], v52
	ds_load_b128 v[72:75], v38 offset:384
	s_wait_dscnt 0x0
	;;#ASMSTART
	v_dot2_f32_f16 v71, v4, v72, v71
	;;#ASMEND
	;;#ASMSTART
	v_dot2_f32_f16 v71, v5, v73, v71
	;;#ASMEND
	;;#ASMSTART
	v_dot2_f32_f16 v71, v6, v74, v71
	;;#ASMEND
	;;#ASMSTART
	v_dot2_f32_f16 v71, v7, v75, v71
	;;#ASMEND
	ds_load_b128 v[4:7], v52 offset:16
	ds_load_b128 v[72:75], v38 offset:400
	s_wait_dscnt 0x0
	;;#ASMSTART
	v_dot2_f32_f16 v71, v4, v72, v71
	;;#ASMEND
	;;#ASMSTART
	v_dot2_f32_f16 v71, v5, v73, v71
	;;#ASMEND
	;;#ASMSTART
	v_dot2_f32_f16 v71, v6, v74, v71
	;;#ASMEND
	;;#ASMSTART
	v_dot2_f32_f16 v71, v7, v75, v71
	;;#ASMEND
	ds_load_b128 v[4:7], v52 offset:32
	;; [unrolled: 15-line block ×7, first 2 shown]
	ds_load_b128 v[72:75], v38 offset:496
	s_wait_dscnt 0x0
	;;#ASMSTART
	v_dot2_f32_f16 v71, v4, v72, v71
	;;#ASMEND
	;;#ASMSTART
	v_dot2_f32_f16 v71, v5, v73, v71
	;;#ASMEND
	;; [unrolled: 3-line block ×4, first 2 shown]
	global_load_u16 v4, v34, s[30:31] scale_offset
	s_wait_loadcnt 0x0
	s_barrier_signal -1
	s_barrier_wait -1
	v_add_nc_u64_e32 v[72:73], s[26:27], v[30:31]
	v_add_nc_u64_e32 v[74:75], s[26:27], v[32:33]
	v_cvt_f32_f16_e32 v4, v4
	s_delay_alu instid0(VALU_DEP_1) | instskip(NEXT) | instid1(VALU_DEP_1)
	v_add_f32_e32 v6, v71, v4
	v_add_f32_e32 v4, 0x40051340, v6
	s_delay_alu instid0(VALU_DEP_1)
	v_max_num_f32_e32 v7, v70, v4
	v_add_nc_u64_e32 v[4:5], v[2:3], v[24:25]
	v_add_nc_u64_e32 v[70:71], s[24:25], v[30:31]
	ds_bpermute_b32 v2, v69, v7
	s_wait_dscnt 0x0
	v_max_num_f32_e32 v2, v2, v2
	s_delay_alu instid0(VALU_DEP_1) | instskip(SKIP_3) | instid1(VALU_DEP_1)
	v_max_num_f32_e32 v2, v7, v2
	ds_bpermute_b32 v3, v68, v2
	s_wait_dscnt 0x0
	v_max_num_f32_e32 v3, v3, v3
	v_max_num_f32_e32 v2, v2, v3
	ds_bpermute_b32 v3, v67, v2
	s_wait_dscnt 0x0
	v_max_num_f32_e32 v3, v3, v3
	s_delay_alu instid0(VALU_DEP_1) | instskip(SKIP_3) | instid1(VALU_DEP_1)
	v_max_num_f32_e32 v2, v2, v3
	ds_bpermute_b32 v3, v66, v2
	s_wait_dscnt 0x0
	v_max_num_f32_e32 v3, v3, v3
	v_max_num_f32_e32 v2, v2, v3
	ds_bpermute_b32 v3, v65, v2
	s_wait_dscnt 0x0
	v_max_num_f32_e32 v3, v3, v3
	s_wait_xcnt 0x0
	s_delay_alu instid0(VALU_DEP_1) | instskip(NEXT) | instid1(VALU_DEP_1)
	v_max_num_f32_e32 v34, v2, v3
	v_sub_f32_e32 v6, v6, v34
	s_delay_alu instid0(VALU_DEP_1) | instskip(SKIP_1) | instid1(VALU_DEP_2)
	v_mul_f32_e32 v2, 0x3fb8aa3b, v6
	v_cmp_ngt_f32_e32 vcc_lo, 0xc2ce8ed0, v6
	v_fma_f32 v3, 0x3fb8aa3b, v6, -v2
	v_rndne_f32_e32 v7, v2
	s_delay_alu instid0(VALU_DEP_1) | instskip(SKIP_1) | instid1(VALU_DEP_2)
	v_dual_fmac_f32 v3, 0x32a5705f, v6 :: v_dual_sub_f32 v2, v2, v7
	v_cvt_i32_f32_e32 v7, v7
	v_add_f32_e32 v65, v2, v3
	global_load_b128 v[0:3], v[0:1], off
	v_sub_f32_e32 v64, v64, v34
	v_exp_f32_e32 v65, v65
	v_nop
	s_delay_alu instid0(TRANS32_DEP_1) | instskip(NEXT) | instid1(VALU_DEP_1)
	v_ldexp_f32 v7, v65, v7
	v_cndmask_b32_e32 v7, 0, v7, vcc_lo
	v_cmp_nlt_f32_e32 vcc_lo, 0x42b17218, v6
	s_delay_alu instid0(VALU_DEP_2) | instskip(SKIP_1) | instid1(VALU_DEP_2)
	v_cndmask_b32_e32 v65, 0x7f800000, v7, vcc_lo
	v_cmp_ngt_f32_e32 vcc_lo, 0xc2ce8ed0, v64
	v_cvt_f16_f32_e32 v6, v65
	ds_store_b16 v54, v6
	global_load_b128 v[4:7], v[4:5], off
	s_wait_loadcnt 0x1
	ds_store_b128 v55, v[0:3]
	v_mul_f32_e32 v0, 0x3fb8aa3b, v64
	s_delay_alu instid0(VALU_DEP_1) | instskip(SKIP_1) | instid1(VALU_DEP_1)
	v_fma_f32 v1, 0x3fb8aa3b, v64, -v0
	v_rndne_f32_e32 v66, v0
	v_dual_fmac_f32 v1, 0x32a5705f, v64 :: v_dual_sub_f32 v0, v0, v66
	v_cvt_i32_f32_e32 v66, v66
	s_delay_alu instid0(VALU_DEP_2) | instskip(SKIP_3) | instid1(TRANS32_DEP_1)
	v_add_f32_e32 v67, v0, v1
	global_load_b128 v[0:3], v[80:81], off
	v_exp_f32_e32 v67, v67
	v_nop
	v_ldexp_f32 v66, v67, v66
	s_wait_loadcnt 0x1
	ds_store_b128 v56, v[4:7]
	s_wait_xcnt 0x0
	v_cndmask_b32_e32 v80, 0, v66, vcc_lo
	global_load_b128 v[66:69], v[82:83], off
	v_cmp_nlt_f32_e32 vcc_lo, 0x42b17218, v64
	s_wait_loadcnt 0x1
	ds_store_b128 v57, v[0:3]
	s_wait_loadcnt 0x0
	ds_store_b128 v58, v[66:69]
	s_wait_dscnt 0x0
	s_barrier_signal -1
	s_barrier_wait -1
	ds_load_b128 v[0:3], v51
	v_cndmask_b32_e32 v64, 0x7f800000, v80, vcc_lo
	v_add_nc_u64_e32 v[68:69], v[72:73], v[24:25]
	v_add_nc_u64_e32 v[72:73], v[74:75], v[24:25]
	;; [unrolled: 1-line block ×4, first 2 shown]
	v_cvt_f16_f32_e32 v4, v64
	v_add_nc_u64_e32 v[78:79], v[70:71], v[24:25]
	s_delay_alu instid0(VALU_DEP_2) | instskip(SKIP_4) | instid1(VALU_DEP_2)
	v_and_b32_e32 v66, 0xffff, v4
	ds_load_2addr_b64 v[4:7], v35 offset1:32
	v_mul_u32_u24_e32 v82, 0x10001, v66
	s_wait_dscnt 0x1
	v_and_b32_e32 v66, 0xffff, v0
	v_pk_mul_f16 v63, v63, v82
	v_pk_mul_f16 v60, v60, v82
	v_dual_lshrrev_b32 v0, 16, v0 :: v_dual_lshrrev_b32 v70, 16, v3
	s_delay_alu instid0(VALU_DEP_4) | instskip(NEXT) | instid1(VALU_DEP_2)
	v_mul_u32_u24_e32 v66, 0x10001, v66
	v_mul_u32_u24_e32 v0, 0x10001, v0
	s_wait_dscnt 0x0
	s_delay_alu instid0(VALU_DEP_2)
	v_pk_fma_f16 v63, v6, v66, v63
	v_pk_mul_f16 v6, v4, v66
	v_pk_mul_f16 v83, v5, v66
	v_add_nc_u64_e32 v[4:5], s[24:25], v[32:33]
	v_pk_fma_f16 v60, v7, v66, v60
	v_add_nc_u64_e32 v[66:67], v[10:11], v[24:25]
	v_pk_fma_f16 v10, v62, v82, v6
	v_pk_fma_f16 v11, v61, v82, v83
	s_or_b32 s24, s4, 24
	v_add_nc_u64_e32 v[80:81], v[4:5], v[24:25]
	ds_load_2addr_b64 v[4:7], v35 offset0:64 offset1:96
	s_ashr_i32 s25, s24, 31
	s_delay_alu instid0(SALU_CYCLE_1) | instskip(NEXT) | instid1(SALU_CYCLE_1)
	s_mul_u64 s[24:25], s[24:25], s[10:11]
	s_lshl_b64 s[24:25], s[24:25], 2
	s_delay_alu instid0(SALU_CYCLE_1)
	s_add_nc_u64 s[24:25], s[8:9], s[24:25]
	s_wait_dscnt 0x0
	v_pk_fma_f16 v61, v6, v0, v63
	v_pk_fma_f16 v60, v7, v0, v60
	;; [unrolled: 1-line block ×4, first 2 shown]
	ds_load_2addr_b64 v[4:7], v35 offset0:128 offset1:160
	v_and_b32_e32 v11, 0xffff, v1
	v_lshrrev_b32_e32 v1, 16, v1
	s_delay_alu instid0(VALU_DEP_2) | instskip(NEXT) | instid1(VALU_DEP_2)
	v_mul_u32_u24_e32 v11, 0x10001, v11
	v_mul_u32_u24_e32 v1, 0x10001, v1
	s_wait_dscnt 0x0
	s_delay_alu instid0(VALU_DEP_2)
	v_pk_fma_f16 v61, v6, v11, v61
	v_pk_fma_f16 v60, v7, v11, v60
	;; [unrolled: 1-line block ×4, first 2 shown]
	ds_load_2addr_b64 v[4:7], v35 offset0:192 offset1:224
	s_wait_dscnt 0x0
	v_pk_fma_f16 v11, v6, v1, v61
	v_pk_fma_f16 v60, v7, v1, v60
	;; [unrolled: 1-line block ×4, first 2 shown]
	ds_load_2addr_b64 v[4:7], v59 offset1:32
	v_and_b32_e32 v1, 0xffff, v2
	s_delay_alu instid0(VALU_DEP_1) | instskip(SKIP_1) | instid1(VALU_DEP_1)
	v_mul_u32_u24_e32 v1, 0x10001, v1
	s_wait_dscnt 0x0
	v_pk_fma_f16 v11, v6, v1, v11
	v_pk_fma_f16 v60, v7, v1, v60
	v_pk_fma_f16 v10, v4, v1, v10
	v_pk_fma_f16 v0, v5, v1, v0
	ds_load_2addr_b64 v[4:7], v59 offset0:64 offset1:96
	v_lshrrev_b32_e32 v1, 16, v2
	s_delay_alu instid0(VALU_DEP_1) | instskip(SKIP_1) | instid1(VALU_DEP_1)
	v_mul_u32_u24_e32 v1, 0x10001, v1
	s_wait_dscnt 0x0
	v_pk_fma_f16 v2, v6, v1, v11
	v_pk_fma_f16 v11, v7, v1, v60
	v_pk_fma_f16 v10, v4, v1, v10
	v_pk_fma_f16 v0, v5, v1, v0
	ds_load_2addr_b64 v[4:7], v59 offset0:128 offset1:160
	v_and_b32_e32 v1, 0xffff, v3
	s_delay_alu instid0(VALU_DEP_1) | instskip(SKIP_1) | instid1(VALU_DEP_1)
	v_mul_u32_u24_e32 v1, 0x10001, v1
	s_wait_dscnt 0x0
	v_pk_fma_f16 v60, v6, v1, v2
	v_pk_fma_f16 v61, v7, v1, v11
	;; [unrolled: 1-line block ×4, first 2 shown]
	ds_load_2addr_b64 v[4:7], v59 offset0:192 offset1:224
	s_wait_dscnt 0x0
	s_barrier_signal -1
	s_barrier_wait -1
	s_clause 0x1
	global_load_b128 v[8:11], v[8:9], off
	global_load_b128 v[0:3], v[66:67], off
	s_wait_xcnt 0x0
	v_mul_u32_u24_e32 v66, 0x10001, v70
	s_delay_alu instid0(VALU_DEP_1)
	v_pk_fma_f16 v67, v6, v66, v60
	v_pk_fma_f16 v70, v7, v66, v61
	;; [unrolled: 1-line block ×4, first 2 shown]
	s_clause 0x1
	global_load_b128 v[4:7], v[68:69], off
	global_load_b128 v[60:63], v[72:73], off
	s_wait_loadcnt 0x3
	ds_store_b128 v55, v[8:11]
	s_wait_loadcnt 0x2
	ds_store_b128 v56, v[0:3]
	;; [unrolled: 2-line block ×4, first 2 shown]
	s_wait_dscnt 0x0
	s_barrier_signal -1
	s_barrier_wait -1
	ds_load_b128 v[0:3], v51 offset:16
	ds_load_2addr_b64 v[4:7], v35 offset1:32
	ds_load_2addr_b64 v[8:11], v35 offset0:64 offset1:96
	ds_load_2addr_b64 v[60:63], v35 offset0:128 offset1:160
	s_wait_dscnt 0x3
	v_and_b32_e32 v68, 0xffff, v0
	v_lshrrev_b32_e32 v0, 16, v0
	s_delay_alu instid0(VALU_DEP_2) | instskip(NEXT) | instid1(VALU_DEP_2)
	v_mul_u32_u24_e32 v68, 0x10001, v68
	v_mul_u32_u24_e32 v0, 0x10001, v0
	s_wait_dscnt 0x2
	s_delay_alu instid0(VALU_DEP_2)
	v_pk_fma_f16 v69, v4, v68, v71
	v_pk_fma_f16 v66, v5, v68, v66
	;; [unrolled: 1-line block ×4, first 2 shown]
	ds_load_2addr_b64 v[4:7], v35 offset0:192 offset1:224
	s_wait_dscnt 0x2
	v_pk_fma_f16 v69, v8, v0, v69
	v_pk_fma_f16 v66, v9, v0, v66
	;; [unrolled: 1-line block ×4, first 2 shown]
	v_and_b32_e32 v68, 0xffff, v1
	ds_load_2addr_b64 v[8:11], v59 offset1:32
	v_lshrrev_b32_e32 v1, 16, v1
	ds_load_2addr_b64 v[70:73], v59 offset0:192 offset1:224
	v_mul_u32_u24_e32 v68, 0x10001, v68
	v_mul_u32_u24_e32 v1, 0x10001, v1
	s_wait_dscnt 0x3
	s_delay_alu instid0(VALU_DEP_2)
	v_pk_fma_f16 v69, v60, v68, v69
	v_pk_fma_f16 v66, v61, v68, v66
	;; [unrolled: 1-line block ×4, first 2 shown]
	ds_load_2addr_b64 v[60:63], v59 offset0:64 offset1:96
	s_wait_dscnt 0x3
	v_pk_fma_f16 v4, v4, v1, v69
	v_pk_fma_f16 v5, v5, v1, v66
	;; [unrolled: 1-line block ×4, first 2 shown]
	v_and_b32_e32 v1, 0xffff, v2
	ds_load_2addr_b64 v[66:69], v59 offset0:128 offset1:160
	s_wait_dscnt 0x0
	s_barrier_signal -1
	s_barrier_wait -1
	v_mul_u32_u24_e32 v1, 0x10001, v1
	s_delay_alu instid0(VALU_DEP_1) | instskip(SKIP_4) | instid1(VALU_DEP_1)
	v_pk_fma_f16 v4, v8, v1, v4
	v_pk_fma_f16 v5, v9, v1, v5
	v_pk_fma_f16 v6, v10, v1, v6
	v_pk_fma_f16 v0, v11, v1, v0
	v_lshrrev_b32_e32 v1, 16, v2
	v_mul_u32_u24_e32 v1, 0x10001, v1
	s_delay_alu instid0(VALU_DEP_1)
	v_pk_fma_f16 v2, v60, v1, v4
	v_pk_fma_f16 v60, v61, v1, v5
	;; [unrolled: 1-line block ×4, first 2 shown]
	v_and_b32_e32 v1, 0xffff, v3
	s_clause 0x1
	global_load_b128 v[4:7], v[74:75], off
	global_load_b128 v[8:11], v[76:77], off
	v_mul_u32_u24_e32 v1, 0x10001, v1
	s_wait_xcnt 0x1
	s_delay_alu instid0(VALU_DEP_1)
	v_pk_fma_f16 v74, v66, v1, v2
	v_pk_fma_f16 v75, v67, v1, v60
	s_wait_xcnt 0x0
	v_pk_fma_f16 v76, v68, v1, v61
	v_pk_fma_f16 v77, v69, v1, v0
	s_clause 0x1
	global_load_b128 v[60:63], v[78:79], off
	global_load_b128 v[66:69], v[80:81], off
	s_wait_xcnt 0x1
	v_lshrrev_b32_e32 v78, 16, v3
	v_add_nc_u64_e32 v[0:1], s[24:25], v[26:27]
	v_add_nc_u64_e32 v[2:3], s[24:25], v[28:29]
	s_wait_loadcnt 0x3
	ds_store_b128 v55, v[4:7]
	s_wait_loadcnt 0x2
	ds_store_b128 v56, v[8:11]
	;; [unrolled: 2-line block ×4, first 2 shown]
	v_mul_u32_u24_e32 v78, 0x10001, v78
	s_wait_dscnt 0x0
	s_barrier_signal -1
	s_barrier_wait -1
	s_delay_alu instid0(VALU_DEP_1)
	v_pk_fma_f16 v79, v70, v78, v74
	v_pk_fma_f16 v80, v71, v78, v75
	;; [unrolled: 1-line block ×4, first 2 shown]
	v_add_nc_u64_e32 v[74:75], v[0:1], v[24:25]
	v_add_nc_u64_e32 v[76:77], v[2:3], v[24:25]
	ds_load_b128 v[6:9], v51 offset:32
	ds_load_2addr_b64 v[0:3], v35 offset1:32
	ds_load_2addr_b64 v[60:63], v35 offset0:64 offset1:96
	ds_load_2addr_b64 v[66:69], v35 offset0:128 offset1:160
	v_add_nc_u64_e32 v[70:71], s[24:25], v[30:31]
	v_add_nc_u64_e32 v[72:73], s[24:25], v[32:33]
	s_delay_alu instid0(VALU_DEP_2) | instskip(NEXT) | instid1(VALU_DEP_2)
	v_add_nc_u64_e32 v[70:71], v[70:71], v[24:25]
	v_add_nc_u64_e32 v[72:73], v[72:73], v[24:25]
	s_wait_dscnt 0x3
	v_and_b32_e32 v4, 0xffff, v6
	v_lshrrev_b32_e32 v6, 16, v6
	s_delay_alu instid0(VALU_DEP_2) | instskip(NEXT) | instid1(VALU_DEP_2)
	v_mul_u32_u24_e32 v4, 0x10001, v4
	v_mul_u32_u24_e32 v6, 0x10001, v6
	s_wait_dscnt 0x2
	s_delay_alu instid0(VALU_DEP_2)
	v_pk_fma_f16 v5, v0, v4, v79
	v_pk_fma_f16 v10, v1, v4, v80
	;; [unrolled: 1-line block ×4, first 2 shown]
	ds_load_2addr_b64 v[0:3], v35 offset0:192 offset1:224
	s_wait_dscnt 0x2
	v_pk_fma_f16 v5, v60, v6, v5
	v_pk_fma_f16 v10, v61, v6, v10
	;; [unrolled: 1-line block ×4, first 2 shown]
	v_and_b32_e32 v6, 0xffff, v7
	ds_load_2addr_b64 v[60:63], v59 offset1:32
	v_mul_u32_u24_e32 v6, 0x10001, v6
	s_wait_dscnt 0x2
	s_delay_alu instid0(VALU_DEP_1)
	v_pk_fma_f16 v5, v66, v6, v5
	v_pk_fma_f16 v10, v67, v6, v10
	;; [unrolled: 1-line block ×4, first 2 shown]
	v_lshrrev_b32_e32 v6, 16, v7
	ds_load_2addr_b64 v[66:69], v59 offset0:64 offset1:96
	v_mul_u32_u24_e32 v6, 0x10001, v6
	s_wait_dscnt 0x2
	s_delay_alu instid0(VALU_DEP_1)
	v_pk_fma_f16 v5, v0, v6, v5
	v_pk_fma_f16 v7, v1, v6, v10
	;; [unrolled: 1-line block ×4, first 2 shown]
	v_and_b32_e32 v6, 0xffff, v8
	v_lshrrev_b32_e32 v8, 16, v8
	ds_load_2addr_b64 v[0:3], v59 offset0:128 offset1:160
	v_mul_u32_u24_e32 v6, 0x10001, v6
	v_mul_u32_u24_e32 v8, 0x10001, v8
	s_wait_dscnt 0x2
	s_delay_alu instid0(VALU_DEP_2)
	v_pk_fma_f16 v11, v60, v6, v5
	v_pk_fma_f16 v60, v61, v6, v7
	;; [unrolled: 1-line block ×4, first 2 shown]
	ds_load_2addr_b64 v[4:7], v59 offset0:192 offset1:224
	s_wait_dscnt 0x0
	s_barrier_signal -1
	s_barrier_wait -1
	v_pk_fma_f16 v78, v66, v8, v11
	v_pk_fma_f16 v79, v67, v8, v60
	;; [unrolled: 1-line block ×4, first 2 shown]
	s_clause 0x1
	global_load_b128 v[60:63], v[74:75], off
	global_load_b128 v[66:69], v[76:77], off
	s_wait_xcnt 0x1
	v_and_b32_e32 v74, 0xffff, v9
	s_wait_xcnt 0x0
	v_dual_mov_b32 v76, v47 :: v_dual_lshrrev_b32 v75, 16, v9
	s_clause 0x1
	global_load_b128 v[8:11], v[70:71], off
	global_load_b128 v[70:73], v[72:73], off
	v_mov_b32_e32 v47, v65
	s_wait_loadcnt 0x3
	ds_store_b128 v55, v[60:63]
	s_wait_loadcnt 0x2
	ds_store_b128 v56, v[66:69]
	;; [unrolled: 2-line block ×4, first 2 shown]
	v_fmac_f32_e32 v47, v76, v64
	v_mul_u32_u24_e32 v64, 0x10001, v74
	v_mul_u32_u24_e32 v65, 0x10001, v75
	s_wait_dscnt 0x0
	s_barrier_signal -1
	s_barrier_wait -1
	v_pk_fma_f16 v0, v0, v64, v78
	v_pk_fma_f16 v1, v1, v64, v79
	;; [unrolled: 1-line block ×4, first 2 shown]
	s_delay_alu instid0(VALU_DEP_4) | instskip(NEXT) | instid1(VALU_DEP_4)
	v_pk_fma_f16 v74, v4, v65, v0
	v_pk_fma_f16 v75, v5, v65, v1
	s_delay_alu instid0(VALU_DEP_4) | instskip(NEXT) | instid1(VALU_DEP_4)
	v_pk_fma_f16 v76, v6, v65, v2
	v_pk_fma_f16 v77, v7, v65, v3
	ds_load_b128 v[0:3], v51 offset:48
	ds_load_2addr_b64 v[4:7], v35 offset1:32
	ds_load_2addr_b64 v[8:11], v35 offset0:64 offset1:96
	ds_load_2addr_b64 v[60:63], v35 offset0:128 offset1:160
	;; [unrolled: 1-line block ×3, first 2 shown]
	ds_load_2addr_b64 v[68:71], v59 offset1:32
	s_wait_dscnt 0x5
	v_and_b32_e32 v72, 0xffff, v0
	v_lshrrev_b32_e32 v0, 16, v0
	s_delay_alu instid0(VALU_DEP_2) | instskip(NEXT) | instid1(VALU_DEP_2)
	v_mul_u32_u24_e32 v72, 0x10001, v72
	v_mul_u32_u24_e32 v0, 0x10001, v0
	s_wait_dscnt 0x4
	s_delay_alu instid0(VALU_DEP_2)
	v_pk_fma_f16 v73, v4, v72, v74
	v_pk_fma_f16 v74, v5, v72, v75
	;; [unrolled: 1-line block ×4, first 2 shown]
	ds_load_2addr_b64 v[4:7], v59 offset0:64 offset1:96
	s_wait_dscnt 0x4
	v_pk_fma_f16 v73, v8, v0, v73
	v_pk_fma_f16 v74, v9, v0, v74
	;; [unrolled: 1-line block ×4, first 2 shown]
	v_and_b32_e32 v72, 0xffff, v1
	v_lshrrev_b32_e32 v1, 16, v1
	ds_load_2addr_b64 v[8:11], v59 offset0:128 offset1:160
	v_and_b32_e32 v76, 0xffff, v3
	v_lshrrev_b32_e32 v3, 16, v3
	v_mul_u32_u24_e32 v72, 0x10001, v72
	v_mul_u32_u24_e32 v1, 0x10001, v1
	s_wait_dscnt 0x4
	s_delay_alu instid0(VALU_DEP_2)
	v_pk_fma_f16 v60, v60, v72, v73
	v_pk_fma_f16 v61, v61, v72, v74
	;; [unrolled: 1-line block ×4, first 2 shown]
	v_and_b32_e32 v63, 0xffff, v2
	ds_load_2addr_b64 v[72:75], v59 offset0:192 offset1:224
	s_wait_dscnt 0x0
	s_barrier_signal -1
	s_barrier_wait -1
	s_load_b32 s3, s[20:21], 0x4
	v_lshrrev_b32_e32 v2, 16, v2
	v_mul_u32_u24_e32 v63, 0x10001, v63
	v_pk_fma_f16 v60, v64, v1, v60
	v_pk_fma_f16 v61, v65, v1, v61
	v_pk_fma_f16 v62, v66, v1, v62
	v_pk_fma_f16 v0, v67, v1, v0
	v_mul_u32_u24_e32 v1, 0x10001, v2
	v_pk_fma_f16 v2, v68, v63, v60
	v_pk_fma_f16 v60, v69, v63, v61
	v_pk_fma_f16 v61, v70, v63, v62
	v_pk_fma_f16 v0, v71, v63, v0
	;; [unrolled: 5-line block ×4, first 2 shown]
	s_wait_kmcnt 0x0
	s_lshl_b32 s3, s3, 5
	v_pk_fma_f16 v62, v72, v1, v2
	v_pk_fma_f16 v61, v73, v1, v3
	;; [unrolled: 1-line block ×4, first 2 shown]
	s_add_co_i32 s4, s3, s4
	s_delay_alu instid0(SALU_CYCLE_1)
	s_cmp_ge_i32 s4, s28
	s_cbranch_scc0 .LBB39_9
; %bb.10:
	v_mov_b32_e32 v3, v39
.LBB39_11:
	v_cmp_lt_i32_e32 vcc_lo, v45, v40
	s_cmp_lg_u64 s[12:13], 0
	s_cselect_b32 s3, -1, 0
	s_cmp_eq_u32 s29, 0
	v_cndmask_b32_e32 v0, v3, v45, vcc_lo
	v_cmp_lt_i32_e32 vcc_lo, v44, v40
	s_cselect_b32 s4, -1, 0
	s_delay_alu instid0(SALU_CYCLE_1) | instskip(SKIP_3) | instid1(VALU_DEP_3)
	s_and_b32 s3, s4, s3
	v_cndmask_b32_e32 v1, v3, v44, vcc_lo
	v_lshlrev_b32_e32 v0, 2, v0
	v_cmp_lt_i32_e32 vcc_lo, v43, v40
	v_lshlrev_b32_e32 v1, 2, v1
	ds_bpermute_b32 v0, v0, v47
	v_cndmask_b32_e32 v2, v3, v43, vcc_lo
	v_cmp_lt_i32_e32 vcc_lo, v42, v40
	s_wait_dscnt 0x0
	s_delay_alu instid0(VALU_DEP_2)
	v_dual_lshlrev_b32 v2, 2, v2 :: v_dual_add_f32 v0, v47, v0
	ds_bpermute_b32 v1, v1, v0
	s_wait_dscnt 0x0
	v_add_f32_e32 v0, v0, v1
	ds_bpermute_b32 v1, v2, v0
	v_cndmask_b32_e32 v2, v3, v42, vcc_lo
	v_cmp_lt_i32_e32 vcc_lo, v41, v40
	s_wait_dscnt 0x0
	s_delay_alu instid0(VALU_DEP_2) | instskip(SKIP_4) | instid1(VALU_DEP_1)
	v_dual_add_f32 v0, v0, v1 :: v_dual_lshlrev_b32 v2, 2, v2
	ds_bpermute_b32 v1, v2, v0
	v_cndmask_b32_e32 v2, v3, v41, vcc_lo
	s_and_b32 vcc_lo, exec_lo, s3
	s_wait_dscnt 0x0
	v_dual_add_f32 v0, v0, v1 :: v_dual_lshlrev_b32 v2, 2, v2
	ds_bpermute_b32 v1, v2, v0
	s_wait_dscnt 0x0
	v_dual_add_f32 v35, v0, v1 :: v_dual_add_nc_u32 v2, s33, v12
	s_cbranch_vccz .LBB39_13
; %bb.12:
	global_load_b32 v1, v2, s[12:13] scale_offset
	s_wait_loadcnt 0x0
	v_dual_max_num_f32 v0, v34, v34 :: v_dual_max_num_f32 v3, v1, v1
	s_delay_alu instid0(VALU_DEP_1) | instskip(NEXT) | instid1(VALU_DEP_1)
	v_max_num_f32_e32 v0, v0, v3
	v_sub_f32_e32 v3, v34, v0
	s_delay_alu instid0(VALU_DEP_1) | instskip(NEXT) | instid1(VALU_DEP_1)
	v_mul_f32_e32 v4, 0x3fb8aa3b, v3
	v_fma_f32 v5, 0x3fb8aa3b, v3, -v4
	s_delay_alu instid0(VALU_DEP_1) | instskip(SKIP_2) | instid1(VALU_DEP_2)
	v_fmac_f32_e32 v5, 0x32a5705f, v3
	v_sub_f32_e32 v1, v1, v0
	v_cmp_ngt_f32_e32 vcc_lo, 0xc2ce8ed0, v3
	v_mul_f32_e32 v7, 0x3fb8aa3b, v1
	v_rndne_f32_e32 v6, v4
	s_delay_alu instid0(VALU_DEP_2) | instskip(NEXT) | instid1(VALU_DEP_2)
	v_rndne_f32_e32 v8, v7
	v_sub_f32_e32 v4, v4, v6
	v_cvt_i32_f32_e32 v6, v6
	s_delay_alu instid0(VALU_DEP_2) | instskip(SKIP_2) | instid1(VALU_DEP_3)
	v_add_f32_e32 v4, v4, v5
	v_fma_f32 v5, 0x3fb8aa3b, v1, -v7
	v_sub_f32_e32 v7, v7, v8
	v_exp_f32_e32 v4, v4
	s_delay_alu instid0(VALU_DEP_2) | instskip(NEXT) | instid1(TRANS32_DEP_1)
	v_fmac_f32_e32 v5, 0x32a5705f, v1
	v_ldexp_f32 v4, v4, v6
	s_delay_alu instid0(VALU_DEP_2) | instskip(SKIP_1) | instid1(VALU_DEP_3)
	v_add_f32_e32 v5, v7, v5
	v_cvt_i32_f32_e32 v6, v8
	v_cndmask_b32_e32 v4, 0, v4, vcc_lo
	s_delay_alu instid0(VALU_DEP_3) | instskip(SKIP_1) | instid1(VALU_DEP_2)
	v_exp_f32_e32 v5, v5
	v_cmp_nlt_f32_e32 vcc_lo, 0x42b17218, v3
	v_cndmask_b32_e32 v3, 0x7f800000, v4, vcc_lo
	s_delay_alu instid0(TRANS32_DEP_1) | instskip(SKIP_1) | instid1(VALU_DEP_3)
	v_ldexp_f32 v4, v5, v6
	v_cmp_ngt_f32_e32 vcc_lo, 0xc2ce8ed0, v1
	v_cvt_f16_f32_e32 v5, v3
	s_delay_alu instid0(VALU_DEP_3) | instskip(SKIP_1) | instid1(VALU_DEP_3)
	v_cndmask_b32_e32 v4, 0, v4, vcc_lo
	v_cmp_nlt_f32_e32 vcc_lo, 0x42b17218, v1
	v_and_b32_e32 v5, 0xffff, v5
	s_delay_alu instid0(VALU_DEP_3) | instskip(NEXT) | instid1(VALU_DEP_2)
	v_cndmask_b32_e32 v1, 0x7f800000, v4, vcc_lo
	v_mul_u32_u24_e32 v4, 0x10001, v5
	s_delay_alu instid0(VALU_DEP_2) | instskip(NEXT) | instid1(VALU_DEP_2)
	v_fmac_f32_e32 v1, v35, v3
	v_pk_mul_f16 v62, v62, v4
	v_pk_mul_f16 v61, v61, v4
	;; [unrolled: 1-line block ×3, first 2 shown]
	s_delay_alu instid0(VALU_DEP_4)
	v_mov_b64_e32 v[34:35], v[0:1]
	v_pk_mul_f16 v60, v60, v4
	s_branch .LBB39_14
.LBB39_13:
	s_delay_alu instid0(VALU_DEP_1)
	v_mov_b32_e32 v1, v35
.LBB39_14:
	s_delay_alu instid0(VALU_DEP_1) | instskip(SKIP_3) | instid1(VALU_DEP_3)
	v_div_scale_f32 v5, null, v1, v1, 1.0
	v_mad_u32 v0, s2, s22, v36
	s_load_b32 s1, s[0:1], 0xd4
	v_div_scale_f32 v8, vcc_lo, 1.0, v1, 1.0
	v_rcp_f32_e32 v7, v5
	v_dual_lshrrev_b32 v15, 16, v61 :: v_dual_lshrrev_b32 v16, 16, v63
	v_cvt_f32_f16_e32 v4, v62
	v_cvt_f32_f16_e32 v6, v61
	;; [unrolled: 1-line block ×3, first 2 shown]
	s_wait_xcnt 0x0
	v_cmp_eq_u32_e64 s0, 0, v37
	v_fma_f32 v3, -v5, v7, 1.0
	v_mad_u32 v0, v0, s23, v2
	s_delay_alu instid0(VALU_DEP_2) | instskip(NEXT) | instid1(VALU_DEP_1)
	v_dual_lshrrev_b32 v17, 16, v60 :: v_dual_fmac_f32 v7, v3, v7
	v_dual_mov_b32 v3, 0 :: v_dual_mul_f32 v9, v8, v7
	s_wait_kmcnt 0x0
	s_cmp_lg_u32 s1, 1
	s_delay_alu instid0(VALU_DEP_3) | instskip(SKIP_3) | instid1(VALU_DEP_1)
	v_mad_u32 v0, s1, v0, s29
	s_cselect_b32 s1, -1, 0
	v_dual_fma_f32 v2, -v5, v9, v8 :: v_dual_lshrrev_b32 v11, 16, v62
	s_and_b32 s0, s0, s1
	v_fmac_f32_e32 v9, v2, v7
	s_delay_alu instid0(VALU_DEP_1) | instskip(NEXT) | instid1(VALU_DEP_3)
	v_fma_f32 v2, -v5, v9, v8
	v_cvt_f32_f16_e32 v5, v11
	v_cvt_f32_f16_e32 v8, v63
	;; [unrolled: 1-line block ×3, first 2 shown]
	s_delay_alu instid0(VALU_DEP_4) | instskip(SKIP_2) | instid1(VALU_DEP_3)
	v_div_fmas_f32 v7, v2, v7, v9
	v_lshl_add_u32 v2, v0, 8, v13
	v_cvt_f32_f16_e32 v9, v16
	v_div_fixup_f32 v1, v7, v1, 1.0
	s_delay_alu instid0(VALU_DEP_3) | instskip(SKIP_2) | instid1(VALU_DEP_4)
	v_lshl_add_u64 v[12:13], v[2:3], 2, s[16:17]
	v_add_nc_u32_e32 v2, 0x80, v2
	v_cvt_f32_f16_e32 v7, v15
	v_cndmask_b32_e64 v14, v1, 1.0, s1
	s_delay_alu instid0(VALU_DEP_3) | instskip(NEXT) | instid1(VALU_DEP_2)
	v_lshl_add_u64 v[16:17], v[2:3], 2, s[16:17]
	v_pk_mul_f32 v[2:3], v[14:15], v[4:5] op_sel_hi:[0,1]
	s_delay_alu instid0(VALU_DEP_4)
	v_pk_mul_f32 v[4:5], v[14:15], v[6:7] op_sel_hi:[0,1]
	v_pk_mul_f32 v[6:7], v[14:15], v[8:9] op_sel_hi:[0,1]
	;; [unrolled: 1-line block ×3, first 2 shown]
	s_clause 0x1
	global_store_b128 v[12:13], v[2:5], off
	global_store_b128 v[16:17], v[6:9], off
	s_wait_xcnt 0x0
	s_and_saveexec_b32 s1, s0
	s_cbranch_execz .LBB39_16
; %bb.15:
	global_store_b64 v0, v[34:35], s[18:19] scale_offset
.LBB39_16:
	s_sendmsg sendmsg(MSG_DEALLOC_VGPRS)
	s_endpgm
	.section	.rodata,"a",@progbits
	.p2align	6, 0x0
	.amdhsa_kernel _ZL15flash_attn_tileILi256ELi256ELi1ELi2ELb0EEvPKcS1_S1_S1_S1_PKiPfP15HIP_vector_typeIfLj2EEffffjfiS5_IjLj3EEiiiiiiiiiiiliiliiiiil
		.amdhsa_group_segment_fixed_size 5760
		.amdhsa_private_segment_fixed_size 0
		.amdhsa_kernarg_size 464
		.amdhsa_user_sgpr_count 2
		.amdhsa_user_sgpr_dispatch_ptr 0
		.amdhsa_user_sgpr_queue_ptr 0
		.amdhsa_user_sgpr_kernarg_segment_ptr 1
		.amdhsa_user_sgpr_dispatch_id 0
		.amdhsa_user_sgpr_kernarg_preload_length 0
		.amdhsa_user_sgpr_kernarg_preload_offset 0
		.amdhsa_user_sgpr_private_segment_size 0
		.amdhsa_wavefront_size32 1
		.amdhsa_uses_dynamic_stack 0
		.amdhsa_enable_private_segment 0
		.amdhsa_system_sgpr_workgroup_id_x 1
		.amdhsa_system_sgpr_workgroup_id_y 1
		.amdhsa_system_sgpr_workgroup_id_z 1
		.amdhsa_system_sgpr_workgroup_info 0
		.amdhsa_system_vgpr_workitem_id 1
		.amdhsa_next_free_vgpr 84
		.amdhsa_next_free_sgpr 44
		.amdhsa_named_barrier_count 0
		.amdhsa_reserve_vcc 1
		.amdhsa_float_round_mode_32 0
		.amdhsa_float_round_mode_16_64 0
		.amdhsa_float_denorm_mode_32 3
		.amdhsa_float_denorm_mode_16_64 3
		.amdhsa_fp16_overflow 0
		.amdhsa_memory_ordered 1
		.amdhsa_forward_progress 1
		.amdhsa_inst_pref_size 57
		.amdhsa_round_robin_scheduling 0
		.amdhsa_exception_fp_ieee_invalid_op 0
		.amdhsa_exception_fp_denorm_src 0
		.amdhsa_exception_fp_ieee_div_zero 0
		.amdhsa_exception_fp_ieee_overflow 0
		.amdhsa_exception_fp_ieee_underflow 0
		.amdhsa_exception_fp_ieee_inexact 0
		.amdhsa_exception_int_div_zero 0
	.end_amdhsa_kernel
	.section	.text._ZL15flash_attn_tileILi256ELi256ELi1ELi2ELb0EEvPKcS1_S1_S1_S1_PKiPfP15HIP_vector_typeIfLj2EEffffjfiS5_IjLj3EEiiiiiiiiiiiliiliiiiil,"axG",@progbits,_ZL15flash_attn_tileILi256ELi256ELi1ELi2ELb0EEvPKcS1_S1_S1_S1_PKiPfP15HIP_vector_typeIfLj2EEffffjfiS5_IjLj3EEiiiiiiiiiiiliiliiiiil,comdat
.Lfunc_end39:
	.size	_ZL15flash_attn_tileILi256ELi256ELi1ELi2ELb0EEvPKcS1_S1_S1_S1_PKiPfP15HIP_vector_typeIfLj2EEffffjfiS5_IjLj3EEiiiiiiiiiiiliiliiiiil, .Lfunc_end39-_ZL15flash_attn_tileILi256ELi256ELi1ELi2ELb0EEvPKcS1_S1_S1_S1_PKiPfP15HIP_vector_typeIfLj2EEffffjfiS5_IjLj3EEiiiiiiiiiiiliiliiiiil
                                        ; -- End function
	.set _ZL15flash_attn_tileILi256ELi256ELi1ELi2ELb0EEvPKcS1_S1_S1_S1_PKiPfP15HIP_vector_typeIfLj2EEffffjfiS5_IjLj3EEiiiiiiiiiiiliiliiiiil.num_vgpr, 84
	.set _ZL15flash_attn_tileILi256ELi256ELi1ELi2ELb0EEvPKcS1_S1_S1_S1_PKiPfP15HIP_vector_typeIfLj2EEffffjfiS5_IjLj3EEiiiiiiiiiiiliiliiiiil.num_agpr, 0
	.set _ZL15flash_attn_tileILi256ELi256ELi1ELi2ELb0EEvPKcS1_S1_S1_S1_PKiPfP15HIP_vector_typeIfLj2EEffffjfiS5_IjLj3EEiiiiiiiiiiiliiliiiiil.numbered_sgpr, 44
	.set _ZL15flash_attn_tileILi256ELi256ELi1ELi2ELb0EEvPKcS1_S1_S1_S1_PKiPfP15HIP_vector_typeIfLj2EEffffjfiS5_IjLj3EEiiiiiiiiiiiliiliiiiil.num_named_barrier, 0
	.set _ZL15flash_attn_tileILi256ELi256ELi1ELi2ELb0EEvPKcS1_S1_S1_S1_PKiPfP15HIP_vector_typeIfLj2EEffffjfiS5_IjLj3EEiiiiiiiiiiiliiliiiiil.private_seg_size, 0
	.set _ZL15flash_attn_tileILi256ELi256ELi1ELi2ELb0EEvPKcS1_S1_S1_S1_PKiPfP15HIP_vector_typeIfLj2EEffffjfiS5_IjLj3EEiiiiiiiiiiiliiliiiiil.uses_vcc, 1
	.set _ZL15flash_attn_tileILi256ELi256ELi1ELi2ELb0EEvPKcS1_S1_S1_S1_PKiPfP15HIP_vector_typeIfLj2EEffffjfiS5_IjLj3EEiiiiiiiiiiiliiliiiiil.uses_flat_scratch, 0
	.set _ZL15flash_attn_tileILi256ELi256ELi1ELi2ELb0EEvPKcS1_S1_S1_S1_PKiPfP15HIP_vector_typeIfLj2EEffffjfiS5_IjLj3EEiiiiiiiiiiiliiliiiiil.has_dyn_sized_stack, 0
	.set _ZL15flash_attn_tileILi256ELi256ELi1ELi2ELb0EEvPKcS1_S1_S1_S1_PKiPfP15HIP_vector_typeIfLj2EEffffjfiS5_IjLj3EEiiiiiiiiiiiliiliiiiil.has_recursion, 0
	.set _ZL15flash_attn_tileILi256ELi256ELi1ELi2ELb0EEvPKcS1_S1_S1_S1_PKiPfP15HIP_vector_typeIfLj2EEffffjfiS5_IjLj3EEiiiiiiiiiiiliiliiiiil.has_indirect_call, 0
	.section	.AMDGPU.csdata,"",@progbits
; Kernel info:
; codeLenInByte = 7172
; TotalNumSgprs: 46
; NumVgprs: 84
; ScratchSize: 0
; MemoryBound: 0
; FloatMode: 240
; IeeeMode: 1
; LDSByteSize: 5760 bytes/workgroup (compile time only)
; SGPRBlocks: 0
; VGPRBlocks: 5
; NumSGPRsForWavesPerEU: 46
; NumVGPRsForWavesPerEU: 84
; NamedBarCnt: 0
; Occupancy: 10
; WaveLimiterHint : 1
; COMPUTE_PGM_RSRC2:SCRATCH_EN: 0
; COMPUTE_PGM_RSRC2:USER_SGPR: 2
; COMPUTE_PGM_RSRC2:TRAP_HANDLER: 0
; COMPUTE_PGM_RSRC2:TGID_X_EN: 1
; COMPUTE_PGM_RSRC2:TGID_Y_EN: 1
; COMPUTE_PGM_RSRC2:TGID_Z_EN: 1
; COMPUTE_PGM_RSRC2:TIDIG_COMP_CNT: 1
	.section	.text._ZL33flash_attn_stream_k_fixup_uniformILi256ELi1ELi2EEvPfPK15HIP_vector_typeIfLj2EEiiiiiiS1_IjLj3EES5_S5_,"axG",@progbits,_ZL33flash_attn_stream_k_fixup_uniformILi256ELi1ELi2EEvPfPK15HIP_vector_typeIfLj2EEiiiiiiS1_IjLj3EES5_S5_,comdat
	.globl	_ZL33flash_attn_stream_k_fixup_uniformILi256ELi1ELi2EEvPfPK15HIP_vector_typeIfLj2EEiiiiiiS1_IjLj3EES5_S5_ ; -- Begin function _ZL33flash_attn_stream_k_fixup_uniformILi256ELi1ELi2EEvPfPK15HIP_vector_typeIfLj2EEiiiiiiS1_IjLj3EES5_S5_
	.p2align	8
	.type	_ZL33flash_attn_stream_k_fixup_uniformILi256ELi1ELi2EEvPfPK15HIP_vector_typeIfLj2EEiiiiiiS1_IjLj3EES5_S5_,@function
_ZL33flash_attn_stream_k_fixup_uniformILi256ELi1ELi2EEvPfPK15HIP_vector_typeIfLj2EEiiiiiiS1_IjLj3EES5_S5_: ; @_ZL33flash_attn_stream_k_fixup_uniformILi256ELi1ELi2EEvPfPK15HIP_vector_typeIfLj2EEiiiiiiS1_IjLj3EES5_S5_
; %bb.0:
	s_load_b256 s[4:11], s[0:1], 0x1c
	s_bfe_u32 s2, ttmp6, 0x40014
	s_lshr_b32 s3, ttmp7, 16
	s_add_co_i32 s2, s2, 1
	s_bfe_u32 s13, ttmp6, 0x40010
	s_mul_i32 s2, s3, s2
	s_bfe_u32 s12, ttmp6, 0x40008
	s_and_b32 s15, ttmp7, 0xffff
	s_add_co_i32 s13, s13, 1
	s_bfe_u32 s14, ttmp6, 0x4000c
	s_add_co_i32 s12, s12, s2
	s_mul_i32 s2, s15, s13
	s_bfe_u32 s13, ttmp6, 0x40004
	s_add_co_i32 s14, s14, 1
	s_add_co_i32 s13, s13, s2
	s_and_b32 s2, ttmp6, 15
	s_mul_i32 s14, ttmp9, s14
	s_getreg_b32 s20, hwreg(HW_REG_IB_STS2, 6, 4)
	s_add_co_i32 s2, s2, s14
	s_load_b128 s[16:19], s[0:1], 0x3c
	s_cmp_eq_u32 s20, 0
	s_cselect_b32 s14, ttmp9, s2
	s_cselect_b32 s13, s15, s13
	s_wait_kmcnt 0x0
	s_mul_hi_u32 s2, s7, s14
	s_cselect_b32 s12, s3, s12
	s_add_co_i32 s2, s14, s2
	s_delay_alu instid0(SALU_CYCLE_1) | instskip(NEXT) | instid1(SALU_CYCLE_1)
	s_lshr_b32 s7, s2, s8
	s_mul_i32 s2, s7, s9
	s_delay_alu instid0(SALU_CYCLE_1) | instskip(SKIP_2) | instid1(SALU_CYCLE_1)
	s_sub_co_i32 s8, s14, s2
	s_load_b64 s[2:3], s[0:1], 0x10
	s_mul_hi_u32 s9, s8, s10
	s_add_co_i32 s9, s8, s9
	s_delay_alu instid0(SALU_CYCLE_1) | instskip(NEXT) | instid1(SALU_CYCLE_1)
	s_lshr_b32 s15, s9, s11
	s_mul_i32 s9, s15, s16
	s_delay_alu instid0(SALU_CYCLE_1) | instskip(NEXT) | instid1(SALU_CYCLE_1)
	s_sub_co_i32 s8, s8, s9
	s_mul_hi_u32 s9, s8, s17
	s_delay_alu instid0(SALU_CYCLE_1) | instskip(NEXT) | instid1(SALU_CYCLE_1)
	s_add_co_i32 s9, s8, s9
	s_lshr_b32 s9, s9, s18
	s_delay_alu instid0(SALU_CYCLE_1) | instskip(SKIP_2) | instid1(SALU_CYCLE_1)
	s_mul_i32 s10, s9, s19
	s_lshl_b32 s17, s9, 1
	s_sub_co_i32 s16, s8, s10
	s_add_co_i32 s16, s16, s13
	s_wait_kmcnt 0x0
	s_cmp_lt_i32 s16, s2
	s_cselect_b32 s8, -1, 0
	s_add_co_i32 s17, s17, s12
	s_delay_alu instid0(SALU_CYCLE_1) | instskip(SKIP_1) | instid1(SALU_CYCLE_1)
	s_cmp_lt_i32 s17, s5
	s_cselect_b32 s9, -1, 0
	s_and_b32 s8, s8, s9
	s_delay_alu instid0(SALU_CYCLE_1)
	s_and_not1_b32 vcc_lo, exec_lo, s8
	s_cbranch_vccnz .LBB40_6
; %bb.1:
	s_load_b128 s[8:11], s[0:1], 0x0
	s_mul_i32 s7, s7, s2
	s_mul_i32 s15, s15, s5
	s_wait_xcnt 0x0
	s_add_co_i32 s0, s16, s7
	s_add_co_i32 s1, s17, s15
	s_mul_i32 s0, s0, s3
	s_mul_i32 s7, s6, s14
	s_add_co_i32 s1, s1, s0
	s_add_co_i32 s5, s7, s6
	v_lshl_or_b32 v4, s1, 8, v0
	s_add_co_i32 s0, s13, s5
	s_add_co_i32 s2, s5, -2
	s_lshl_b32 s0, s0, 1
	s_delay_alu instid0(SALU_CYCLE_1) | instskip(SKIP_2) | instid1(SALU_CYCLE_1)
	s_add_co_i32 s0, s0, s12
	v_ashrrev_i32_e32 v5, 31, v4
	s_add_co_i32 s0, s0, -2
	s_ashr_i32 s1, s0, 31
	s_delay_alu instid0(SALU_CYCLE_1)
	s_lshl_b64 s[0:1], s[0:1], 3
	s_wait_kmcnt 0x0
	global_load_b32 v3, v4, s[8:9] scale_offset
	s_add_nc_u64 s[0:1], s[10:11], s[0:1]
	s_cmp_lt_i32 s2, s7
	s_load_b32 s15, s[0:1], 0x4
	s_cbranch_scc1 .LBB40_4
; %bb.2:
	s_wait_xcnt 0x0
	s_load_b32 s0, s[0:1], 0x0
	s_add_co_i32 s14, s14, 1
	s_wait_xcnt 0x0
	s_lshl_b32 s1, s12, 8
	s_mul_i32 s3, s6, s14
	s_lshl_b32 s6, s13, 9
	s_lshl_b32 s14, s3, 9
	s_add_co_i32 s1, s1, s6
	s_lshl_b32 s2, s4, 3
	s_add_co_i32 s1, s1, s14
	s_add_co_i32 s4, s13, s4
	s_wait_kmcnt 0x0
	v_dual_mov_b32 v2, s15 :: v_dual_bitop2_b32 v0, s1, v0 bitop3:0x54
	s_add_co_i32 s4, s4, s5
	s_ashr_i32 s3, s2, 31
	s_lshl_b32 s1, s4, 1
	s_delay_alu instid0(VALU_DEP_1)
	v_add_nc_u32_e32 v0, 0xfffffc00, v0
	s_lshl_b64 s[2:3], s[2:3], 2
	s_add_co_i32 s4, s12, s1
	s_add_nc_u64 s[2:3], s[10:11], s[2:3]
	s_add_co_i32 s1, s5, -1
	s_add_co_i32 s4, s4, -4
.LBB40_3:                               ; =>This Inner Loop Header: Depth=1
	global_load_b32 v7, v0, s[2:3] scale_offset
	s_ashr_i32 s5, s4, 31
	v_max_num_f32_e64 v1, s0, s0
	s_lshl_b64 s[12:13], s[4:5], 3
	s_delay_alu instid0(SALU_CYCLE_1) | instskip(SKIP_1) | instid1(VALU_DEP_1)
	s_add_nc_u64 s[12:13], s[10:11], s[12:13]
	s_load_b64 s[12:13], s[12:13], 0x0
	v_readfirstlane_b32 s5, v1
	v_add_nc_u32_e32 v0, 0xfffffe00, v0
	s_wait_kmcnt 0x0
	v_max_num_f32_e64 v1, s12, s12
	s_delay_alu instid0(VALU_DEP_1) | instskip(SKIP_1) | instid1(SALU_CYCLE_3)
	v_readfirstlane_b32 s6, v1
	s_max_num_f32 s5, s5, s6
	s_sub_f32 s0, s0, s5
	s_sub_f32 s6, s12, s5
	s_delay_alu instid0(SALU_CYCLE_2) | instskip(NEXT) | instid1(SALU_CYCLE_2)
	s_mul_f32 s12, s0, 0x3fb8aa3b
	s_mul_f32 s14, s6, 0x3fb8aa3b
	s_delay_alu instid0(SALU_CYCLE_2)
	s_xor_b32 s15, s12, 0x80000000
	s_rndne_f32 s16, s12
	s_fmamk_f32 s15, s0, 0x3fb8aa3b, s15
	s_cmp_nlt_f32 s0, 0xc2ce8ed0
	s_rndne_f32 s17, s14
	s_sub_f32 s12, s12, s16
	s_fmamk_f32 s15, s0, 0x32a5705f, s15
	s_cselect_b32 vcc_lo, -1, 0
	s_cmp_ngt_f32 s0, 0x42b17218
	s_delay_alu instid0(SALU_CYCLE_1) | instskip(SKIP_2) | instid1(SALU_CYCLE_1)
	s_add_f32 s12, s12, s15
	s_cvt_i32_f32 s15, s16
	s_sub_f32 s16, s14, s17
	v_s_exp_f32 s12, s12
	v_nop
	s_delay_alu instid0(TRANS32_DEP_1) | instskip(SKIP_1) | instid1(VALU_DEP_1)
	v_ldexp_f32 v1, s12, s15
	s_cvt_i32_f32 s12, s17
	v_cndmask_b32_e32 v1, 0, v1, vcc_lo
	s_cselect_b32 vcc_lo, -1, 0
	s_cmp_ge_f32 s0, 0xc1a00000
	s_delay_alu instid0(VALU_DEP_1)
	v_cndmask_b32_e32 v1, 0x7f800000, v1, vcc_lo
	s_cselect_b32 vcc_lo, -1, 0
	s_xor_b32 s0, s14, 0x80000000
	s_cmp_nlt_f32 s6, 0xc2ce8ed0
	s_fmamk_f32 s0, s6, 0x3fb8aa3b, s0
	v_cndmask_b32_e32 v10, 0, v1, vcc_lo
	s_delay_alu instid0(SALU_CYCLE_2) | instskip(NEXT) | instid1(SALU_CYCLE_3)
	s_fmamk_f32 s0, s6, 0x32a5705f, s0
	s_add_f32 s0, s16, s0
	s_delay_alu instid0(SALU_CYCLE_3) | instskip(SKIP_1) | instid1(TRANS32_DEP_1)
	v_s_exp_f32 s0, s0
	v_nop
	v_ldexp_f32 v6, s0, s12
	s_cselect_b32 s0, -1, 0
	s_cmp_ngt_f32 s6, 0x42b17218
	s_delay_alu instid0(VALU_DEP_1) | instskip(SKIP_2) | instid1(VALU_DEP_1)
	v_cndmask_b32_e64 v6, 0, v6, s0
	s_cselect_b32 s0, -1, 0
	s_cmp_ge_f32 s6, 0xc1a00000
	v_cndmask_b32_e64 v8, 0x7f800000, v6, s0
	s_cselect_b32 s0, -1, 0
	v_mov_b32_e32 v6, s13
	s_add_co_i32 s1, s1, -1
	s_add_co_i32 s4, s4, -2
	v_cndmask_b32_e64 v8, 0, v8, s0
	s_cmp_le_i32 s1, s7
	s_mov_b32 s0, s5
	s_wait_loadcnt 0x0
	s_delay_alu instid0(VALU_DEP_1) | instskip(NEXT) | instid1(VALU_DEP_1)
	v_pk_mul_f32 v[6:7], v[6:7], v[8:9] op_sel_hi:[1,0]
	v_pk_fma_f32 v[2:3], v[2:3], v[10:11], v[6:7] op_sel_hi:[1,0,1]
	s_cbranch_scc0 .LBB40_3
	s_branch .LBB40_5
.LBB40_4:
	s_wait_kmcnt 0x0
	v_mov_b32_e32 v2, s15
.LBB40_5:
	v_lshl_add_u64 v[0:1], v[4:5], 2, s[8:9]
	s_wait_loadcnt 0x0
	s_delay_alu instid0(VALU_DEP_2) | instskip(NEXT) | instid1(VALU_DEP_1)
	v_div_scale_f32 v4, null, v2, v2, v3
	v_rcp_f32_e32 v5, v4
	v_nop
	s_delay_alu instid0(TRANS32_DEP_1) | instskip(NEXT) | instid1(VALU_DEP_1)
	v_fma_f32 v6, -v4, v5, 1.0
	v_fmac_f32_e32 v5, v6, v5
	v_div_scale_f32 v6, vcc_lo, v3, v2, v3
	s_delay_alu instid0(VALU_DEP_1) | instskip(NEXT) | instid1(VALU_DEP_1)
	v_mul_f32_e32 v7, v6, v5
	v_fma_f32 v8, -v4, v7, v6
	s_delay_alu instid0(VALU_DEP_1) | instskip(NEXT) | instid1(VALU_DEP_1)
	v_fmac_f32_e32 v7, v8, v5
	v_fma_f32 v4, -v4, v7, v6
	s_delay_alu instid0(VALU_DEP_1) | instskip(NEXT) | instid1(VALU_DEP_1)
	v_div_fmas_f32 v4, v4, v5, v7
	v_div_fixup_f32 v2, v4, v2, v3
	global_store_b32 v[0:1], v2, off
.LBB40_6:
	s_endpgm
	.section	.rodata,"a",@progbits
	.p2align	6, 0x0
	.amdhsa_kernel _ZL33flash_attn_stream_k_fixup_uniformILi256ELi1ELi2EEvPfPK15HIP_vector_typeIfLj2EEiiiiiiS1_IjLj3EES5_S5_
		.amdhsa_group_segment_fixed_size 0
		.amdhsa_private_segment_fixed_size 0
		.amdhsa_kernarg_size 76
		.amdhsa_user_sgpr_count 2
		.amdhsa_user_sgpr_dispatch_ptr 0
		.amdhsa_user_sgpr_queue_ptr 0
		.amdhsa_user_sgpr_kernarg_segment_ptr 1
		.amdhsa_user_sgpr_dispatch_id 0
		.amdhsa_user_sgpr_kernarg_preload_length 0
		.amdhsa_user_sgpr_kernarg_preload_offset 0
		.amdhsa_user_sgpr_private_segment_size 0
		.amdhsa_wavefront_size32 1
		.amdhsa_uses_dynamic_stack 0
		.amdhsa_enable_private_segment 0
		.amdhsa_system_sgpr_workgroup_id_x 1
		.amdhsa_system_sgpr_workgroup_id_y 1
		.amdhsa_system_sgpr_workgroup_id_z 1
		.amdhsa_system_sgpr_workgroup_info 0
		.amdhsa_system_vgpr_workitem_id 0
		.amdhsa_next_free_vgpr 12
		.amdhsa_next_free_sgpr 21
		.amdhsa_named_barrier_count 0
		.amdhsa_reserve_vcc 1
		.amdhsa_float_round_mode_32 0
		.amdhsa_float_round_mode_16_64 0
		.amdhsa_float_denorm_mode_32 3
		.amdhsa_float_denorm_mode_16_64 3
		.amdhsa_fp16_overflow 0
		.amdhsa_memory_ordered 1
		.amdhsa_forward_progress 1
		.amdhsa_inst_pref_size 9
		.amdhsa_round_robin_scheduling 0
		.amdhsa_exception_fp_ieee_invalid_op 0
		.amdhsa_exception_fp_denorm_src 0
		.amdhsa_exception_fp_ieee_div_zero 0
		.amdhsa_exception_fp_ieee_overflow 0
		.amdhsa_exception_fp_ieee_underflow 0
		.amdhsa_exception_fp_ieee_inexact 0
		.amdhsa_exception_int_div_zero 0
	.end_amdhsa_kernel
	.section	.text._ZL33flash_attn_stream_k_fixup_uniformILi256ELi1ELi2EEvPfPK15HIP_vector_typeIfLj2EEiiiiiiS1_IjLj3EES5_S5_,"axG",@progbits,_ZL33flash_attn_stream_k_fixup_uniformILi256ELi1ELi2EEvPfPK15HIP_vector_typeIfLj2EEiiiiiiS1_IjLj3EES5_S5_,comdat
.Lfunc_end40:
	.size	_ZL33flash_attn_stream_k_fixup_uniformILi256ELi1ELi2EEvPfPK15HIP_vector_typeIfLj2EEiiiiiiS1_IjLj3EES5_S5_, .Lfunc_end40-_ZL33flash_attn_stream_k_fixup_uniformILi256ELi1ELi2EEvPfPK15HIP_vector_typeIfLj2EEiiiiiiS1_IjLj3EES5_S5_
                                        ; -- End function
	.set _ZL33flash_attn_stream_k_fixup_uniformILi256ELi1ELi2EEvPfPK15HIP_vector_typeIfLj2EEiiiiiiS1_IjLj3EES5_S5_.num_vgpr, 12
	.set _ZL33flash_attn_stream_k_fixup_uniformILi256ELi1ELi2EEvPfPK15HIP_vector_typeIfLj2EEiiiiiiS1_IjLj3EES5_S5_.num_agpr, 0
	.set _ZL33flash_attn_stream_k_fixup_uniformILi256ELi1ELi2EEvPfPK15HIP_vector_typeIfLj2EEiiiiiiS1_IjLj3EES5_S5_.numbered_sgpr, 21
	.set _ZL33flash_attn_stream_k_fixup_uniformILi256ELi1ELi2EEvPfPK15HIP_vector_typeIfLj2EEiiiiiiS1_IjLj3EES5_S5_.num_named_barrier, 0
	.set _ZL33flash_attn_stream_k_fixup_uniformILi256ELi1ELi2EEvPfPK15HIP_vector_typeIfLj2EEiiiiiiS1_IjLj3EES5_S5_.private_seg_size, 0
	.set _ZL33flash_attn_stream_k_fixup_uniformILi256ELi1ELi2EEvPfPK15HIP_vector_typeIfLj2EEiiiiiiS1_IjLj3EES5_S5_.uses_vcc, 1
	.set _ZL33flash_attn_stream_k_fixup_uniformILi256ELi1ELi2EEvPfPK15HIP_vector_typeIfLj2EEiiiiiiS1_IjLj3EES5_S5_.uses_flat_scratch, 0
	.set _ZL33flash_attn_stream_k_fixup_uniformILi256ELi1ELi2EEvPfPK15HIP_vector_typeIfLj2EEiiiiiiS1_IjLj3EES5_S5_.has_dyn_sized_stack, 0
	.set _ZL33flash_attn_stream_k_fixup_uniformILi256ELi1ELi2EEvPfPK15HIP_vector_typeIfLj2EEiiiiiiS1_IjLj3EES5_S5_.has_recursion, 0
	.set _ZL33flash_attn_stream_k_fixup_uniformILi256ELi1ELi2EEvPfPK15HIP_vector_typeIfLj2EEiiiiiiS1_IjLj3EES5_S5_.has_indirect_call, 0
	.section	.AMDGPU.csdata,"",@progbits
; Kernel info:
; codeLenInByte = 1072
; TotalNumSgprs: 23
; NumVgprs: 12
; ScratchSize: 0
; MemoryBound: 0
; FloatMode: 240
; IeeeMode: 1
; LDSByteSize: 0 bytes/workgroup (compile time only)
; SGPRBlocks: 0
; VGPRBlocks: 0
; NumSGPRsForWavesPerEU: 23
; NumVGPRsForWavesPerEU: 12
; NamedBarCnt: 0
; Occupancy: 16
; WaveLimiterHint : 0
; COMPUTE_PGM_RSRC2:SCRATCH_EN: 0
; COMPUTE_PGM_RSRC2:USER_SGPR: 2
; COMPUTE_PGM_RSRC2:TRAP_HANDLER: 0
; COMPUTE_PGM_RSRC2:TGID_X_EN: 1
; COMPUTE_PGM_RSRC2:TGID_Y_EN: 1
; COMPUTE_PGM_RSRC2:TGID_Z_EN: 1
; COMPUTE_PGM_RSRC2:TIDIG_COMP_CNT: 0
	.section	.text._ZL33flash_attn_stream_k_fixup_generalILi256ELi1ELi2EEvPfPK15HIP_vector_typeIfLj2EEiiiiS1_IjLj3EES5_S5_S5_,"axG",@progbits,_ZL33flash_attn_stream_k_fixup_generalILi256ELi1ELi2EEvPfPK15HIP_vector_typeIfLj2EEiiiiS1_IjLj3EES5_S5_S5_,comdat
	.globl	_ZL33flash_attn_stream_k_fixup_generalILi256ELi1ELi2EEvPfPK15HIP_vector_typeIfLj2EEiiiiS1_IjLj3EES5_S5_S5_ ; -- Begin function _ZL33flash_attn_stream_k_fixup_generalILi256ELi1ELi2EEvPfPK15HIP_vector_typeIfLj2EEiiiiS1_IjLj3EES5_S5_S5_
	.p2align	8
	.type	_ZL33flash_attn_stream_k_fixup_generalILi256ELi1ELi2EEvPfPK15HIP_vector_typeIfLj2EEiiiiS1_IjLj3EES5_S5_S5_,@function
_ZL33flash_attn_stream_k_fixup_generalILi256ELi1ELi2EEvPfPK15HIP_vector_typeIfLj2EEiiiiS1_IjLj3EES5_S5_S5_: ; @_ZL33flash_attn_stream_k_fixup_generalILi256ELi1ELi2EEvPfPK15HIP_vector_typeIfLj2EEiiiiS1_IjLj3EES5_S5_S5_
; %bb.0:
	s_clause 0x1
	s_load_b128 s[4:7], s[0:1], 0x10
	s_load_b32 s16, s[0:1], 0x50
	s_bfe_u32 s2, ttmp6, 0x4000c
	s_and_b32 s3, ttmp6, 15
	s_add_co_i32 s2, s2, 1
	s_getreg_b32 s15, hwreg(HW_REG_IB_STS2, 6, 4)
	s_mul_i32 s2, ttmp9, s2
	s_mov_b32 s17, 0
	s_add_co_i32 s3, s3, s2
	s_cmp_eq_u32 s15, 0
	s_cselect_b32 s2, ttmp9, s3
	s_delay_alu instid0(SALU_CYCLE_1) | instskip(SKIP_3) | instid1(SALU_CYCLE_1)
	s_ashr_i32 s3, s2, 31
	s_wait_kmcnt 0x0
	s_ashr_i32 s19, s7, 31
	s_mov_b32 s18, s7
	s_mul_u64 s[8:9], s[18:19], s[2:3]
	s_delay_alu instid0(SALU_CYCLE_1) | instskip(NEXT) | instid1(SALU_CYCLE_1)
	s_and_b64 s[10:11], s[8:9], 0xffffffff00000000
	s_cmp_lg_u64 s[10:11], 0
	s_cbranch_scc0 .LBB41_21
; %bb.1:
	s_add_nc_u64 s[10:11], s[16:17], 0
	s_mov_b32 s23, s17
	s_xor_b64 s[10:11], s[10:11], 0
	s_mov_b32 s27, s17
	s_cvt_f32_u32 s3, s10
	s_cvt_f32_u32 s7, s11
	s_sub_nc_u64 s[20:21], 0, s[10:11]
	s_delay_alu instid0(SALU_CYCLE_2) | instskip(NEXT) | instid1(SALU_CYCLE_3)
	s_fmamk_f32 s3, s7, 0x4f800000, s3
	v_s_rcp_f32 s3, s3
	s_delay_alu instid0(TRANS32_DEP_1) | instskip(NEXT) | instid1(SALU_CYCLE_3)
	s_mul_f32 s3, s3, 0x5f7ffffc
	s_mul_f32 s7, s3, 0x2f800000
	s_delay_alu instid0(SALU_CYCLE_3) | instskip(NEXT) | instid1(SALU_CYCLE_3)
	s_trunc_f32 s7, s7
	s_fmamk_f32 s3, s7, 0xcf800000, s3
	s_cvt_u32_f32 s13, s7
	s_delay_alu instid0(SALU_CYCLE_2) | instskip(NEXT) | instid1(SALU_CYCLE_3)
	s_cvt_u32_f32 s12, s3
	s_mul_u64 s[24:25], s[20:21], s[12:13]
	s_delay_alu instid0(SALU_CYCLE_1)
	s_mul_hi_u32 s29, s12, s25
	s_mul_i32 s28, s12, s25
	s_mul_hi_u32 s22, s12, s24
	s_mul_i32 s7, s13, s24
	s_add_nc_u64 s[22:23], s[22:23], s[28:29]
	s_mul_hi_u32 s3, s13, s24
	s_mul_hi_u32 s14, s13, s25
	s_add_co_u32 s7, s22, s7
	s_add_co_ci_u32 s26, s23, s3
	s_mul_i32 s24, s13, s25
	s_add_co_ci_u32 s25, s14, 0
	s_delay_alu instid0(SALU_CYCLE_1) | instskip(SKIP_3) | instid1(SALU_CYCLE_1)
	s_add_nc_u64 s[22:23], s[26:27], s[24:25]
	s_mov_b32 s25, s17
	s_add_co_u32 s12, s12, s22
	s_cselect_b32 s3, -1, 0
	s_cmp_lg_u32 s3, 0
	s_add_co_ci_u32 s13, s13, s23
	s_mov_b32 s23, s17
	s_mul_u64 s[20:21], s[20:21], s[12:13]
	s_delay_alu instid0(SALU_CYCLE_1)
	s_mul_hi_u32 s27, s12, s21
	s_mul_i32 s26, s12, s21
	s_mul_hi_u32 s22, s12, s20
	s_mul_i32 s7, s13, s20
	s_add_nc_u64 s[22:23], s[22:23], s[26:27]
	s_mul_hi_u32 s3, s13, s20
	s_mul_hi_u32 s14, s13, s21
	s_add_co_u32 s7, s22, s7
	s_add_co_ci_u32 s24, s23, s3
	s_mul_i32 s20, s13, s21
	s_add_co_ci_u32 s21, s14, 0
	s_mov_b32 s23, s17
	s_add_nc_u64 s[20:21], s[24:25], s[20:21]
	s_delay_alu instid0(SALU_CYCLE_1) | instskip(SKIP_1) | instid1(SALU_CYCLE_1)
	s_add_co_u32 s3, s12, s20
	s_cselect_b32 s7, -1, 0
	s_cmp_lg_u32 s7, 0
	s_add_co_ci_u32 s7, s13, s21
	s_ashr_i32 s12, s9, 31
	s_delay_alu instid0(SALU_CYCLE_1) | instskip(NEXT) | instid1(SALU_CYCLE_1)
	s_mov_b32 s13, s12
	s_add_nc_u64 s[20:21], s[8:9], s[12:13]
	s_delay_alu instid0(SALU_CYCLE_1) | instskip(NEXT) | instid1(SALU_CYCLE_1)
	s_xor_b64 s[20:21], s[20:21], s[12:13]
	s_mul_hi_u32 s27, s20, s7
	s_mul_i32 s26, s20, s7
	s_mul_hi_u32 s22, s20, s3
	s_mul_hi_u32 s14, s21, s3
	s_mul_i32 s3, s21, s3
	s_add_nc_u64 s[22:23], s[22:23], s[26:27]
	s_mul_hi_u32 s9, s21, s7
	s_add_co_u32 s3, s22, s3
	s_add_co_ci_u32 s24, s23, s14
	s_mul_i32 s26, s21, s7
	s_add_co_ci_u32 s27, s9, 0
	s_delay_alu instid0(SALU_CYCLE_1) | instskip(NEXT) | instid1(SALU_CYCLE_1)
	s_add_nc_u64 s[22:23], s[24:25], s[26:27]
	s_and_b64 s[24:25], s[22:23], 0xffffffff00000000
	s_delay_alu instid0(SALU_CYCLE_1) | instskip(NEXT) | instid1(SALU_CYCLE_1)
	s_or_b32 s24, s24, s22
	s_mul_u64 s[22:23], s[10:11], s[24:25]
	s_add_nc_u64 s[26:27], s[24:25], 1
	s_sub_co_u32 s3, s20, s22
	s_cselect_b32 s7, -1, 0
	s_sub_co_i32 s9, s21, s23
	s_cmp_lg_u32 s7, 0
	s_add_nc_u64 s[28:29], s[24:25], 2
	s_sub_co_ci_u32 s9, s9, s11
	s_sub_co_u32 s14, s3, s10
	s_cselect_b32 s20, -1, 0
	s_delay_alu instid0(SALU_CYCLE_1) | instskip(SKIP_1) | instid1(SALU_CYCLE_1)
	s_cmp_lg_u32 s20, 0
	s_sub_co_ci_u32 s9, s9, 0
	s_cmp_ge_u32 s9, s11
	s_cselect_b32 s20, -1, 0
	s_cmp_ge_u32 s14, s10
	s_cselect_b32 s14, -1, 0
	s_cmp_eq_u32 s9, s11
	s_cselect_b32 s9, s14, s20
	s_delay_alu instid0(SALU_CYCLE_1) | instskip(SKIP_4) | instid1(SALU_CYCLE_1)
	s_cmp_lg_u32 s9, 0
	s_cselect_b32 s9, s28, s26
	s_cselect_b32 s14, s29, s27
	s_cmp_lg_u32 s7, 0
	s_sub_co_ci_u32 s7, s21, s23
	s_cmp_ge_u32 s7, s11
	s_cselect_b32 s20, -1, 0
	s_cmp_ge_u32 s3, s10
	s_cselect_b32 s3, -1, 0
	s_cmp_eq_u32 s7, s11
	s_cselect_b32 s3, s3, s20
	s_delay_alu instid0(SALU_CYCLE_1) | instskip(SKIP_4) | instid1(SALU_CYCLE_1)
	s_cmp_lg_u32 s3, 0
	s_mov_b32 s3, s17
	s_cselect_b32 s11, s14, s25
	s_cselect_b32 s10, s9, s24
	s_xor_b64 s[12:13], s[12:13], 0
	s_xor_b64 s[10:11], s[10:11], s[12:13]
	s_delay_alu instid0(SALU_CYCLE_1)
	s_sub_nc_u64 s[20:21], s[10:11], s[12:13]
	s_and_not1_b32 vcc_lo, exec_lo, s3
	s_cbranch_vccnz .LBB41_3
.LBB41_2:
	v_cvt_f32_u32_e32 v1, s16
	s_sub_co_i32 s7, 0, s16
	s_mov_b32 s21, 0
	s_delay_alu instid0(VALU_DEP_1) | instskip(SKIP_1) | instid1(TRANS32_DEP_1)
	v_rcp_iflag_f32_e32 v1, v1
	v_nop
	v_mul_f32_e32 v1, 0x4f7ffffe, v1
	s_delay_alu instid0(VALU_DEP_1) | instskip(NEXT) | instid1(VALU_DEP_1)
	v_cvt_u32_f32_e32 v1, v1
	v_readfirstlane_b32 s3, v1
	s_mul_i32 s7, s7, s3
	s_delay_alu instid0(SALU_CYCLE_1) | instskip(NEXT) | instid1(SALU_CYCLE_1)
	s_mul_hi_u32 s7, s3, s7
	s_add_co_i32 s3, s3, s7
	s_delay_alu instid0(SALU_CYCLE_1) | instskip(NEXT) | instid1(SALU_CYCLE_1)
	s_mul_hi_u32 s3, s8, s3
	s_mul_i32 s7, s3, s16
	s_delay_alu instid0(SALU_CYCLE_1)
	s_sub_co_i32 s7, s8, s7
	s_add_co_i32 s8, s3, 1
	s_sub_co_i32 s9, s7, s16
	s_cmp_ge_u32 s7, s16
	s_cselect_b32 s3, s8, s3
	s_cselect_b32 s7, s9, s7
	s_add_co_i32 s8, s3, 1
	s_cmp_ge_u32 s7, s16
	s_cselect_b32 s20, s8, s3
.LBB41_3:
	s_add_co_i32 s8, s2, 1
	s_delay_alu instid0(SALU_CYCLE_1) | instskip(NEXT) | instid1(SALU_CYCLE_1)
	s_ashr_i32 s9, s8, 31
	s_mul_u64 s[8:9], s[18:19], s[8:9]
	s_delay_alu instid0(SALU_CYCLE_1) | instskip(NEXT) | instid1(SALU_CYCLE_1)
	s_and_b64 s[10:11], s[8:9], 0xffffffff00000000
	s_cmp_lg_u64 s[10:11], 0
	s_cbranch_scc0 .LBB41_22
; %bb.4:
	s_add_nc_u64 s[10:11], s[16:17], 0
	s_delay_alu instid0(SALU_CYCLE_1) | instskip(SKIP_4) | instid1(SALU_CYCLE_2)
	s_xor_b64 s[12:13], s[10:11], 0
	s_mov_b32 s11, 0
	s_cvt_f32_u32 s3, s12
	s_cvt_f32_u32 s7, s13
	s_sub_nc_u64 s[24:25], 0, s[12:13]
	s_fmamk_f32 s3, s7, 0x4f800000, s3
	s_delay_alu instid0(SALU_CYCLE_3) | instskip(NEXT) | instid1(TRANS32_DEP_1)
	v_s_rcp_f32 s3, s3
	s_mul_f32 s3, s3, 0x5f7ffffc
	s_delay_alu instid0(SALU_CYCLE_3) | instskip(NEXT) | instid1(SALU_CYCLE_3)
	s_mul_f32 s7, s3, 0x2f800000
	s_trunc_f32 s7, s7
	s_delay_alu instid0(SALU_CYCLE_3) | instskip(SKIP_1) | instid1(SALU_CYCLE_2)
	s_fmamk_f32 s3, s7, 0xcf800000, s3
	s_cvt_u32_f32 s23, s7
	s_cvt_u32_f32 s22, s3
	s_delay_alu instid0(SALU_CYCLE_3) | instskip(NEXT) | instid1(SALU_CYCLE_1)
	s_mul_u64 s[26:27], s[24:25], s[22:23]
	s_mul_hi_u32 s29, s22, s27
	s_mul_i32 s28, s22, s27
	s_mul_hi_u32 s10, s22, s26
	s_mul_i32 s7, s23, s26
	s_add_nc_u64 s[28:29], s[10:11], s[28:29]
	s_mul_hi_u32 s3, s23, s26
	s_mul_hi_u32 s14, s23, s27
	s_add_co_u32 s7, s28, s7
	s_add_co_ci_u32 s10, s29, s3
	s_mul_i32 s26, s23, s27
	s_add_co_ci_u32 s27, s14, 0
	s_delay_alu instid0(SALU_CYCLE_1) | instskip(NEXT) | instid1(SALU_CYCLE_1)
	s_add_nc_u64 s[26:27], s[10:11], s[26:27]
	s_add_co_u32 s22, s22, s26
	s_cselect_b32 s3, -1, 0
	s_delay_alu instid0(SALU_CYCLE_1) | instskip(SKIP_1) | instid1(SALU_CYCLE_1)
	s_cmp_lg_u32 s3, 0
	s_add_co_ci_u32 s23, s23, s27
	s_mul_u64 s[24:25], s[24:25], s[22:23]
	s_delay_alu instid0(SALU_CYCLE_1)
	s_mul_hi_u32 s27, s22, s25
	s_mul_i32 s26, s22, s25
	s_mul_hi_u32 s10, s22, s24
	s_mul_i32 s7, s23, s24
	s_add_nc_u64 s[26:27], s[10:11], s[26:27]
	s_mul_hi_u32 s3, s23, s24
	s_mul_hi_u32 s14, s23, s25
	s_add_co_u32 s7, s26, s7
	s_add_co_ci_u32 s10, s27, s3
	s_mul_i32 s24, s23, s25
	s_add_co_ci_u32 s25, s14, 0
	s_delay_alu instid0(SALU_CYCLE_1) | instskip(NEXT) | instid1(SALU_CYCLE_1)
	s_add_nc_u64 s[24:25], s[10:11], s[24:25]
	s_add_co_u32 s3, s22, s24
	s_cselect_b32 s7, -1, 0
	s_delay_alu instid0(SALU_CYCLE_1) | instskip(SKIP_2) | instid1(SALU_CYCLE_1)
	s_cmp_lg_u32 s7, 0
	s_add_co_ci_u32 s7, s23, s25
	s_ashr_i32 s22, s9, 31
	s_mov_b32 s23, s22
	s_delay_alu instid0(SALU_CYCLE_1) | instskip(NEXT) | instid1(SALU_CYCLE_1)
	s_add_nc_u64 s[24:25], s[8:9], s[22:23]
	s_xor_b64 s[24:25], s[24:25], s[22:23]
	s_delay_alu instid0(SALU_CYCLE_1)
	s_mul_hi_u32 s27, s24, s7
	s_mul_i32 s26, s24, s7
	s_mul_hi_u32 s10, s24, s3
	s_mul_hi_u32 s14, s25, s3
	s_mul_i32 s3, s25, s3
	s_add_nc_u64 s[26:27], s[10:11], s[26:27]
	s_mul_hi_u32 s9, s25, s7
	s_add_co_u32 s3, s26, s3
	s_add_co_ci_u32 s10, s27, s14
	s_mul_i32 s28, s25, s7
	s_add_co_ci_u32 s29, s9, 0
	s_delay_alu instid0(SALU_CYCLE_1) | instskip(NEXT) | instid1(SALU_CYCLE_1)
	s_add_nc_u64 s[26:27], s[10:11], s[28:29]
	s_and_b64 s[28:29], s[26:27], 0xffffffff00000000
	s_delay_alu instid0(SALU_CYCLE_1) | instskip(NEXT) | instid1(SALU_CYCLE_1)
	s_or_b32 s28, s28, s26
	s_mul_u64 s[26:27], s[12:13], s[28:29]
	s_add_nc_u64 s[30:31], s[28:29], 1
	s_sub_co_u32 s3, s24, s26
	s_cselect_b32 s7, -1, 0
	s_sub_co_i32 s9, s25, s27
	s_cmp_lg_u32 s7, 0
	s_add_nc_u64 s[34:35], s[28:29], 2
	s_sub_co_ci_u32 s9, s9, s13
	s_sub_co_u32 s10, s3, s12
	s_cselect_b32 s14, -1, 0
	s_delay_alu instid0(SALU_CYCLE_1) | instskip(SKIP_1) | instid1(SALU_CYCLE_1)
	s_cmp_lg_u32 s14, 0
	s_sub_co_ci_u32 s9, s9, 0
	s_cmp_ge_u32 s9, s13
	s_cselect_b32 s14, -1, 0
	s_cmp_ge_u32 s10, s12
	s_cselect_b32 s10, -1, 0
	s_cmp_eq_u32 s9, s13
	s_cselect_b32 s9, s10, s14
	s_delay_alu instid0(SALU_CYCLE_1) | instskip(SKIP_4) | instid1(SALU_CYCLE_1)
	s_cmp_lg_u32 s9, 0
	s_cselect_b32 s9, s34, s30
	s_cselect_b32 s10, s35, s31
	s_cmp_lg_u32 s7, 0
	s_sub_co_ci_u32 s7, s25, s27
	s_cmp_ge_u32 s7, s13
	s_cselect_b32 s14, -1, 0
	s_cmp_ge_u32 s3, s12
	s_cselect_b32 s3, -1, 0
	s_cmp_eq_u32 s7, s13
	s_cselect_b32 s3, s3, s14
	s_delay_alu instid0(SALU_CYCLE_1) | instskip(SKIP_3) | instid1(SALU_CYCLE_1)
	s_cmp_lg_u32 s3, 0
	s_cselect_b32 s13, s10, s29
	s_cselect_b32 s12, s9, s28
	s_xor_b64 s[22:23], s[22:23], 0
	s_xor_b64 s[12:13], s[12:13], s[22:23]
	s_delay_alu instid0(SALU_CYCLE_1)
	s_sub_nc_u64 s[24:25], s[12:13], s[22:23]
	s_load_b96 s[12:14], s[0:1], 0x44
	s_cbranch_execnz .LBB41_6
.LBB41_5:
	v_cvt_f32_u32_e32 v1, s16
	s_sub_co_i32 s7, 0, s16
	s_delay_alu instid0(VALU_DEP_1) | instskip(SKIP_1) | instid1(TRANS32_DEP_1)
	v_rcp_iflag_f32_e32 v1, v1
	v_nop
	v_mul_f32_e32 v1, 0x4f7ffffe, v1
	s_delay_alu instid0(VALU_DEP_1) | instskip(NEXT) | instid1(VALU_DEP_1)
	v_cvt_u32_f32_e32 v1, v1
	v_readfirstlane_b32 s3, v1
	s_mul_i32 s7, s7, s3
	s_delay_alu instid0(SALU_CYCLE_1) | instskip(NEXT) | instid1(SALU_CYCLE_1)
	s_mul_hi_u32 s7, s3, s7
	s_add_co_i32 s3, s3, s7
	s_delay_alu instid0(SALU_CYCLE_1) | instskip(NEXT) | instid1(SALU_CYCLE_1)
	s_mul_hi_u32 s3, s8, s3
	s_mul_i32 s7, s3, s16
	s_delay_alu instid0(SALU_CYCLE_1)
	s_sub_co_i32 s7, s8, s7
	s_add_co_i32 s8, s3, 1
	s_sub_co_i32 s9, s7, s16
	s_cmp_ge_u32 s7, s16
	s_cselect_b32 s3, s8, s3
	s_cselect_b32 s7, s9, s7
	s_add_co_i32 s8, s3, 1
	s_cmp_ge_u32 s7, s16
	s_cselect_b32 s24, s8, s3
.LBB41_6:
	s_delay_alu instid0(SALU_CYCLE_1)
	s_cmp_eq_u32 s20, s24
	s_mov_b64 s[8:9], 0xffffffff
	s_cselect_b32 s3, -1, 0
	s_and_b64 s[8:9], s[20:21], s[8:9]
	s_mov_b32 s23, 0
	s_wait_kmcnt 0x0
	s_mov_b32 s22, s12
	s_mov_b32 s25, s23
	s_mul_u64 s[10:11], s[8:9], s[22:23]
	s_delay_alu instid0(SALU_CYCLE_1) | instskip(SKIP_2) | instid1(SALU_CYCLE_1)
	s_add_co_i32 s7, s11, s20
	s_mul_u64 s[10:11], s[24:25], s[22:23]
	s_lshr_b32 s12, s7, s13
	s_mul_i32 s7, s12, s14
	s_delay_alu instid0(SALU_CYCLE_1) | instskip(SKIP_2) | instid1(SALU_CYCLE_1)
	s_cmp_eq_u32 s7, s20
	s_cselect_b32 s7, -1, 0
	s_add_co_i32 s10, s11, s24
	s_lshr_b32 s10, s10, s13
	s_delay_alu instid0(SALU_CYCLE_1)
	s_cmp_eq_u32 s12, s10
	s_mul_i32 s10, s10, s14
	s_cselect_b32 s11, -1, 0
	s_cmp_lg_u32 s10, s24
	s_cselect_b32 s10, -1, 0
	s_or_b32 s3, s3, s7
	s_and_b32 s10, s11, s10
	s_delay_alu instid0(SALU_CYCLE_1) | instskip(NEXT) | instid1(SALU_CYCLE_1)
	s_or_b32 s3, s3, s10
	s_and_b32 vcc_lo, exec_lo, s3
	s_cbranch_vccnz .LBB41_24
; %bb.7:
	s_load_b256 s[24:31], s[0:1], 0x20
	s_bfe_u32 s7, ttmp6, 0x40014
	s_bfe_u32 s33, ttmp6, 0x40010
	s_lshr_b32 s3, ttmp7, 16
	s_add_co_i32 s7, s7, 1
	s_and_b32 s21, ttmp7, 0xffff
	s_add_co_i32 s33, s33, 1
	s_bfe_u32 s10, ttmp6, 0x40008
	s_mul_i32 s7, s3, s7
	s_bfe_u32 s34, ttmp6, 0x40004
	s_mul_i32 s33, s21, s33
	s_mov_b32 s11, s23
	s_add_co_i32 s7, s10, s7
	s_add_co_i32 s34, s34, s33
	s_cmp_eq_u32 s15, 0
	s_cselect_b32 s15, s21, s34
	s_cselect_b32 s21, s3, s7
	s_wait_kmcnt 0x0
	s_mov_b32 s10, s24
	s_delay_alu instid0(SALU_CYCLE_1) | instskip(SKIP_2) | instid1(SALU_CYCLE_1)
	s_mul_u64 s[8:9], s[8:9], s[10:11]
	s_load_b32 s8, s[0:1], 0x40
	s_add_co_i32 s3, s9, s20
	s_lshr_b32 s3, s3, s25
	s_delay_alu instid0(SALU_CYCLE_1) | instskip(NEXT) | instid1(SALU_CYCLE_1)
	s_mul_i32 s7, s3, s26
	s_sub_co_i32 s9, s20, s7
	s_delay_alu instid0(SALU_CYCLE_1) | instskip(NEXT) | instid1(SALU_CYCLE_1)
	s_mul_hi_u32 s7, s9, s27
	s_add_co_i32 s7, s9, s7
	s_delay_alu instid0(SALU_CYCLE_1) | instskip(NEXT) | instid1(SALU_CYCLE_1)
	s_lshr_b32 s7, s7, s28
	s_mul_i32 s10, s7, s29
	s_delay_alu instid0(SALU_CYCLE_1) | instskip(NEXT) | instid1(SALU_CYCLE_1)
	s_sub_co_i32 s10, s9, s10
	s_mul_hi_u32 s9, s10, s30
	s_delay_alu instid0(SALU_CYCLE_1) | instskip(NEXT) | instid1(SALU_CYCLE_1)
	s_add_co_i32 s9, s10, s9
	s_lshr_b32 s25, s9, s31
	s_mov_b32 s9, s23
	s_wait_kmcnt 0x0
	s_mul_i32 s8, s25, s8
	s_lshl_b32 s25, s25, 1
	s_sub_co_i32 s8, s10, s8
	s_delay_alu instid0(SALU_CYCLE_1) | instskip(NEXT) | instid1(SALU_CYCLE_1)
	s_mul_u64 s[10:11], s[8:9], s[22:23]
	s_add_co_i32 s8, s8, s11
	s_delay_alu instid0(SALU_CYCLE_1) | instskip(NEXT) | instid1(SALU_CYCLE_1)
	s_lshr_b32 s24, s8, s13
	s_add_co_i32 s24, s24, s15
	s_delay_alu instid0(SALU_CYCLE_1) | instskip(SKIP_2) | instid1(SALU_CYCLE_1)
	s_cmp_lt_i32 s24, s4
	s_cselect_b32 s8, -1, 0
	s_add_co_i32 s25, s25, s21
	s_cmp_lt_i32 s25, s6
	s_cselect_b32 s9, -1, 0
	s_delay_alu instid0(SALU_CYCLE_1) | instskip(NEXT) | instid1(SALU_CYCLE_1)
	s_and_b32 s8, s8, s9
	s_and_not1_b32 vcc_lo, exec_lo, s8
	s_cbranch_vccnz .LBB41_24
; %bb.8:
	s_load_b128 s[8:11], s[0:1], 0x0
	s_mul_i32 s3, s3, s4
	s_mul_i32 s7, s7, s6
	s_wait_xcnt 0x0
	s_add_co_i32 s0, s24, s3
	s_add_co_i32 s1, s25, s7
	s_mul_i32 s0, s0, s5
	s_add_co_i32 s3, s15, s2
	s_add_co_i32 s1, s1, s0
	v_cvt_f32_u32_e32 v4, s16
	v_lshl_or_b32 v2, s1, 8, v0
	s_add_nc_u64 s[0:1], s[16:17], 0
	s_lshl_b32 s24, s16, 3
	s_xor_b64 s[6:7], s[0:1], 0
	s_lshl_b32 s0, s3, 1
	s_cvt_f32_u32 s3, s6
	s_cvt_f32_u32 s4, s7
	s_add_co_i32 s0, s0, s21
	v_rcp_iflag_f32_e32 v4, v4
	s_ashr_i32 s1, s0, 31
	s_fmamk_f32 s3, s4, 0x4f800000, s3
	s_wait_kmcnt 0x0
	global_load_b32 v1, v2, s[8:9] scale_offset
	s_lshl_b64 s[0:1], s[0:1], 3
	s_mov_b32 s25, 0
	v_s_rcp_f32 s3, s3
	s_add_nc_u64 s[0:1], s[10:11], s[0:1]
	v_dual_mul_f32 v4, 0x4f7ffffe, v4 :: v_dual_ashrrev_i32 v3, 31, v2
	s_load_b64 s[28:29], s[0:1], 0x0
	s_wait_xcnt 0x0
	s_lshl_b64 s[0:1], s[24:25], 2
	v_lshl_or_b32 v6, s21, 8, v0
	s_add_nc_u64 s[26:27], s[10:11], s[0:1]
	s_mul_f32 s3, s3, 0x5f7ffffc
	v_lshl_add_u64 v[2:3], v[2:3], 2, s[8:9]
	v_cvt_u32_f32_e32 v7, v4
	s_mov_b64 s[8:9], 0xffffffff
	s_mul_f32 s4, s3, 0x2f800000
	s_add_co_i32 s36, s2, -1
	s_sub_nc_u64 s[34:35], 0, s[6:7]
	s_delay_alu instid0(SALU_CYCLE_1) | instskip(NEXT) | instid1(SALU_CYCLE_3)
	s_trunc_f32 s4, s4
	s_fmamk_f32 s0, s4, 0xcf800000, s3
	s_cvt_u32_f32 s31, s4
	s_wait_kmcnt 0x0
	v_mov_b32_e32 v0, s29
	s_cvt_u32_f32 s30, s0
.LBB41_9:                               ; =>This Inner Loop Header: Depth=1
	s_ashr_i32 s37, s36, 31
                                        ; implicit-def: $sgpr40_sgpr41
	s_delay_alu instid0(SALU_CYCLE_1) | instskip(NEXT) | instid1(SALU_CYCLE_1)
	s_mul_u64 s[0:1], s[36:37], s[18:19]
	s_and_b64 s[2:3], s[0:1], 0xffffffff00000000
	s_delay_alu instid0(SALU_CYCLE_1)
	s_cmp_lg_u64 s[2:3], 0
	s_mov_b32 s2, -1
	s_cbranch_scc0 .LBB41_11
; %bb.10:                               ;   in Loop: Header=BB41_9 Depth=1
	s_mul_u64 s[2:3], s[34:35], s[30:31]
	s_delay_alu instid0(SALU_CYCLE_1)
	s_mul_hi_u32 s5, s30, s3
	s_mul_i32 s4, s30, s3
	s_mul_hi_u32 s24, s30, s2
	s_mul_hi_u32 s17, s31, s2
	s_add_nc_u64 s[4:5], s[24:25], s[4:5]
	s_mul_i32 s2, s31, s2
	s_mul_hi_u32 s29, s31, s3
	s_add_co_u32 s2, s4, s2
	s_add_co_ci_u32 s24, s5, s17
	s_add_co_ci_u32 s5, s29, 0
	s_mul_i32 s4, s31, s3
	s_delay_alu instid0(SALU_CYCLE_1) | instskip(NEXT) | instid1(SALU_CYCLE_1)
	s_add_nc_u64 s[2:3], s[24:25], s[4:5]
	s_add_co_u32 s2, s30, s2
	s_cselect_b32 s4, -1, 0
	s_delay_alu instid0(SALU_CYCLE_1) | instskip(SKIP_1) | instid1(SALU_CYCLE_1)
	s_cmp_lg_u32 s4, 0
	s_add_co_ci_u32 s3, s31, s3
	s_mul_u64 s[4:5], s[34:35], s[2:3]
	s_delay_alu instid0(SALU_CYCLE_1)
	s_mul_hi_u32 s39, s2, s5
	s_mul_i32 s38, s2, s5
	s_mul_hi_u32 s24, s2, s4
	s_mul_hi_u32 s17, s3, s4
	s_mul_i32 s4, s3, s4
	s_add_nc_u64 s[38:39], s[24:25], s[38:39]
	s_mul_hi_u32 s29, s3, s5
	s_add_co_u32 s4, s38, s4
	s_add_co_ci_u32 s24, s39, s17
	s_mul_i32 s4, s3, s5
	s_add_co_ci_u32 s5, s29, 0
	s_delay_alu instid0(SALU_CYCLE_1) | instskip(NEXT) | instid1(SALU_CYCLE_1)
	s_add_nc_u64 s[4:5], s[24:25], s[4:5]
	s_add_co_u32 s17, s2, s4
	s_cselect_b32 s2, -1, 0
	s_delay_alu instid0(SALU_CYCLE_1) | instskip(SKIP_2) | instid1(SALU_CYCLE_1)
	s_cmp_lg_u32 s2, 0
	s_add_co_ci_u32 s29, s3, s5
	s_ashr_i32 s2, s1, 31
	s_mov_b32 s3, s2
	s_delay_alu instid0(SALU_CYCLE_1) | instskip(NEXT) | instid1(SALU_CYCLE_1)
	s_add_nc_u64 s[4:5], s[0:1], s[2:3]
	s_xor_b64 s[4:5], s[4:5], s[2:3]
	s_delay_alu instid0(SALU_CYCLE_1)
	s_mul_hi_u32 s39, s4, s29
	s_mul_i32 s38, s4, s29
	s_mul_hi_u32 s24, s4, s17
	s_mul_hi_u32 s33, s5, s17
	s_mul_i32 s17, s5, s17
	s_add_nc_u64 s[38:39], s[24:25], s[38:39]
	s_mul_hi_u32 s1, s5, s29
	s_add_co_u32 s17, s38, s17
	s_add_co_ci_u32 s24, s39, s33
	s_mul_i32 s40, s5, s29
	s_add_co_ci_u32 s41, s1, 0
	s_delay_alu instid0(SALU_CYCLE_1) | instskip(NEXT) | instid1(SALU_CYCLE_1)
	s_add_nc_u64 s[38:39], s[24:25], s[40:41]
	s_and_b64 s[40:41], s[38:39], 0xffffffff00000000
	s_delay_alu instid0(SALU_CYCLE_1) | instskip(NEXT) | instid1(SALU_CYCLE_1)
	s_or_b32 s40, s40, s38
	s_mul_u64 s[38:39], s[6:7], s[40:41]
	s_add_nc_u64 s[42:43], s[40:41], 1
	s_sub_co_u32 s1, s4, s38
	s_cselect_b32 s4, -1, 0
	s_sub_co_i32 s17, s5, s39
	s_cmp_lg_u32 s4, 0
	s_add_nc_u64 s[44:45], s[40:41], 2
	s_sub_co_ci_u32 s17, s17, s7
	s_sub_co_u32 s24, s1, s6
	s_cselect_b32 s29, -1, 0
	s_delay_alu instid0(SALU_CYCLE_1) | instskip(SKIP_1) | instid1(SALU_CYCLE_1)
	s_cmp_lg_u32 s29, 0
	s_sub_co_ci_u32 s17, s17, 0
	s_cmp_ge_u32 s17, s7
	s_cselect_b32 s29, -1, 0
	s_cmp_ge_u32 s24, s6
	s_cselect_b32 s24, -1, 0
	s_cmp_eq_u32 s17, s7
	s_cselect_b32 s17, s24, s29
	s_delay_alu instid0(SALU_CYCLE_1) | instskip(SKIP_4) | instid1(SALU_CYCLE_1)
	s_cmp_lg_u32 s17, 0
	s_cselect_b32 s17, s44, s42
	s_cselect_b32 s24, s45, s43
	s_cmp_lg_u32 s4, 0
	s_sub_co_ci_u32 s4, s5, s39
	s_cmp_ge_u32 s4, s7
	s_cselect_b32 s5, -1, 0
	s_cmp_ge_u32 s1, s6
	s_cselect_b32 s1, -1, 0
	s_cmp_eq_u32 s4, s7
	s_cselect_b32 s1, s1, s5
	s_delay_alu instid0(SALU_CYCLE_1) | instskip(SKIP_3) | instid1(SALU_CYCLE_1)
	s_cmp_lg_u32 s1, 0
	s_cselect_b32 s5, s24, s41
	s_cselect_b32 s4, s17, s40
	s_xor_b64 s[2:3], s[2:3], 0
	s_xor_b64 s[4:5], s[4:5], s[2:3]
	s_delay_alu instid0(SALU_CYCLE_1)
	s_sub_nc_u64 s[40:41], s[4:5], s[2:3]
	s_mov_b32 s2, 0
.LBB41_11:                              ;   in Loop: Header=BB41_9 Depth=1
	s_delay_alu instid0(SALU_CYCLE_1)
	s_and_not1_b32 vcc_lo, exec_lo, s2
	s_cbranch_vccnz .LBB41_13
; %bb.12:                               ;   in Loop: Header=BB41_9 Depth=1
	v_readfirstlane_b32 s1, v7
	s_sub_co_i32 s2, 0, s16
	s_delay_alu instid0(SALU_CYCLE_1) | instskip(NEXT) | instid1(SALU_CYCLE_1)
	s_mul_i32 s2, s2, s1
	s_mul_hi_u32 s2, s1, s2
	s_delay_alu instid0(SALU_CYCLE_1) | instskip(NEXT) | instid1(SALU_CYCLE_1)
	s_add_co_i32 s1, s1, s2
	s_mul_hi_u32 s1, s0, s1
	s_delay_alu instid0(SALU_CYCLE_1) | instskip(NEXT) | instid1(SALU_CYCLE_1)
	s_mul_i32 s2, s1, s16
	s_sub_co_i32 s0, s0, s2
	s_add_co_i32 s2, s1, 1
	s_sub_co_i32 s3, s0, s16
	s_cmp_ge_u32 s0, s16
	s_cselect_b32 s1, s2, s1
	s_cselect_b32 s0, s3, s0
	s_add_co_i32 s2, s1, 1
	s_cmp_ge_u32 s0, s16
	s_cselect_b32 s24, s2, s1
	s_delay_alu instid0(SALU_CYCLE_1)
	s_mov_b64 s[40:41], s[24:25]
.LBB41_13:                              ;   in Loop: Header=BB41_9 Depth=1
	s_delay_alu instid0(SALU_CYCLE_1)
	s_cmp_lg_u32 s20, s40
	s_mov_b32 s0, -1
                                        ; implicit-def: $vgpr4_vgpr5
                                        ; implicit-def: $sgpr29
                                        ; implicit-def: $sgpr17
                                        ; implicit-def: $sgpr24
                                        ; implicit-def: $sgpr33
	s_cbranch_scc0 .LBB41_18
; %bb.14:                               ;   in Loop: Header=BB41_9 Depth=1
	s_add_co_i32 s42, s36, s15
	v_max_num_f32_e64 v4, s28, s28
	s_add_co_i32 s0, s42, s16
	s_mov_b32 s33, s20
	s_lshl_b32 s0, s0, 1
	s_delay_alu instid0(SALU_CYCLE_1)
	s_add_co_i32 s0, s0, s21
	s_load_b64 s[38:39], s[10:11], s0 offset:0x0 scale_offset
	s_wait_xcnt 0x0
	v_readfirstlane_b32 s0, v4
	s_wait_kmcnt 0x0
	v_max_num_f32_e64 v5, s38, s38
	s_delay_alu instid0(VALU_DEP_1) | instskip(SKIP_1) | instid1(SALU_CYCLE_3)
	v_readfirstlane_b32 s1, v5
	s_max_num_f32 s17, s0, s1
	s_sub_f32 s37, s28, s17
	s_sub_f32 s38, s38, s17
	s_delay_alu instid0(SALU_CYCLE_2)
	s_cmp_nlt_f32 s37, 0xc2ce8ed0
	s_cselect_b32 s1, -1, 0
	s_cmp_ngt_f32 s37, 0x42b17218
	s_cselect_b32 s2, -1, 0
	s_cmp_ge_f32 s37, 0xc1a00000
	s_cselect_b32 s0, -1, 0
	s_cmp_nlt_f32 s38, 0xc2ce8ed0
	s_cselect_b32 s3, -1, 0
	s_cmp_ngt_f32 s38, 0x42b17218
	s_cselect_b32 s4, -1, 0
	s_cmp_ge_f32 s38, 0xc1a00000
	s_cselect_b32 s5, -1, 0
	s_and_b64 s[44:45], s[40:41], s[8:9]
	s_delay_alu instid0(SALU_CYCLE_1) | instskip(NEXT) | instid1(SALU_CYCLE_1)
	s_mul_u64 s[44:45], s[44:45], s[22:23]
	s_add_co_i32 s24, s45, s40
	s_delay_alu instid0(SALU_CYCLE_1) | instskip(NEXT) | instid1(SALU_CYCLE_1)
	s_lshr_b32 s24, s24, s13
	s_mul_i32 s29, s24, s14
	s_delay_alu instid0(SALU_CYCLE_1) | instskip(SKIP_3) | instid1(SALU_CYCLE_1)
	s_cmp_eq_u32 s29, s40
	s_cselect_b32 s29, -1, 0
	s_cmp_lt_u32 s24, s12
	s_cselect_b32 s24, -1, 0
	s_or_b32 s24, s24, s29
	s_mov_b32 s29, -1
	s_and_b32 vcc_lo, exec_lo, s24
	s_mov_b32 s24, s36
	s_cbranch_vccnz .LBB41_16
; %bb.15:                               ;   in Loop: Header=BB41_9 Depth=1
	s_add_co_i32 s24, s36, -1
	s_mov_b32 s29, 0
	s_mov_b32 s33, s40
.LBB41_16:                              ;   in Loop: Header=BB41_9 Depth=1
	v_lshl_add_u32 v4, s42, 9, v6
	s_mul_f32 s41, s37, 0x3fb8aa3b
	s_mul_f32 s40, s38, 0x3fb8aa3b
	s_delay_alu instid0(SALU_CYCLE_2)
	s_xor_b32 s43, s41, 0x80000000
	global_load_b32 v5, v4, s[26:27] scale_offset
	s_fmamk_f32 s43, s37, 0x3fb8aa3b, s43
	s_rndne_f32 s45, s41
	s_xor_b32 s42, s40, 0x80000000
	s_rndne_f32 s44, s40
	s_fmamk_f32 s37, s37, 0x32a5705f, s43
	s_sub_f32 s41, s41, s45
	s_fmamk_f32 s42, s38, 0x3fb8aa3b, s42
	s_sub_f32 s40, s40, s44
	s_delay_alu instid0(SALU_CYCLE_1) | instskip(NEXT) | instid1(SALU_CYCLE_1)
	s_add_f32 s37, s41, s37
	s_fmamk_f32 s38, s38, 0x32a5705f, s42
	s_cvt_i32_f32 s41, s45
	s_delay_alu instid0(SALU_CYCLE_1) | instskip(NEXT) | instid1(SALU_CYCLE_1)
	v_s_exp_f32 s37, s37
	s_add_f32 s38, s40, s38
	s_cvt_i32_f32 s40, s44
	s_delay_alu instid0(SALU_CYCLE_2) | instskip(NEXT) | instid1(TRANS32_DEP_2)
	v_s_exp_f32 s38, s38
	v_ldexp_f32 v8, s37, s41
	s_wait_xcnt 0x0
	s_delay_alu instid0(TRANS32_DEP_1) | instskip(NEXT) | instid1(VALU_DEP_2)
	v_ldexp_f32 v4, s38, s40
	v_cndmask_b32_e64 v8, 0, v8, s1
	s_delay_alu instid0(VALU_DEP_1) | instskip(NEXT) | instid1(VALU_DEP_1)
	v_cndmask_b32_e64 v9, 0x7f800000, v8, s2
	v_dual_cndmask_b32 v4, 0, v4, s3 :: v_dual_cndmask_b32 v10, 0, v9, s0
	s_delay_alu instid0(VALU_DEP_1) | instskip(NEXT) | instid1(VALU_DEP_1)
	v_cndmask_b32_e64 v4, 0x7f800000, v4, s4
	v_dual_cndmask_b32 v8, 0, v4, s5 :: v_dual_mov_b32 v4, s39
	s_wait_loadcnt 0x0
	s_delay_alu instid0(VALU_DEP_1) | instskip(NEXT) | instid1(VALU_DEP_1)
	v_pk_mul_f32 v[4:5], v[4:5], v[8:9] op_sel_hi:[1,0]
	v_pk_fma_f32 v[4:5], v[0:1], v[10:11], v[4:5] op_sel_hi:[1,0,1]
	s_cbranch_execz .LBB41_19
.LBB41_17:                              ;   in Loop: Header=BB41_9 Depth=1
	s_and_not1_b32 vcc_lo, exec_lo, s29
	s_cbranch_vccnz .LBB41_20
	s_branch .LBB41_23
.LBB41_18:                              ;   in Loop: Header=BB41_9 Depth=1
	s_and_not1_b32 vcc_lo, exec_lo, s0
	s_cbranch_vccnz .LBB41_17
.LBB41_19:                              ;   in Loop: Header=BB41_9 Depth=1
	s_wait_loadcnt 0x0
	v_mov_b64_e32 v[4:5], v[0:1]
	s_add_co_i32 s24, s36, -1
	s_mov_b32 s33, s20
	s_mov_b32 s17, s28
	s_cbranch_execz .LBB41_23
.LBB41_20:                              ;   in Loop: Header=BB41_9 Depth=1
	s_wait_loadcnt 0x0
	s_delay_alu instid0(VALU_DEP_1)
	v_mov_b64_e32 v[0:1], v[4:5]
	s_mov_b32 s20, s33
	s_mov_b32 s36, s24
	;; [unrolled: 1-line block ×3, first 2 shown]
	s_branch .LBB41_9
.LBB41_21:
                                        ; implicit-def: $sgpr20_sgpr21
	s_branch .LBB41_2
.LBB41_22:
                                        ; implicit-def: $sgpr24_sgpr25
	s_load_b96 s[12:14], s[0:1], 0x44
	s_branch .LBB41_5
.LBB41_23:
	s_delay_alu instid0(VALU_DEP_1) | instskip(SKIP_1) | instid1(VALU_DEP_1)
	v_div_scale_f32 v0, null, v4, v4, v5
	s_wait_loadcnt 0x0
	v_rcp_f32_e32 v1, v0
	v_nop
	s_delay_alu instid0(TRANS32_DEP_1) | instskip(NEXT) | instid1(VALU_DEP_1)
	v_fma_f32 v6, -v0, v1, 1.0
	v_fmac_f32_e32 v1, v6, v1
	v_div_scale_f32 v6, vcc_lo, v5, v4, v5
	s_delay_alu instid0(VALU_DEP_1) | instskip(NEXT) | instid1(VALU_DEP_1)
	v_mul_f32_e32 v7, v6, v1
	v_fma_f32 v8, -v0, v7, v6
	s_delay_alu instid0(VALU_DEP_1) | instskip(NEXT) | instid1(VALU_DEP_1)
	v_fmac_f32_e32 v7, v8, v1
	v_fma_f32 v0, -v0, v7, v6
	s_delay_alu instid0(VALU_DEP_1) | instskip(NEXT) | instid1(VALU_DEP_1)
	v_div_fmas_f32 v0, v0, v1, v7
	v_div_fixup_f32 v0, v0, v4, v5
	global_store_b32 v[2:3], v0, off
.LBB41_24:
	s_endpgm
	.section	.rodata,"a",@progbits
	.p2align	6, 0x0
	.amdhsa_kernel _ZL33flash_attn_stream_k_fixup_generalILi256ELi1ELi2EEvPfPK15HIP_vector_typeIfLj2EEiiiiS1_IjLj3EES5_S5_S5_
		.amdhsa_group_segment_fixed_size 0
		.amdhsa_private_segment_fixed_size 0
		.amdhsa_kernarg_size 336
		.amdhsa_user_sgpr_count 2
		.amdhsa_user_sgpr_dispatch_ptr 0
		.amdhsa_user_sgpr_queue_ptr 0
		.amdhsa_user_sgpr_kernarg_segment_ptr 1
		.amdhsa_user_sgpr_dispatch_id 0
		.amdhsa_user_sgpr_kernarg_preload_length 0
		.amdhsa_user_sgpr_kernarg_preload_offset 0
		.amdhsa_user_sgpr_private_segment_size 0
		.amdhsa_wavefront_size32 1
		.amdhsa_uses_dynamic_stack 0
		.amdhsa_enable_private_segment 0
		.amdhsa_system_sgpr_workgroup_id_x 1
		.amdhsa_system_sgpr_workgroup_id_y 1
		.amdhsa_system_sgpr_workgroup_id_z 1
		.amdhsa_system_sgpr_workgroup_info 0
		.amdhsa_system_vgpr_workitem_id 0
		.amdhsa_next_free_vgpr 12
		.amdhsa_next_free_sgpr 46
		.amdhsa_named_barrier_count 0
		.amdhsa_reserve_vcc 1
		.amdhsa_float_round_mode_32 0
		.amdhsa_float_round_mode_16_64 0
		.amdhsa_float_denorm_mode_32 3
		.amdhsa_float_denorm_mode_16_64 3
		.amdhsa_fp16_overflow 0
		.amdhsa_memory_ordered 1
		.amdhsa_forward_progress 1
		.amdhsa_inst_pref_size 26
		.amdhsa_round_robin_scheduling 0
		.amdhsa_exception_fp_ieee_invalid_op 0
		.amdhsa_exception_fp_denorm_src 0
		.amdhsa_exception_fp_ieee_div_zero 0
		.amdhsa_exception_fp_ieee_overflow 0
		.amdhsa_exception_fp_ieee_underflow 0
		.amdhsa_exception_fp_ieee_inexact 0
		.amdhsa_exception_int_div_zero 0
	.end_amdhsa_kernel
	.section	.text._ZL33flash_attn_stream_k_fixup_generalILi256ELi1ELi2EEvPfPK15HIP_vector_typeIfLj2EEiiiiS1_IjLj3EES5_S5_S5_,"axG",@progbits,_ZL33flash_attn_stream_k_fixup_generalILi256ELi1ELi2EEvPfPK15HIP_vector_typeIfLj2EEiiiiS1_IjLj3EES5_S5_S5_,comdat
.Lfunc_end41:
	.size	_ZL33flash_attn_stream_k_fixup_generalILi256ELi1ELi2EEvPfPK15HIP_vector_typeIfLj2EEiiiiS1_IjLj3EES5_S5_S5_, .Lfunc_end41-_ZL33flash_attn_stream_k_fixup_generalILi256ELi1ELi2EEvPfPK15HIP_vector_typeIfLj2EEiiiiS1_IjLj3EES5_S5_S5_
                                        ; -- End function
	.set _ZL33flash_attn_stream_k_fixup_generalILi256ELi1ELi2EEvPfPK15HIP_vector_typeIfLj2EEiiiiS1_IjLj3EES5_S5_S5_.num_vgpr, 12
	.set _ZL33flash_attn_stream_k_fixup_generalILi256ELi1ELi2EEvPfPK15HIP_vector_typeIfLj2EEiiiiS1_IjLj3EES5_S5_S5_.num_agpr, 0
	.set _ZL33flash_attn_stream_k_fixup_generalILi256ELi1ELi2EEvPfPK15HIP_vector_typeIfLj2EEiiiiS1_IjLj3EES5_S5_S5_.numbered_sgpr, 46
	.set _ZL33flash_attn_stream_k_fixup_generalILi256ELi1ELi2EEvPfPK15HIP_vector_typeIfLj2EEiiiiS1_IjLj3EES5_S5_S5_.num_named_barrier, 0
	.set _ZL33flash_attn_stream_k_fixup_generalILi256ELi1ELi2EEvPfPK15HIP_vector_typeIfLj2EEiiiiS1_IjLj3EES5_S5_S5_.private_seg_size, 0
	.set _ZL33flash_attn_stream_k_fixup_generalILi256ELi1ELi2EEvPfPK15HIP_vector_typeIfLj2EEiiiiS1_IjLj3EES5_S5_S5_.uses_vcc, 1
	.set _ZL33flash_attn_stream_k_fixup_generalILi256ELi1ELi2EEvPfPK15HIP_vector_typeIfLj2EEiiiiS1_IjLj3EES5_S5_S5_.uses_flat_scratch, 0
	.set _ZL33flash_attn_stream_k_fixup_generalILi256ELi1ELi2EEvPfPK15HIP_vector_typeIfLj2EEiiiiS1_IjLj3EES5_S5_S5_.has_dyn_sized_stack, 0
	.set _ZL33flash_attn_stream_k_fixup_generalILi256ELi1ELi2EEvPfPK15HIP_vector_typeIfLj2EEiiiiS1_IjLj3EES5_S5_S5_.has_recursion, 0
	.set _ZL33flash_attn_stream_k_fixup_generalILi256ELi1ELi2EEvPfPK15HIP_vector_typeIfLj2EEiiiiS1_IjLj3EES5_S5_S5_.has_indirect_call, 0
	.section	.AMDGPU.csdata,"",@progbits
; Kernel info:
; codeLenInByte = 3328
; TotalNumSgprs: 48
; NumVgprs: 12
; ScratchSize: 0
; MemoryBound: 0
; FloatMode: 240
; IeeeMode: 1
; LDSByteSize: 0 bytes/workgroup (compile time only)
; SGPRBlocks: 0
; VGPRBlocks: 0
; NumSGPRsForWavesPerEU: 48
; NumVGPRsForWavesPerEU: 12
; NamedBarCnt: 0
; Occupancy: 16
; WaveLimiterHint : 0
; COMPUTE_PGM_RSRC2:SCRATCH_EN: 0
; COMPUTE_PGM_RSRC2:USER_SGPR: 2
; COMPUTE_PGM_RSRC2:TRAP_HANDLER: 0
; COMPUTE_PGM_RSRC2:TGID_X_EN: 1
; COMPUTE_PGM_RSRC2:TGID_Y_EN: 1
; COMPUTE_PGM_RSRC2:TGID_Z_EN: 1
; COMPUTE_PGM_RSRC2:TIDIG_COMP_CNT: 0
	.section	.text._ZL15flash_attn_tileILi256ELi256ELi32ELi1ELb0EEvPKcS1_S1_S1_S1_PKiPfP15HIP_vector_typeIfLj2EEffffjfiS5_IjLj3EEiiiiiiiiiiiliiliiiiil,"axG",@progbits,_ZL15flash_attn_tileILi256ELi256ELi32ELi1ELb0EEvPKcS1_S1_S1_S1_PKiPfP15HIP_vector_typeIfLj2EEffffjfiS5_IjLj3EEiiiiiiiiiiiliiliiiiil,comdat
	.globl	_ZL15flash_attn_tileILi256ELi256ELi32ELi1ELb0EEvPKcS1_S1_S1_S1_PKiPfP15HIP_vector_typeIfLj2EEffffjfiS5_IjLj3EEiiiiiiiiiiiliiliiiiil ; -- Begin function _ZL15flash_attn_tileILi256ELi256ELi32ELi1ELb0EEvPKcS1_S1_S1_S1_PKiPfP15HIP_vector_typeIfLj2EEffffjfiS5_IjLj3EEiiiiiiiiiiiliiliiiiil
	.p2align	8
	.type	_ZL15flash_attn_tileILi256ELi256ELi32ELi1ELb0EEvPKcS1_S1_S1_S1_PKiPfP15HIP_vector_typeIfLj2EEffffjfiS5_IjLj3EEiiiiiiiiiiiliiliiiiil,@function
_ZL15flash_attn_tileILi256ELi256ELi32ELi1ELb0EEvPKcS1_S1_S1_S1_PKiPfP15HIP_vector_typeIfLj2EEffffjfiS5_IjLj3EEiiiiiiiiiiiliiliiiiil: ; @_ZL15flash_attn_tileILi256ELi256ELi32ELi1ELb0EEvPKcS1_S1_S1_S1_PKiPfP15HIP_vector_typeIfLj2EEffffjfiS5_IjLj3EEiiiiiiiiiiiliiliiiiil
; %bb.0:
	s_clause 0x1
	s_load_b128 s[24:27], s[0:1], 0x5c
	s_load_b64 s[2:3], s[0:1], 0x80
	s_bfe_u32 s6, ttmp6, 0x40014
	s_lshr_b32 s5, ttmp7, 16
	s_add_co_i32 s6, s6, 1
	s_bfe_u32 s7, ttmp6, 0x40008
	s_mul_i32 s6, s5, s6
	s_getreg_b32 s43, hwreg(HW_REG_IB_STS2, 6, 4)
	s_add_co_i32 s7, s7, s6
	s_load_b64 s[30:31], s[0:1], 0xb8
	s_mov_b32 s39, 0
	s_mov_b64 s[36:37], 0
	s_wait_kmcnt 0x0
	s_cvt_f32_u32 s4, s27
	s_sub_co_i32 s8, 0, s27
	s_delay_alu instid0(SALU_CYCLE_2) | instskip(SKIP_1) | instid1(TRANS32_DEP_1)
	v_rcp_iflag_f32_e32 v1, s4
	v_nop
	v_readfirstlane_b32 s4, v1
	s_mul_f32 s4, s4, 0x4f7ffffe
	s_delay_alu instid0(SALU_CYCLE_3) | instskip(NEXT) | instid1(SALU_CYCLE_3)
	s_cvt_u32_f32 s4, s4
	s_mul_i32 s8, s8, s4
	s_delay_alu instid0(SALU_CYCLE_1) | instskip(NEXT) | instid1(SALU_CYCLE_1)
	s_mul_hi_u32 s8, s4, s8
	s_add_co_i32 s4, s4, s8
	s_cmp_eq_u32 s43, 0
	s_cselect_b32 s5, s5, s7
	s_delay_alu instid0(SALU_CYCLE_1) | instskip(NEXT) | instid1(SALU_CYCLE_1)
	s_mul_hi_u32 s4, s5, s4
	s_mul_i32 s6, s4, s27
	s_add_co_i32 s7, s4, 1
	s_sub_co_i32 s6, s5, s6
	s_delay_alu instid0(SALU_CYCLE_1)
	s_sub_co_i32 s8, s6, s27
	s_cmp_ge_u32 s6, s27
	s_cselect_b32 s4, s7, s4
	s_cselect_b32 s6, s8, s6
	s_add_co_i32 s7, s4, 1
	s_cmp_ge_u32 s6, s27
	s_cselect_b32 s34, s7, s4
	s_abs_i32 s4, s3
	s_mul_i32 s8, s34, s27
	s_cvt_f32_u32 s6, s4
	s_sub_co_i32 s7, 0, s4
	s_abs_i32 s9, s27
	s_sub_co_i32 s33, s5, s8
	v_rcp_iflag_f32_e32 v1, s6
	s_xor_b32 s3, s27, s3
	s_delay_alu instid0(SALU_CYCLE_1) | instskip(SKIP_1) | instid1(TRANS32_DEP_1)
	s_ashr_i32 s3, s3, 31
	v_nop
	v_readfirstlane_b32 s6, v1
	s_mul_f32 s6, s6, 0x4f7ffffe
	s_delay_alu instid0(SALU_CYCLE_3) | instskip(NEXT) | instid1(SALU_CYCLE_3)
	s_cvt_u32_f32 s6, s6
	s_mul_i32 s7, s7, s6
	s_delay_alu instid0(SALU_CYCLE_1) | instskip(NEXT) | instid1(SALU_CYCLE_1)
	s_mul_hi_u32 s7, s6, s7
	s_add_co_i32 s6, s6, s7
	s_delay_alu instid0(SALU_CYCLE_1) | instskip(NEXT) | instid1(SALU_CYCLE_1)
	s_mul_hi_u32 s5, s9, s6
	s_mul_i32 s6, s5, s4
	s_add_co_i32 s7, s5, 1
	s_sub_co_i32 s6, s9, s6
	s_delay_alu instid0(SALU_CYCLE_1)
	s_sub_co_i32 s8, s6, s4
	s_cmp_ge_u32 s6, s4
	s_cselect_b32 s5, s7, s5
	s_cselect_b32 s6, s8, s6
	s_add_co_i32 s7, s5, 1
	s_cmp_ge_u32 s6, s4
	s_load_b512 s[8:23], s[0:1], 0x0
	s_cselect_b32 s4, s7, s5
	s_abs_i32 s38, s33
	s_xor_b32 s4, s4, s3
	s_delay_alu instid0(SALU_CYCLE_1) | instskip(NEXT) | instid1(SALU_CYCLE_1)
	s_sub_co_i32 s28, s4, s3
	s_abs_i32 s3, s28
	s_delay_alu instid0(SALU_CYCLE_1) | instskip(SKIP_1) | instid1(SALU_CYCLE_2)
	s_cvt_f32_u32 s4, s3
	s_sub_co_i32 s5, 0, s3
	v_rcp_iflag_f32_e32 v1, s4
	v_nop
	s_delay_alu instid0(TRANS32_DEP_1) | instskip(SKIP_1) | instid1(SALU_CYCLE_3)
	v_readfirstlane_b32 s4, v1
	s_mul_f32 s4, s4, 0x4f7ffffe
	s_cvt_u32_f32 s4, s4
	s_delay_alu instid0(SALU_CYCLE_3) | instskip(NEXT) | instid1(SALU_CYCLE_1)
	s_mul_i32 s5, s5, s4
	s_mul_hi_u32 s5, s4, s5
	s_delay_alu instid0(SALU_CYCLE_1)
	s_add_co_i32 s40, s4, s5
	s_wait_kmcnt 0x0
	s_cmp_eq_u64 s[14:15], 0
	s_cbranch_scc1 .LBB42_2
; %bb.1:
	s_abs_i32 s6, s30
	s_abs_i32 s7, s34
	s_cvt_f32_u32 s4, s6
	s_sub_co_i32 s5, 0, s6
	s_delay_alu instid0(SALU_CYCLE_2) | instskip(SKIP_1) | instid1(TRANS32_DEP_1)
	v_rcp_iflag_f32_e32 v1, s4
	v_nop
	v_readfirstlane_b32 s4, v1
	s_mul_f32 s4, s4, 0x4f7ffffe
	s_delay_alu instid0(SALU_CYCLE_3) | instskip(NEXT) | instid1(SALU_CYCLE_3)
	s_cvt_u32_f32 s4, s4
	s_mul_i32 s5, s5, s4
	s_delay_alu instid0(SALU_CYCLE_1) | instskip(NEXT) | instid1(SALU_CYCLE_1)
	s_mul_hi_u32 s5, s4, s5
	s_add_co_i32 s4, s4, s5
	s_delay_alu instid0(SALU_CYCLE_1) | instskip(SKIP_2) | instid1(SALU_CYCLE_1)
	s_mul_hi_u32 s29, s7, s4
	s_load_b64 s[4:5], s[0:1], 0xc8
	s_mul_i32 s29, s29, s6
	s_sub_co_i32 s7, s7, s29
	s_ashr_i32 s29, s34, 31
	s_sub_co_i32 s30, s7, s6
	s_cmp_ge_u32 s7, s6
	s_cselect_b32 s7, s30, s7
	s_delay_alu instid0(SALU_CYCLE_1) | instskip(SKIP_2) | instid1(SALU_CYCLE_1)
	s_sub_co_i32 s30, s7, s6
	s_cmp_ge_u32 s7, s6
	s_cselect_b32 s6, s30, s7
	s_xor_b32 s6, s6, s29
	s_delay_alu instid0(SALU_CYCLE_1) | instskip(NEXT) | instid1(SALU_CYCLE_1)
	s_sub_co_i32 s6, s6, s29
	s_ashr_i32 s7, s6, 31
	s_wait_kmcnt 0x0
	s_mul_u64 s[4:5], s[4:5], s[6:7]
	s_delay_alu instid0(SALU_CYCLE_1)
	s_add_nc_u64 s[36:37], s[14:15], s[4:5]
.LBB42_2:
	s_clause 0x1
	s_load_b128 s[4:7], s[0:1], 0x40
	s_load_b32 s14, s[0:1], 0x50
	v_mov_b32_e32 v104, 1.0
	s_mov_b32 s41, s39
	s_wait_kmcnt 0x0
	s_cmp_le_f32 s5, 0
	s_cbranch_scc1 .LBB42_4
; %bb.3:
	v_sub_co_u32 v1, s5, s33, s14
	s_and_b32 s15, s5, exec_lo
	s_cselect_b32 s7, s6, s7
	v_readfirstlane_b32 s14, v1
	s_lshl_b32 s6, s14, 1
	s_add_co_i32 s14, s33, 1
	s_or_b32 s6, s6, 1
	s_and_b32 s5, s5, exec_lo
	s_cselect_b32 s5, s14, s6
	s_cmp_neq_f32 s7, 1.0
	s_cvt_f32_i32 s5, s5
	s_delay_alu instid0(SALU_CYCLE_3) | instskip(NEXT) | instid1(SALU_CYCLE_1)
	s_cselect_b32 s6, s5, 1.0
	s_cmp_neq_f32 s6, 0
	s_cselect_b32 s5, s7, 1.0
	s_delay_alu instid0(SALU_CYCLE_1) | instskip(NEXT) | instid1(VALU_DEP_1)
	v_cvt_f64_f32_e64 v[2:3], |s5|
	v_frexp_exp_i32_f64_e32 v1, v[2:3]
	v_frexp_mant_f32_e64 v2, |s5|
	s_delay_alu instid0(VALU_DEP_1) | instskip(SKIP_2) | instid1(SALU_CYCLE_1)
	v_readfirstlane_b32 s7, v2
	s_cmp_lt_f32 s7, 0x3f2aaaab
	s_cselect_b32 vcc_lo, -1, 0
	s_and_b32 s14, vcc_lo, exec_lo
	s_cselect_b32 s14, 2.0, 1.0
	s_delay_alu instid0(SALU_CYCLE_1) | instskip(NEXT) | instid1(SALU_CYCLE_3)
	s_mul_f32 s7, s7, s14
	s_add_f32 s14, s7, 1.0
	s_add_f32 s29, s7, -1.0
	s_delay_alu instid0(SALU_CYCLE_2) | instskip(SKIP_2) | instid1(SALU_CYCLE_2)
	v_s_rcp_f32 s15, s14
	s_add_f32 s42, s14, -1.0
	v_subrev_co_ci_u32_e64 v1, null, 0, v1, vcc_lo
	s_sub_f32 s7, s7, s42
	s_delay_alu instid0(TRANS32_DEP_1) | instskip(SKIP_1) | instid1(SALU_CYCLE_2)
	s_mul_f32 s30, s29, s15
	v_cvt_f32_i32_e32 v1, v1
	s_mul_f32 s35, s14, s30
	s_delay_alu instid0(SALU_CYCLE_3) | instskip(SKIP_1) | instid1(SALU_CYCLE_1)
	v_dual_mov_b32 v3, s29 :: v_dual_mov_b32 v4, s35
	s_xor_b32 s44, s35, 0x80000000
	s_fmac_f32 s44, s30, s14
	s_delay_alu instid0(SALU_CYCLE_3) | instskip(NEXT) | instid1(SALU_CYCLE_3)
	s_fmac_f32 s44, s30, s7
	s_add_f32 s7, s35, s44
	s_delay_alu instid0(SALU_CYCLE_3) | instskip(SKIP_1) | instid1(SALU_CYCLE_3)
	v_dual_mov_b32 v6, s44 :: v_dual_mov_b32 v7, s7
	s_sub_f32 s14, s29, s7
	v_dual_mov_b32 v2, s7 :: v_dual_mov_b32 v5, s14
	s_delay_alu instid0(VALU_DEP_1) | instskip(NEXT) | instid1(VALU_DEP_1)
	v_pk_add_f32 v[2:3], v[2:3], v[4:5] neg_lo:[0,1] neg_hi:[0,1]
	v_pk_add_f32 v[2:3], v[2:3], v[6:7] neg_lo:[0,1] neg_hi:[0,1]
	s_delay_alu instid0(VALU_DEP_1) | instskip(NEXT) | instid1(VALU_DEP_2)
	v_readfirstlane_b32 s7, v3
	v_readfirstlane_b32 s29, v2
	s_add_f32 s7, s29, s7
	s_delay_alu instid0(SALU_CYCLE_3) | instskip(NEXT) | instid1(SALU_CYCLE_3)
	s_add_f32 s7, s14, s7
	s_mul_f32 s7, s15, s7
	s_delay_alu instid0(SALU_CYCLE_3) | instskip(NEXT) | instid1(SALU_CYCLE_3)
	s_add_f32 s14, s30, s7
	s_sub_f32 s15, s14, s30
	s_mul_f32 s29, s14, s14
	s_delay_alu instid0(SALU_CYCLE_2) | instskip(NEXT) | instid1(SALU_CYCLE_2)
	s_sub_f32 s7, s7, s15
	s_xor_b32 s15, s29, 0x80000000
	s_delay_alu instid0(SALU_CYCLE_1) | instskip(NEXT) | instid1(SALU_CYCLE_1)
	s_fmac_f32 s15, s14, s14
	s_add_f32 s30, s7, s7
	s_delay_alu instid0(SALU_CYCLE_3) | instskip(SKIP_1) | instid1(SALU_CYCLE_2)
	s_fmac_f32 s15, s14, s30
	s_mov_b32 s30, 0x3e76c4e1
	s_add_f32 s44, s29, s15
	s_delay_alu instid0(SALU_CYCLE_3) | instskip(SKIP_1) | instid1(SALU_CYCLE_2)
	s_fmaak_f32 s30, s44, s30, 0x3e91f4c4
	s_sub_f32 s29, s44, s29
	s_fmaak_f32 s30, s44, s30, 0x3ecccdef
	s_delay_alu instid0(SALU_CYCLE_2) | instskip(NEXT) | instid1(SALU_CYCLE_2)
	s_sub_f32 s29, s15, s29
	s_mul_f32 s35, s44, s30
	s_delay_alu instid0(SALU_CYCLE_3) | instskip(NEXT) | instid1(SALU_CYCLE_1)
	s_xor_b32 s42, s35, 0x80000000
	s_fmac_f32 s42, s44, s30
	s_delay_alu instid0(SALU_CYCLE_3) | instskip(NEXT) | instid1(SALU_CYCLE_3)
	s_fmac_f32 s42, s29, s30
	s_add_f32 s30, s35, s42
	s_delay_alu instid0(SALU_CYCLE_3) | instskip(SKIP_1) | instid1(SALU_CYCLE_2)
	s_sub_f32 s15, s30, s35
	s_add_f32 s35, s30, 0x3f2aaaaa
	s_sub_f32 s15, s42, s15
	s_delay_alu instid0(SALU_CYCLE_2) | instskip(NEXT) | instid1(SALU_CYCLE_2)
	s_add_f32 s42, s35, 0xbf2aaaaa
	s_add_f32 s15, s15, 0x31739010
	s_delay_alu instid0(SALU_CYCLE_2) | instskip(NEXT) | instid1(SALU_CYCLE_2)
	s_sub_f32 s45, s30, s42
	v_mov_b64_e32 v[2:3], s[14:15]
	s_delay_alu instid0(SALU_CYCLE_2) | instskip(NEXT) | instid1(VALU_DEP_1)
	v_mov_b64_e32 v[4:5], s[44:45]
	v_pk_mul_f32 v[6:7], v[2:3], v[4:5]
	v_pk_add_f32 v[2:3], v[2:3], v[4:5]
	v_mov_b32_e32 v9, s35
	s_delay_alu instid0(VALU_DEP_3) | instskip(NEXT) | instid1(VALU_DEP_3)
	v_xor_b32_e32 v8, 0x80000000, v6
	v_mov_b32_e32 v7, v3
	s_delay_alu instid0(VALU_DEP_2) | instskip(NEXT) | instid1(VALU_DEP_1)
	v_fmac_f32_e64 v8, s44, s14
	v_fmac_f32_e64 v8, s44, s7
	s_delay_alu instid0(VALU_DEP_1) | instskip(NEXT) | instid1(VALU_DEP_1)
	v_fmac_f32_e64 v8, s29, s14
	v_pk_add_f32 v[4:5], v[6:7], v[8:9]
	s_delay_alu instid0(VALU_DEP_1) | instskip(SKIP_1) | instid1(VALU_DEP_2)
	v_dual_mov_b32 v2, v5 :: v_dual_sub_f32 v7, s35, v5
	v_mul_f32_e32 v12, 0x3f317218, v1
	v_pk_mul_f32 v[10:11], v[4:5], v[2:3]
	s_delay_alu instid0(VALU_DEP_3) | instskip(NEXT) | instid1(VALU_DEP_3)
	v_add_f32_e32 v3, v3, v7
	v_xor_b32_e32 v7, 0x80000000, v12
	s_delay_alu instid0(VALU_DEP_3) | instskip(NEXT) | instid1(VALU_DEP_2)
	v_xor_b32_e32 v2, 0x80000000, v10
	v_dual_sub_f32 v6, v4, v6 :: v_dual_fmac_f32 v7, 0x3f317218, v1
	s_delay_alu instid0(VALU_DEP_2) | instskip(NEXT) | instid1(VALU_DEP_2)
	v_fmac_f32_e32 v2, v4, v5
	v_sub_f32_e32 v6, v8, v6
	s_delay_alu instid0(VALU_DEP_2) | instskip(NEXT) | instid1(VALU_DEP_1)
	v_fmac_f32_e32 v2, v4, v3
	v_fmac_f32_e32 v2, v6, v5
	v_fmamk_f32 v4, v1, 0xb102e308, v7
	v_ldexp_f32 v5, s14, 1
	v_ldexp_f32 v1, s7, 1
	s_delay_alu instid0(VALU_DEP_2) | instskip(NEXT) | instid1(VALU_DEP_1)
	v_dual_add_f32 v13, v10, v2 :: v_dual_mov_b32 v11, v5
	v_pk_add_f32 v[6:7], v[12:13], v[4:5]
	v_dual_mov_b32 v8, v13 :: v_dual_mov_b32 v3, v13
	s_delay_alu instid0(VALU_DEP_2) | instskip(SKIP_1) | instid1(VALU_DEP_2)
	v_dual_mov_b32 v9, v7 :: v_dual_mov_b32 v5, v6
	v_mov_b32_e32 v14, v7
	v_pk_add_f32 v[8:9], v[8:9], v[10:11] neg_lo:[0,1] neg_hi:[0,1]
	s_delay_alu instid0(VALU_DEP_1) | instskip(NEXT) | instid1(VALU_DEP_1)
	v_pk_add_f32 v[2:3], v[2:3], v[8:9] neg_lo:[0,1] neg_hi:[0,1]
	v_add_f32_e32 v1, v1, v2
	s_delay_alu instid0(VALU_DEP_1) | instskip(NEXT) | instid1(VALU_DEP_1)
	v_add_f32_e32 v13, v1, v3
	v_pk_add_f32 v[2:3], v[6:7], v[12:13]
	v_pk_add_f32 v[8:9], v[6:7], v[12:13] neg_lo:[0,1] neg_hi:[0,1]
	s_delay_alu instid0(VALU_DEP_2) | instskip(NEXT) | instid1(VALU_DEP_1)
	v_mov_b32_e32 v9, v3
	v_pk_add_f32 v[10:11], v[4:5], v[8:9]
	v_pk_add_f32 v[4:5], v[4:5], v[8:9] neg_lo:[0,1] neg_hi:[0,1]
	v_dual_mov_b32 v16, v3 :: v_dual_mov_b32 v5, v6
	s_delay_alu instid0(VALU_DEP_3) | instskip(NEXT) | instid1(VALU_DEP_3)
	v_dual_mov_b32 v12, v11 :: v_dual_mov_b32 v17, v11
	v_readfirstlane_b32 s7, v4
	s_delay_alu instid0(VALU_DEP_2) | instskip(NEXT) | instid1(VALU_DEP_2)
	v_pk_add_f32 v[8:9], v[12:13], v[6:7] neg_lo:[0,1] neg_hi:[0,1]
	v_dual_mov_b32 v4, v13 :: v_dual_mov_b32 v10, s7
	s_delay_alu instid0(VALU_DEP_2) | instskip(NEXT) | instid1(VALU_DEP_1)
	v_dual_mov_b32 v15, v8 :: v_dual_mov_b32 v1, v8
	v_pk_add_f32 v[6:7], v[16:17], v[14:15] neg_lo:[0,1] neg_hi:[0,1]
	s_delay_alu instid0(VALU_DEP_2) | instskip(SKIP_1) | instid1(VALU_DEP_3)
	v_pk_add_f32 v[2:3], v[2:3], v[0:1] neg_lo:[0,1] neg_hi:[0,1]
	v_mov_b32_e32 v2, s7
	v_pk_add_f32 v[4:5], v[4:5], v[6:7] neg_lo:[0,1] neg_hi:[0,1]
	s_delay_alu instid0(VALU_DEP_1) | instskip(NEXT) | instid1(VALU_DEP_1)
	v_pk_add_f32 v[2:3], v[2:3], v[4:5]
	v_readfirstlane_b32 s14, v2
	s_delay_alu instid0(VALU_DEP_2) | instskip(NEXT) | instid1(VALU_DEP_1)
	v_mov_b32_e32 v6, v3
	v_pk_add_f32 v[6:7], v[2:3], v[6:7]
	s_delay_alu instid0(VALU_DEP_3) | instskip(NEXT) | instid1(VALU_DEP_2)
	v_mov_b32_e32 v2, s14
	v_pk_add_f32 v[8:9], v[12:13], v[6:7]
	v_mov_b32_e32 v5, v6
	s_delay_alu instid0(VALU_DEP_2) | instskip(NEXT) | instid1(VALU_DEP_1)
	v_readfirstlane_b32 s15, v8
	v_mov_b32_e32 v3, s15
	s_delay_alu instid0(VALU_DEP_1) | instskip(NEXT) | instid1(VALU_DEP_1)
	v_pk_add_f32 v[2:3], v[2:3], v[10:11] neg_lo:[0,1] neg_hi:[0,1]
	v_readfirstlane_b32 s29, v2
	s_delay_alu instid0(VALU_DEP_2) | instskip(SKIP_1) | instid1(VALU_DEP_1)
	v_pk_add_f32 v[2:3], v[4:5], v[2:3] neg_lo:[0,1] neg_hi:[0,1]
	s_sub_f32 s14, s14, s29
	v_readfirstlane_b32 s29, v2
	s_delay_alu instid0(SALU_CYCLE_2) | instskip(SKIP_1) | instid1(SALU_CYCLE_2)
	s_sub_f32 s7, s7, s14
	v_readfirstlane_b32 s14, v3
	s_add_f32 s7, s29, s7
	s_delay_alu instid0(SALU_CYCLE_3) | instskip(NEXT) | instid1(SALU_CYCLE_3)
	s_add_f32 s7, s7, s14
	s_add_f32 s14, s15, s7
	s_delay_alu instid0(SALU_CYCLE_3) | instskip(SKIP_1) | instid1(SALU_CYCLE_2)
	s_mul_f32 s29, s6, s14
	s_sub_f32 s15, s14, s15
	s_xor_b32 s30, s29, 0x80000000
	s_delay_alu instid0(SALU_CYCLE_2) | instskip(SKIP_1) | instid1(SALU_CYCLE_3)
	s_sub_f32 s7, s7, s15
	s_fmac_f32 s30, s6, s14
	s_fmac_f32 s30, s6, s7
	v_cmp_class_f32_e64 s7, s29, 0x204
	s_delay_alu instid0(SALU_CYCLE_2) | instskip(SKIP_1) | instid1(SALU_CYCLE_2)
	s_add_f32 s14, s29, s30
	s_and_b32 s7, s7, exec_lo
	s_sub_f32 s7, s14, s29
	s_cselect_b32 s14, s29, s14
	s_delay_alu instid0(SALU_CYCLE_1) | instskip(NEXT) | instid1(SALU_CYCLE_1)
	s_and_b32 s15, s14, 0x7fffffff
	s_sub_f32 s7, s30, s7
	s_cmp_neq_f32 s15, 0x7f800000
	s_delay_alu instid0(SALU_CYCLE_2) | instskip(SKIP_2) | instid1(SALU_CYCLE_1)
	s_cselect_b32 s7, s7, 0
	s_cmp_eq_f32 s14, 0x42b17218
	s_cselect_b32 s15, 0x37000000, 0
	s_sub_f32 s14, s14, s15
	s_add_f32 s7, s15, s7
	s_delay_alu instid0(SALU_CYCLE_2) | instskip(NEXT) | instid1(SALU_CYCLE_3)
	s_mul_f32 s29, s14, 0x3fb8aa3b
	s_xor_b32 s30, s29, 0x80000000
	s_rndne_f32 s35, s29
	s_fmamk_f32 s30, s14, 0x3fb8aa3b, s30
	s_cmp_nlt_f32 s14, 0xc2ce8ed0
	s_delay_alu instid0(SALU_CYCLE_1) | instskip(NEXT) | instid1(SALU_CYCLE_1)
	s_sub_f32 s29, s29, s35
	s_fmamk_f32 s30, s14, 0x32a5705f, s30
	s_cselect_b32 vcc_lo, -1, 0
	s_cmp_ngt_f32 s14, 0x42b17218
	s_trunc_f32 s14, s6
	s_add_f32 s29, s29, s30
	s_cvt_i32_f32 s30, s35
	s_delay_alu instid0(SALU_CYCLE_2)
	v_s_exp_f32 s29, s29
	v_nop
	s_delay_alu instid0(TRANS32_DEP_1) | instid1(SALU_CYCLE_1)
	v_ldexp_f32 v1, s29, s30
	s_mul_f32 s29, s6, 0.5
	s_delay_alu instid0(VALU_DEP_1) | instskip(SKIP_3) | instid1(VALU_DEP_1)
	v_cndmask_b32_e32 v1, 0, v1, vcc_lo
	s_cselect_b32 vcc_lo, -1, 0
	s_cmp_eq_f32 s14, s6
	s_trunc_f32 s30, s29
	v_cndmask_b32_e32 v1, 0x7f800000, v1, vcc_lo
	s_cselect_b32 s35, -1, 0
	s_delay_alu instid0(SALU_CYCLE_1) | instskip(NEXT) | instid1(VALU_DEP_1)
	s_cmp_neq_f32 s30, s29
	v_fma_f32 v2, s7, v1, v1
	v_cmp_class_f32_e64 vcc_lo, v1, 0x204
	s_cselect_b32 s15, -1, 0
	s_delay_alu instid0(SALU_CYCLE_1)
	s_and_b32 s7, s35, s15
	v_cndmask_b32_e32 v1, v2, v1, vcc_lo
	s_and_b32 s15, s7, exec_lo
	s_cselect_b32 s15, s5, 1.0
	s_cmp_eq_f32 s14, s6
	v_cmp_class_f32_e64 s14, s5, 0x204
	v_bfi_b32 v1, 0x7fffffff, v1, s15
	s_cselect_b32 vcc_lo, -1, 0
	s_cmp_lt_f32 s5, 0
	s_delay_alu instid0(VALU_DEP_1) | instskip(SKIP_2) | instid1(VALU_DEP_1)
	v_cndmask_b32_e32 v2, 0x7fc00000, v1, vcc_lo
	s_cselect_b32 vcc_lo, -1, 0
	s_cmp_eq_f32 s5, 0
	v_cndmask_b32_e32 v1, v1, v2, vcc_lo
	s_cselect_b32 s15, -1, 0
	s_delay_alu instid0(SALU_CYCLE_1) | instskip(SKIP_2) | instid1(SALU_CYCLE_1)
	s_or_b32 vcc_lo, s15, s14
	s_cmp_lt_f32 s6, 0
	s_cselect_b32 s6, -1, 0
	s_xor_b32 s6, s6, s15
	s_delay_alu instid0(SALU_CYCLE_1)
	s_and_b32 s6, s6, exec_lo
	s_cselect_b32 s6, 0, 0x7f800000
	s_and_b32 s7, s7, exec_lo
	s_cselect_b32 s7, s5, 0
	s_cmp_o_f32 s5, s5
	v_mov_b32_e32 v2, s7
	s_delay_alu instid0(VALU_DEP_1) | instskip(NEXT) | instid1(VALU_DEP_1)
	v_bfi_b32 v2, 0x7fffffff, s6, v2
	v_cndmask_b32_e32 v1, v1, v2, vcc_lo
	s_cselect_b32 vcc_lo, -1, 0
	s_delay_alu instid0(VALU_DEP_1)
	v_cndmask_b32_e32 v104, 0x7fc00000, v1, vcc_lo
.LBB42_4:
	s_bfe_u32 s5, ttmp6, 0x4000c
	s_and_b32 s6, ttmp6, 15
	s_add_co_i32 s5, s5, 1
	s_ashr_i32 s44, s33, 31
	s_mul_i32 s5, ttmp9, s5
	v_bfe_u32 v79, v0, 10, 10
	s_ashr_i32 s45, s28, 31
	s_add_co_i32 s6, s6, s5
	s_cmp_eq_u32 s43, 0
	s_load_b96 s[28:30], s[0:1], 0x70
	s_cselect_b32 s5, ttmp9, s6
	v_and_b32_e32 v136, 0x3ff, v0
	s_lshl_b32 s42, s5, 5
	s_delay_alu instid0(VALU_DEP_1) | instskip(NEXT) | instid1(VALU_DEP_1)
	v_dual_lshlrev_b32 v154, 2, v79 :: v_dual_lshlrev_b32 v10, 4, v136
	v_dual_lshlrev_b32 v148, 2, v136 :: v_dual_bitop2_b32 v152, 1, v154 bitop3:0x54
	v_lshlrev_b32_e32 v158, 3, v136
	s_delay_alu instid0(VALU_DEP_2) | instskip(SKIP_2) | instid1(VALU_DEP_3)
	v_dual_add_nc_u32 v153, s42, v152 :: v_dual_add_nc_u32 v155, s42, v154
	v_or_b32_e32 v150, 2, v154
	v_or_b32_e32 v135, 3, v154
	v_mul_hi_u32 v2, v153, s24
	s_delay_alu instid0(VALU_DEP_4)
	v_mul_hi_u32 v1, v155, s24
	v_mov_b32_e32 v11, 0
	s_wait_kmcnt 0x0
	s_mul_i32 s6, s34, s30
	s_mul_i32 s14, s33, s29
	s_ashr_i32 s7, s6, 31
	s_ashr_i32 s15, s14, 31
	s_add_nc_u64 s[6:7], s[8:9], s[6:7]
	v_add_nc_u32_e32 v149, s42, v135
	s_add_nc_u64 s[6:7], s[6:7], s[14:15]
	s_ashr_i32 s29, s28, 31
	v_dual_add_nc_u32 v0, v153, v2 :: v_dual_add_nc_u32 v1, v155, v1
	v_mov_b32_e32 v75, v11
	v_add_nc_u64_e32 v[8:9], s[6:7], v[10:11]
	s_lshr_b64 s[8:9], s[28:29], 2
	s_delay_alu instid0(VALU_DEP_3) | instskip(SKIP_2) | instid1(VALU_DEP_1)
	v_dual_lshrrev_b32 v0, s25, v0 :: v_dual_lshrrev_b32 v1, s25, v1
	s_mul_u64 s[14:15], s[38:39], s[40:41]
	s_cmp_eq_u64 s[18:19], 0
	v_mul_lo_u32 v2, v0, s26
	s_delay_alu instid0(VALU_DEP_2) | instskip(NEXT) | instid1(VALU_DEP_1)
	v_mul_lo_u32 v1, v1, s26
	v_dual_add_nc_u32 v151, s42, v150 :: v_dual_sub_nc_u32 v74, v155, v1
	s_delay_alu instid0(VALU_DEP_1) | instskip(NEXT) | instid1(VALU_DEP_4)
	v_mul_hi_u32 v3, v151, s24
	v_sub_nc_u32_e32 v10, v153, v2
	s_delay_alu instid0(VALU_DEP_3) | instskip(SKIP_1) | instid1(VALU_DEP_4)
	v_mul_u64_e32 v[0:1], s[8:9], v[74:75]
	v_lshlrev_b32_e32 v75, 11, v79
	v_add_nc_u32_e32 v2, v151, v3
	v_mul_hi_u32 v3, v149, s24
	v_mul_u64_e32 v[4:5], s[8:9], v[10:11]
	s_delay_alu instid0(VALU_DEP_3) | instskip(NEXT) | instid1(VALU_DEP_1)
	v_lshrrev_b32_e32 v2, s25, v2
	v_mul_lo_u32 v2, v2, s26
	s_delay_alu instid0(VALU_DEP_1) | instskip(SKIP_1) | instid1(VALU_DEP_2)
	v_dual_sub_nc_u32 v10, v151, v2 :: v_dual_add_nc_u32 v2, v149, v3
	v_lshl_add_u64 v[22:23], v[0:1], 2, v[8:9]
	v_lshrrev_b32_e32 v6, s25, v2
	s_delay_alu instid0(VALU_DEP_3)
	v_mul_u64_e32 v[20:21], s[8:9], v[10:11]
	global_load_b128 v[0:3], v[22:23], off
	v_mul_lo_u32 v10, v6, s26
	v_lshl_add_u64 v[24:25], v[4:5], 2, v[8:9]
	s_clause 0x2
	global_load_b128 v[4:7], v[22:23], off offset:512
	global_load_b128 v[12:15], v[24:25], off
	global_load_b128 v[16:19], v[24:25], off offset:512
	v_sub_nc_u32_e32 v10, v149, v10
	s_delay_alu instid0(VALU_DEP_1)
	v_mul_u64_e32 v[28:29], s[8:9], v[10:11]
	s_mov_b32 s9, 0
	v_lshl_add_u64 v[30:31], v[20:21], 2, v[8:9]
	s_clause 0x1
	global_load_b128 v[20:23], v[30:31], off
	global_load_b128 v[24:27], v[30:31], off offset:512
	v_lshl_add_u64 v[8:9], v[28:29], 2, v[8:9]
	s_clause 0x1
	global_load_b128 v[28:31], v[8:9], off
	global_load_b128 v[32:35], v[8:9], off offset:512
	s_wait_xcnt 0x0
	v_add_nc_u32_e32 v8, 0x4400, v158
	s_delay_alu instid0(VALU_DEP_1)
	v_lshl_add_u32 v36, v152, 9, v8
	v_lshl_add_u32 v37, v150, 9, v8
	;; [unrolled: 1-line block ×3, first 2 shown]
	s_wait_loadcnt 0x7
	v_fma_mixlo_f16 v0, s4, v0, 0
	v_fma_mixlo_f16 v1, s4, v1, 0
	v_add_nc_u32_e32 v10, v8, v75
	v_fma_mixlo_f16 v2, s4, v2, 0
	v_fma_mixlo_f16 v3, s4, v3, 0
	v_and_b32_e32 v0, 0xffff, v0
	s_wait_loadcnt 0x6
	v_fma_mixlo_f16 v4, s4, v4, 0
	v_fma_mixlo_f16 v5, s4, v5, 0
	v_fma_mixlo_f16 v6, s4, v6, 0
	v_fma_mixlo_f16 v7, s4, v7, 0
	s_wait_loadcnt 0x5
	v_fma_mixlo_f16 v8, s4, v12, 0
	v_fma_mixlo_f16 v9, s4, v13, 0
	v_fma_mixlo_f16 v12, s4, v14, 0
	v_fma_mixlo_f16 v13, s4, v15, 0
	;; [unrolled: 5-line block ×3, first 2 shown]
	v_dual_lshlrev_b32 v1, 16, v1 :: v_dual_lshlrev_b32 v3, 16, v3
	v_lshlrev_b32_e32 v5, 16, v5
	v_and_b32_e32 v2, 0xffff, v2
	v_and_b32_e32 v4, 0xffff, v4
	v_dual_lshlrev_b32 v7, 16, v7 :: v_dual_lshlrev_b32 v9, 16, v9
	v_and_b32_e32 v6, 0xffff, v6
	v_and_b32_e32 v8, 0xffff, v8
	v_dual_lshlrev_b32 v13, 16, v13 :: v_dual_lshlrev_b32 v15, 16, v15
	v_and_b32_e32 v12, 0xffff, v12
	v_and_b32_e32 v14, 0xffff, v14
	v_dual_lshlrev_b32 v17, 16, v17 :: v_dual_bitop2_b32 v0, v1, v0 bitop3:0x54
	v_and_b32_e32 v16, 0xffff, v16
	s_wait_loadcnt 0x3
	v_fma_mixlo_f16 v18, s4, v20, 0
	v_fma_mixlo_f16 v19, s4, v21, 0
	;; [unrolled: 1-line block ×4, first 2 shown]
	s_wait_loadcnt 0x2
	v_fma_mixlo_f16 v22, s4, v24, 0
	v_fma_mixlo_f16 v23, s4, v25, 0
	;; [unrolled: 1-line block ×4, first 2 shown]
	v_or3_b32 v1, v3, v2, 0
	v_or_b32_e32 v2, v5, v4
	v_or3_b32 v3, v7, v6, 0
	v_or_b32_e32 v4, v9, v8
	v_or3_b32 v5, v13, v12, 0
	v_dual_lshlrev_b32 v14, 16, v23 :: v_dual_bitop2_b32 v6, v15, v14 bitop3:0x54
	v_or3_b32 v7, v17, v16, 0
	v_lshlrev_b32_e32 v8, 16, v19
	v_and_b32_e32 v9, 0xffff, v18
	v_lshlrev_b32_e32 v12, 16, v21
	v_and_b32_e32 v13, 0xffff, v20
	v_and_b32_e32 v15, 0xffff, v22
	v_lshlrev_b32_e32 v16, 16, v25
	v_and_b32_e32 v17, 0xffff, v24
	s_wait_loadcnt 0x1
	v_fma_mixlo_f16 v18, s4, v28, 0
	v_fma_mixlo_f16 v19, s4, v29, 0
	;; [unrolled: 1-line block ×3, first 2 shown]
	s_wait_loadcnt 0x0
	v_fma_mixlo_f16 v22, s4, v32, 0
	v_fma_mixlo_f16 v23, s4, v33, 0
	;; [unrolled: 1-line block ×5, first 2 shown]
	v_or_b32_e32 v8, v8, v9
	v_or3_b32 v9, v12, v13, 0
	v_or_b32_e32 v12, v14, v15
	v_or3_b32 v13, v16, v17, 0
	v_lshlrev_b32_e32 v14, 16, v19
	v_and_b32_e32 v15, 0xffff, v18
	v_dual_lshlrev_b32 v16, 16, v21 :: v_dual_lshlrev_b32 v18, 16, v23
	v_and_b32_e32 v19, 0xffff, v22
	v_and_b32_e32 v17, 0xffff, v20
	s_delay_alu instid0(VALU_DEP_4) | instskip(SKIP_1) | instid1(VALU_DEP_4)
	v_dual_lshlrev_b32 v20, 16, v25 :: v_dual_bitop2_b32 v14, v14, v15 bitop3:0x54
	v_and_b32_e32 v21, 0xffff, v24
	v_or_b32_e32 v18, v18, v19
	v_or3_b32 v0, 0, 0, v0
	v_or3_b32 v2, 0, 0, v2
	;; [unrolled: 1-line block ×10, first 2 shown]
	ds_store_2addr_b64 v10, v[0:1], v[2:3] offset1:32
	ds_store_2addr_b64 v36, v[4:5], v[6:7] offset1:32
	;; [unrolled: 1-line block ×4, first 2 shown]
	s_wait_dscnt 0x0
	s_barrier_signal -1
	s_barrier_wait -1
	s_cbranch_scc1 .LBB42_6
; %bb.5:
	s_load_b32 s2, s[0:1], 0xd0
	s_wait_kmcnt 0x0
	s_mul_i32 s2, s2, s34
	s_delay_alu instid0(SALU_CYCLE_1)
	s_add_co_i32 s2, s2, s5
	s_load_b32 s2, s[18:19], s2 offset:0x0 scale_offset
.LBB42_6:
	s_wait_xcnt 0x0
	s_clause 0x2
	s_load_b64 s[18:19], s[0:1], 0x8c
	s_load_b128 s[4:7], s[0:1], 0x98
	s_load_b64 s[40:41], s[0:1], 0xa8
	s_mul_i32 s14, s15, s3
	s_mov_b32 s8, s24
	s_ashr_i32 s24, s31, 1
	s_sub_co_i32 s31, s38, s14
	s_ashr_i32 s35, s34, 31
	s_xor_b32 s29, s44, s45
	s_add_co_i32 s30, s15, 1
	s_sub_co_i32 s44, s31, s3
	v_dual_lshrrev_b32 v106, 4, v136 :: v_dual_bitop2_b32 v76, 1, v155 bitop3:0x54
	v_dual_lshlrev_b32 v157, 9, v79 :: v_dual_bitop2_b32 v78, 60, v148 bitop3:0x40
	v_mul_u32_u24_e32 v105, 0x110, v136
	v_or_b32_e32 v72, 2, v155
	v_or_b32_e32 v70, 3, v155
	v_mbcnt_lo_u32_b32 v156, -1, 0
	s_wait_kmcnt 0x0
	s_ashr_i32 s14, s18, 2
	s_ashr_i32 s28, s6, 2
	s_cmp_ge_u32 s31, s3
	s_mul_u64 s[4:5], s[4:5], s[34:35]
	s_cselect_b32 s6, s30, s15
	s_add_nc_u64 s[4:5], s[10:11], s[4:5]
	s_cselect_b32 s10, s44, s31
	s_add_co_i32 s11, s6, 1
	s_cmp_ge_u32 s10, s3
	v_mul_lo_u32 v68, s28, v79
	s_cselect_b32 s3, s11, s6
	s_bfe_u32 s6, ttmp6, 0x40010
	s_xor_b32 s3, s3, s29
	s_and_b32 s15, ttmp7, 0xffff
	s_add_co_i32 s6, s6, 1
	s_sub_co_i32 s3, s3, s29
	s_bfe_u32 s11, ttmp6, 0x40004
	s_mul_i32 s18, s15, s6
	s_mul_i32 s6, s3, s19
	;; [unrolled: 1-line block ×3, first 2 shown]
	s_add_co_i32 s3, s11, s18
	s_ashr_i32 s7, s6, 31
	s_ashr_i32 s11, s10, 31
	s_cmp_eq_u32 s43, 0
	s_mul_u64 s[38:39], s[40:41], s[34:35]
	s_cselect_b32 s35, s15, s3
	s_add_nc_u64 s[4:5], s[4:5], s[6:7]
	s_sub_co_i32 s3, s2, 64
	s_lshl_b32 s30, s35, 6
	s_add_nc_u64 s[6:7], s[12:13], s[38:39]
	s_cmp_ge_i32 s30, s3
	s_add_nc_u64 s[18:19], s[6:7], s[10:11]
	s_cbranch_scc1 .LBB42_27
; %bb.7:
	v_dual_mov_b32 v81, 0 :: v_dual_lshlrev_b32 v7, 2, v78
	s_ashr_i32 s15, s14, 31
	s_lshl_b32 s6, s14, 4
	s_cmp_lg_u64 s[36:37], 0
	s_delay_alu instid0(VALU_DEP_1) | instskip(SKIP_2) | instid1(VALU_DEP_2)
	v_dual_mov_b32 v77, v81 :: v_dual_mov_b32 v73, v81
	v_dual_mov_b32 v71, v81 :: v_dual_ashrrev_i32 v69, 31, v68
	s_cselect_b32 s10, -1, 0
	v_mul_u64_e32 v[0:1], s[8:9], v[76:77]
	s_delay_alu instid0(VALU_DEP_3) | instskip(NEXT) | instid1(VALU_DEP_3)
	v_mul_u64_e32 v[2:3], s[8:9], v[72:73]
	v_mul_u64_e32 v[4:5], s[8:9], v[70:71]
	s_lshl_b32 s7, s28, 3
	v_lshl_add_u32 v6, v79, 1, v106
	v_dual_add_nc_u32 v0, s7, v68 :: v_dual_mov_b32 v8, v81
	v_mul_lo_u32 v73, v74, s24
	v_lshl_add_u32 v107, v148, 2, v157
	s_delay_alu instid0(VALU_DEP_4)
	v_mad_u32_u24 v109, 0x110, v6, v7
	v_mul_lo_u32 v84, s14, v6
	v_add_nc_u32_e32 v2, s7, v0
	v_lshlrev_b64_e32 v[98:99], 2, v[68:69]
	v_dual_mov_b32 v32, 0 :: v_dual_add_nc_u32 v71, 0x4400, v75
	v_dual_mov_b32 v34, 0 :: v_dual_add_nc_u32 v77, 0x8400, v157
	v_dual_mov_b32 v25, 0xfeffffff :: v_dual_lshlrev_b32 v82, 2, v78
	v_mbcnt_lo_u32_b32 v108, -1, 0
	v_dual_mov_b32 v33, 0 :: v_dual_mov_b32 v35, 0
	v_dual_add_nc_u32 v86, s6, v84 :: v_dual_ashrrev_i32 v85, 31, v84
	v_dual_mov_b32 v83, v81 :: v_dual_add_nc_u32 v110, 0x1000, v107
	v_add_nc_u32_e32 v111, 0x2000, v107
	v_dual_mov_b32 v9, v81 :: v_dual_add_nc_u32 v112, 0x3000, v107
	v_dual_mov_b32 v36, 0 :: v_dual_add_nc_u32 v113, 0x1100, v109
	;; [unrolled: 1-line block ×3, first 2 shown]
	v_add_nc_u32_e32 v4, v76, v1
	v_dual_add_nc_u32 v6, v72, v3 :: v_dual_add_nc_u32 v5, v70, v5
	v_dual_ashrrev_i32 v1, 31, v0 :: v_dual_ashrrev_i32 v3, 31, v2
	s_delay_alu instid0(VALU_DEP_2) | instskip(NEXT) | instid1(VALU_DEP_3)
	v_dual_lshrrev_b32 v7, s25, v4 :: v_dual_lshrrev_b32 v6, s25, v6
	v_dual_lshrrev_b32 v5, s25, v5 :: v_dual_add_nc_u32 v4, s7, v2
	v_add_nc_u32_e32 v90, s6, v86
	s_delay_alu instid0(VALU_DEP_3) | instskip(NEXT) | instid1(VALU_DEP_4)
	v_mul_lo_u32 v7, v7, s26
	v_mul_lo_u32 v6, v6, s26
	s_delay_alu instid0(VALU_DEP_4)
	v_mul_lo_u32 v10, v5, s26
	v_ashrrev_i32_e32 v5, 31, v4
	v_lshlrev_b64_e32 v[88:89], 2, v[0:1]
	v_lshlrev_b64_e32 v[92:93], 2, v[2:3]
	v_ashrrev_i32_e32 v87, 31, v86
	v_dual_add_nc_u32 v96, s6, v90 :: v_dual_ashrrev_i32 v91, 31, v90
	v_lshlrev_b64_e32 v[94:95], 2, v[4:5]
	v_dual_mov_b32 v37, 0 :: v_dual_sub_nc_u32 v0, v76, v7
	s_delay_alu instid0(VALU_DEP_3) | instskip(SKIP_2) | instid1(VALU_DEP_4)
	v_dual_sub_nc_u32 v1, v72, v6 :: v_dual_ashrrev_i32 v97, 31, v96
	v_sub_nc_u32_e32 v2, v70, v10
	v_dual_mov_b32 v38, 0 :: v_dual_add_nc_u32 v115, 0x3300, v109
	v_mul_lo_u32 v116, v0, s24
	s_delay_alu instid0(VALU_DEP_4) | instskip(NEXT) | instid1(VALU_DEP_4)
	v_mul_lo_u32 v117, v1, s24
	v_mul_lo_u32 v118, v2, s24
	v_dual_mov_b32 v10, v81 :: v_dual_mov_b32 v44, 0
	v_dual_mov_b32 v39, 0 :: v_dual_mov_b32 v40, 0
	;; [unrolled: 1-line block ×6, first 2 shown]
	v_mov_b32_e32 v24, 0xfeffffff
	s_add_nc_u64 s[6:7], s[0:1], 0xd0
	s_ashr_i32 s29, s28, 31
.LBB42_8:                               ; =>This Inner Loop Header: Depth=1
	s_ashr_i32 s31, s30, 31
	s_and_not1_b32 vcc_lo, exec_lo, s10
	s_mul_u64 s[12:13], s[30:31], s[14:15]
	v_mov_b32_e32 v59, 0
	s_lshl_b64 s[12:13], s[12:13], 2
	v_mov_b32_e32 v60, 0
	s_add_nc_u64 s[12:13], s[4:5], s[12:13]
	s_delay_alu instid0(SALU_CYCLE_1) | instskip(SKIP_3) | instid1(VALU_DEP_4)
	v_lshl_add_u64 v[0:1], v[84:85], 2, s[12:13]
	v_lshl_add_u64 v[2:3], v[86:87], 2, s[12:13]
	;; [unrolled: 1-line block ×4, first 2 shown]
	v_add_nc_u64_e32 v[0:1], v[0:1], v[82:83]
	s_delay_alu instid0(VALU_DEP_4) | instskip(NEXT) | instid1(VALU_DEP_4)
	v_add_nc_u64_e32 v[2:3], v[2:3], v[82:83]
	v_add_nc_u64_e32 v[4:5], v[4:5], v[82:83]
	s_delay_alu instid0(VALU_DEP_4)
	v_add_nc_u64_e32 v[6:7], v[6:7], v[82:83]
	s_clause 0x3
	global_load_b128 v[12:15], v[0:1], off
	global_load_b128 v[16:19], v[2:3], off
	;; [unrolled: 1-line block ×4, first 2 shown]
	s_wait_loadcnt 0x3
	ds_store_b128 v109, v[12:15]
	s_wait_loadcnt 0x2
	ds_store_b128 v113, v[16:19]
	;; [unrolled: 2-line block ×4, first 2 shown]
	s_wait_dscnt 0x0
	s_barrier_signal -1
	s_barrier_wait -1
	ds_load_b128 v[20:23], v105
	ds_load_b128 v[28:31], v71
	ds_load_b128 v[48:51], v71 offset:512
	ds_load_b128 v[52:55], v71 offset:1024
	v_dual_mov_b32 v12, 0 :: v_dual_mov_b32 v17, 0
	ds_load_b128 v[62:65], v71 offset:1536
	ds_load_b128 v[100:103], v105 offset:8704
	v_dual_mov_b32 v16, 0 :: v_dual_mov_b32 v13, 0
	v_dual_mov_b32 v19, 0 :: v_dual_mov_b32 v18, 0
	s_wait_dscnt 0x4
	;;#ASMSTART
	v_dot2_f32_f16 v12, v20, v28, v12
	;;#ASMEND
	;;#ASMSTART
	v_dot2_f32_f16 v12, v21, v29, v12
	;;#ASMEND
	;;#ASMSTART
	v_dot2_f32_f16 v12, v22, v30, v12
	;;#ASMEND
	;;#ASMSTART
	v_dot2_f32_f16 v12, v23, v31, v12
	;;#ASMEND
	s_wait_dscnt 0x3
	;;#ASMSTART
	v_dot2_f32_f16 v17, v20, v48, v17
	;;#ASMEND
	;;#ASMSTART
	v_dot2_f32_f16 v17, v21, v49, v17
	;;#ASMEND
	;;#ASMSTART
	v_dot2_f32_f16 v17, v22, v50, v17
	;;#ASMEND
	;;#ASMSTART
	v_dot2_f32_f16 v17, v23, v51, v17
	;;#ASMEND
	;; [unrolled: 13-line block ×5, first 2 shown]
	;;#ASMSTART
	v_dot2_f32_f16 v19, v100, v48, v19
	;;#ASMEND
	;;#ASMSTART
	v_dot2_f32_f16 v19, v101, v49, v19
	;;#ASMEND
	;; [unrolled: 3-line block ×12, first 2 shown]
	ds_load_b128 v[20:23], v105 offset:16
	ds_load_b128 v[28:31], v71 offset:16
	;; [unrolled: 1-line block ×6, first 2 shown]
	s_wait_dscnt 0x4
	;;#ASMSTART
	v_dot2_f32_f16 v12, v20, v28, v12
	;;#ASMEND
	;;#ASMSTART
	v_dot2_f32_f16 v12, v21, v29, v12
	;;#ASMEND
	;;#ASMSTART
	v_dot2_f32_f16 v12, v22, v30, v12
	;;#ASMEND
	;;#ASMSTART
	v_dot2_f32_f16 v12, v23, v31, v12
	;;#ASMEND
	s_wait_dscnt 0x3
	;;#ASMSTART
	v_dot2_f32_f16 v17, v20, v48, v17
	;;#ASMEND
	;;#ASMSTART
	v_dot2_f32_f16 v17, v21, v49, v17
	;;#ASMEND
	;;#ASMSTART
	v_dot2_f32_f16 v17, v22, v50, v17
	;;#ASMEND
	;;#ASMSTART
	v_dot2_f32_f16 v17, v23, v51, v17
	;;#ASMEND
	;; [unrolled: 13-line block ×5, first 2 shown]
	;;#ASMSTART
	v_dot2_f32_f16 v19, v100, v48, v19
	;;#ASMEND
	;;#ASMSTART
	v_dot2_f32_f16 v19, v101, v49, v19
	;;#ASMEND
	;; [unrolled: 3-line block ×12, first 2 shown]
	ds_load_b128 v[20:23], v105 offset:32
	ds_load_b128 v[28:31], v71 offset:32
	;; [unrolled: 1-line block ×6, first 2 shown]
	s_wait_dscnt 0x4
	;;#ASMSTART
	v_dot2_f32_f16 v12, v20, v28, v12
	;;#ASMEND
	;;#ASMSTART
	v_dot2_f32_f16 v12, v21, v29, v12
	;;#ASMEND
	;;#ASMSTART
	v_dot2_f32_f16 v12, v22, v30, v12
	;;#ASMEND
	;;#ASMSTART
	v_dot2_f32_f16 v12, v23, v31, v12
	;;#ASMEND
	s_wait_dscnt 0x3
	;;#ASMSTART
	v_dot2_f32_f16 v17, v20, v48, v17
	;;#ASMEND
	;;#ASMSTART
	v_dot2_f32_f16 v17, v21, v49, v17
	;;#ASMEND
	;;#ASMSTART
	v_dot2_f32_f16 v17, v22, v50, v17
	;;#ASMEND
	;;#ASMSTART
	v_dot2_f32_f16 v17, v23, v51, v17
	;;#ASMEND
	s_wait_dscnt 0x2
	;;#ASMSTART
	v_dot2_f32_f16 v16, v20, v52, v16
	;;#ASMEND
	;;#ASMSTART
	v_dot2_f32_f16 v16, v21, v53, v16
	;;#ASMEND
	;;#ASMSTART
	v_dot2_f32_f16 v16, v22, v54, v16
	;;#ASMEND
	;;#ASMSTART
	v_dot2_f32_f16 v16, v23, v55, v16
	;;#ASMEND
	s_wait_dscnt 0x1
	;;#ASMSTART
	v_dot2_f32_f16 v59, v20, v62, v59
	;;#ASMEND
	;;#ASMSTART
	v_dot2_f32_f16 v59, v21, v63, v59
	;;#ASMEND
	;;#ASMSTART
	v_dot2_f32_f16 v59, v22, v64, v59
	;;#ASMEND
	;;#ASMSTART
	v_dot2_f32_f16 v59, v23, v65, v59
	;;#ASMEND
	s_wait_dscnt 0x0
	;;#ASMSTART
	v_dot2_f32_f16 v13, v100, v28, v13
	;;#ASMEND
	;;#ASMSTART
	v_dot2_f32_f16 v13, v101, v29, v13
	;;#ASMEND
	;;#ASMSTART
	v_dot2_f32_f16 v13, v102, v30, v13
	;;#ASMEND
	;;#ASMSTART
	v_dot2_f32_f16 v13, v103, v31, v13
	;;#ASMEND
	;;#ASMSTART
	v_dot2_f32_f16 v19, v100, v48, v19
	;;#ASMEND
	;;#ASMSTART
	v_dot2_f32_f16 v19, v101, v49, v19
	;;#ASMEND
	;; [unrolled: 3-line block ×12, first 2 shown]
	ds_load_b128 v[20:23], v105 offset:48
	ds_load_b128 v[28:31], v71 offset:48
	;; [unrolled: 1-line block ×6, first 2 shown]
	s_wait_dscnt 0x4
	;;#ASMSTART
	v_dot2_f32_f16 v12, v20, v28, v12
	;;#ASMEND
	;;#ASMSTART
	v_dot2_f32_f16 v12, v21, v29, v12
	;;#ASMEND
	;;#ASMSTART
	v_dot2_f32_f16 v12, v22, v30, v12
	;;#ASMEND
	;;#ASMSTART
	v_dot2_f32_f16 v12, v23, v31, v12
	;;#ASMEND
	s_wait_dscnt 0x3
	;;#ASMSTART
	v_dot2_f32_f16 v17, v20, v48, v17
	;;#ASMEND
	;;#ASMSTART
	v_dot2_f32_f16 v17, v21, v49, v17
	;;#ASMEND
	;;#ASMSTART
	v_dot2_f32_f16 v17, v22, v50, v17
	;;#ASMEND
	;;#ASMSTART
	v_dot2_f32_f16 v17, v23, v51, v17
	;;#ASMEND
	;; [unrolled: 13-line block ×5, first 2 shown]
	;;#ASMSTART
	v_dot2_f32_f16 v19, v100, v48, v19
	;;#ASMEND
	;;#ASMSTART
	v_dot2_f32_f16 v19, v101, v49, v19
	;;#ASMEND
	;; [unrolled: 3-line block ×12, first 2 shown]
	ds_load_b128 v[20:23], v105 offset:64
	ds_load_b128 v[28:31], v71 offset:64
	;; [unrolled: 1-line block ×6, first 2 shown]
	s_wait_dscnt 0x4
	;;#ASMSTART
	v_dot2_f32_f16 v12, v20, v28, v12
	;;#ASMEND
	;;#ASMSTART
	v_dot2_f32_f16 v12, v21, v29, v12
	;;#ASMEND
	;;#ASMSTART
	v_dot2_f32_f16 v12, v22, v30, v12
	;;#ASMEND
	;;#ASMSTART
	v_dot2_f32_f16 v12, v23, v31, v12
	;;#ASMEND
	s_wait_dscnt 0x3
	;;#ASMSTART
	v_dot2_f32_f16 v17, v20, v48, v17
	;;#ASMEND
	;;#ASMSTART
	v_dot2_f32_f16 v17, v21, v49, v17
	;;#ASMEND
	;;#ASMSTART
	v_dot2_f32_f16 v17, v22, v50, v17
	;;#ASMEND
	;;#ASMSTART
	v_dot2_f32_f16 v17, v23, v51, v17
	;;#ASMEND
	;; [unrolled: 13-line block ×5, first 2 shown]
	;;#ASMSTART
	v_dot2_f32_f16 v19, v100, v48, v19
	;;#ASMEND
	;;#ASMSTART
	v_dot2_f32_f16 v19, v101, v49, v19
	;;#ASMEND
	;; [unrolled: 3-line block ×12, first 2 shown]
	ds_load_b128 v[20:23], v105 offset:80
	ds_load_b128 v[28:31], v71 offset:80
	;; [unrolled: 1-line block ×6, first 2 shown]
	s_wait_dscnt 0x4
	;;#ASMSTART
	v_dot2_f32_f16 v12, v20, v28, v12
	;;#ASMEND
	;;#ASMSTART
	v_dot2_f32_f16 v12, v21, v29, v12
	;;#ASMEND
	;;#ASMSTART
	v_dot2_f32_f16 v12, v22, v30, v12
	;;#ASMEND
	;;#ASMSTART
	v_dot2_f32_f16 v12, v23, v31, v12
	;;#ASMEND
	s_wait_dscnt 0x3
	;;#ASMSTART
	v_dot2_f32_f16 v17, v20, v48, v17
	;;#ASMEND
	;;#ASMSTART
	v_dot2_f32_f16 v17, v21, v49, v17
	;;#ASMEND
	;;#ASMSTART
	v_dot2_f32_f16 v17, v22, v50, v17
	;;#ASMEND
	;;#ASMSTART
	v_dot2_f32_f16 v17, v23, v51, v17
	;;#ASMEND
	;; [unrolled: 13-line block ×5, first 2 shown]
	;;#ASMSTART
	v_dot2_f32_f16 v19, v100, v48, v19
	;;#ASMEND
	;;#ASMSTART
	v_dot2_f32_f16 v19, v101, v49, v19
	;;#ASMEND
	;; [unrolled: 3-line block ×12, first 2 shown]
	ds_load_b128 v[20:23], v105 offset:96
	ds_load_b128 v[28:31], v71 offset:96
	;; [unrolled: 1-line block ×6, first 2 shown]
	s_wait_dscnt 0x4
	;;#ASMSTART
	v_dot2_f32_f16 v12, v20, v28, v12
	;;#ASMEND
	;;#ASMSTART
	v_dot2_f32_f16 v12, v21, v29, v12
	;;#ASMEND
	;;#ASMSTART
	v_dot2_f32_f16 v12, v22, v30, v12
	;;#ASMEND
	;;#ASMSTART
	v_dot2_f32_f16 v12, v23, v31, v12
	;;#ASMEND
	s_wait_dscnt 0x3
	;;#ASMSTART
	v_dot2_f32_f16 v17, v20, v48, v17
	;;#ASMEND
	;;#ASMSTART
	v_dot2_f32_f16 v17, v21, v49, v17
	;;#ASMEND
	;;#ASMSTART
	v_dot2_f32_f16 v17, v22, v50, v17
	;;#ASMEND
	;;#ASMSTART
	v_dot2_f32_f16 v17, v23, v51, v17
	;;#ASMEND
	;; [unrolled: 13-line block ×5, first 2 shown]
	;;#ASMSTART
	v_dot2_f32_f16 v19, v100, v48, v19
	;;#ASMEND
	;;#ASMSTART
	v_dot2_f32_f16 v19, v101, v49, v19
	;;#ASMEND
	;; [unrolled: 3-line block ×12, first 2 shown]
	ds_load_b128 v[20:23], v105 offset:112
	ds_load_b128 v[28:31], v71 offset:112
	;; [unrolled: 1-line block ×6, first 2 shown]
	s_wait_dscnt 0x4
	;;#ASMSTART
	v_dot2_f32_f16 v12, v20, v28, v12
	;;#ASMEND
	;;#ASMSTART
	v_dot2_f32_f16 v12, v21, v29, v12
	;;#ASMEND
	;;#ASMSTART
	v_dot2_f32_f16 v12, v22, v30, v12
	;;#ASMEND
	;;#ASMSTART
	v_dot2_f32_f16 v12, v23, v31, v12
	;;#ASMEND
	s_wait_dscnt 0x3
	;;#ASMSTART
	v_dot2_f32_f16 v17, v20, v48, v17
	;;#ASMEND
	;;#ASMSTART
	v_dot2_f32_f16 v17, v21, v49, v17
	;;#ASMEND
	;;#ASMSTART
	v_dot2_f32_f16 v17, v22, v50, v17
	;;#ASMEND
	;;#ASMSTART
	v_dot2_f32_f16 v17, v23, v51, v17
	;;#ASMEND
	s_wait_dscnt 0x2
	;;#ASMSTART
	v_dot2_f32_f16 v16, v20, v52, v16
	;;#ASMEND
	;;#ASMSTART
	v_dot2_f32_f16 v16, v21, v53, v16
	;;#ASMEND
	;;#ASMSTART
	v_dot2_f32_f16 v16, v22, v54, v16
	;;#ASMEND
	;;#ASMSTART
	v_dot2_f32_f16 v16, v23, v55, v16
	;;#ASMEND
	s_wait_dscnt 0x1
	;;#ASMSTART
	v_dot2_f32_f16 v59, v20, v62, v59
	;;#ASMEND
	;;#ASMSTART
	v_dot2_f32_f16 v59, v21, v63, v59
	;;#ASMEND
	;;#ASMSTART
	v_dot2_f32_f16 v59, v22, v64, v59
	;;#ASMEND
	;;#ASMSTART
	v_dot2_f32_f16 v59, v23, v65, v59
	;;#ASMEND
	s_wait_dscnt 0x0
	;;#ASMSTART
	v_dot2_f32_f16 v13, v100, v28, v13
	;;#ASMEND
	;;#ASMSTART
	v_dot2_f32_f16 v13, v101, v29, v13
	;;#ASMEND
	;;#ASMSTART
	v_dot2_f32_f16 v13, v102, v30, v13
	;;#ASMEND
	;;#ASMSTART
	v_dot2_f32_f16 v13, v103, v31, v13
	;;#ASMEND
	;;#ASMSTART
	v_dot2_f32_f16 v19, v100, v48, v19
	;;#ASMEND
	;;#ASMSTART
	v_dot2_f32_f16 v19, v101, v49, v19
	;;#ASMEND
	;; [unrolled: 3-line block ×12, first 2 shown]
	ds_load_b128 v[20:23], v105 offset:128
	ds_load_b128 v[28:31], v71 offset:128
	;; [unrolled: 1-line block ×6, first 2 shown]
	s_wait_dscnt 0x4
	;;#ASMSTART
	v_dot2_f32_f16 v12, v20, v28, v12
	;;#ASMEND
	;;#ASMSTART
	v_dot2_f32_f16 v12, v21, v29, v12
	;;#ASMEND
	;;#ASMSTART
	v_dot2_f32_f16 v12, v22, v30, v12
	;;#ASMEND
	;;#ASMSTART
	v_dot2_f32_f16 v12, v23, v31, v12
	;;#ASMEND
	s_wait_dscnt 0x3
	;;#ASMSTART
	v_dot2_f32_f16 v17, v20, v48, v17
	;;#ASMEND
	;;#ASMSTART
	v_dot2_f32_f16 v17, v21, v49, v17
	;;#ASMEND
	;;#ASMSTART
	v_dot2_f32_f16 v17, v22, v50, v17
	;;#ASMEND
	;;#ASMSTART
	v_dot2_f32_f16 v17, v23, v51, v17
	;;#ASMEND
	;; [unrolled: 13-line block ×5, first 2 shown]
	;;#ASMSTART
	v_dot2_f32_f16 v19, v100, v48, v19
	;;#ASMEND
	;;#ASMSTART
	v_dot2_f32_f16 v19, v101, v49, v19
	;;#ASMEND
	;; [unrolled: 3-line block ×12, first 2 shown]
	ds_load_b128 v[20:23], v105 offset:144
	ds_load_b128 v[28:31], v71 offset:144
	;; [unrolled: 1-line block ×6, first 2 shown]
	s_wait_dscnt 0x4
	;;#ASMSTART
	v_dot2_f32_f16 v12, v20, v28, v12
	;;#ASMEND
	;;#ASMSTART
	v_dot2_f32_f16 v12, v21, v29, v12
	;;#ASMEND
	;;#ASMSTART
	v_dot2_f32_f16 v12, v22, v30, v12
	;;#ASMEND
	;;#ASMSTART
	v_dot2_f32_f16 v12, v23, v31, v12
	;;#ASMEND
	s_wait_dscnt 0x3
	;;#ASMSTART
	v_dot2_f32_f16 v17, v20, v48, v17
	;;#ASMEND
	;;#ASMSTART
	v_dot2_f32_f16 v17, v21, v49, v17
	;;#ASMEND
	;;#ASMSTART
	v_dot2_f32_f16 v17, v22, v50, v17
	;;#ASMEND
	;;#ASMSTART
	v_dot2_f32_f16 v17, v23, v51, v17
	;;#ASMEND
	;; [unrolled: 13-line block ×5, first 2 shown]
	;;#ASMSTART
	v_dot2_f32_f16 v19, v100, v48, v19
	;;#ASMEND
	;;#ASMSTART
	v_dot2_f32_f16 v19, v101, v49, v19
	;;#ASMEND
	;; [unrolled: 3-line block ×12, first 2 shown]
	ds_load_b128 v[20:23], v105 offset:160
	ds_load_b128 v[28:31], v71 offset:160
	;; [unrolled: 1-line block ×6, first 2 shown]
	s_wait_dscnt 0x4
	;;#ASMSTART
	v_dot2_f32_f16 v12, v20, v28, v12
	;;#ASMEND
	;;#ASMSTART
	v_dot2_f32_f16 v12, v21, v29, v12
	;;#ASMEND
	;;#ASMSTART
	v_dot2_f32_f16 v12, v22, v30, v12
	;;#ASMEND
	;;#ASMSTART
	v_dot2_f32_f16 v12, v23, v31, v12
	;;#ASMEND
	s_wait_dscnt 0x3
	;;#ASMSTART
	v_dot2_f32_f16 v17, v20, v48, v17
	;;#ASMEND
	;;#ASMSTART
	v_dot2_f32_f16 v17, v21, v49, v17
	;;#ASMEND
	;;#ASMSTART
	v_dot2_f32_f16 v17, v22, v50, v17
	;;#ASMEND
	;;#ASMSTART
	v_dot2_f32_f16 v17, v23, v51, v17
	;;#ASMEND
	;; [unrolled: 13-line block ×5, first 2 shown]
	;;#ASMSTART
	v_dot2_f32_f16 v19, v100, v48, v19
	;;#ASMEND
	;;#ASMSTART
	v_dot2_f32_f16 v19, v101, v49, v19
	;;#ASMEND
	;; [unrolled: 3-line block ×12, first 2 shown]
	ds_load_b128 v[20:23], v105 offset:176
	ds_load_b128 v[28:31], v71 offset:176
	;; [unrolled: 1-line block ×6, first 2 shown]
	s_wait_dscnt 0x4
	;;#ASMSTART
	v_dot2_f32_f16 v12, v20, v28, v12
	;;#ASMEND
	;;#ASMSTART
	v_dot2_f32_f16 v12, v21, v29, v12
	;;#ASMEND
	;;#ASMSTART
	v_dot2_f32_f16 v12, v22, v30, v12
	;;#ASMEND
	;;#ASMSTART
	v_dot2_f32_f16 v12, v23, v31, v12
	;;#ASMEND
	s_wait_dscnt 0x3
	;;#ASMSTART
	v_dot2_f32_f16 v17, v20, v48, v17
	;;#ASMEND
	;;#ASMSTART
	v_dot2_f32_f16 v17, v21, v49, v17
	;;#ASMEND
	;;#ASMSTART
	v_dot2_f32_f16 v17, v22, v50, v17
	;;#ASMEND
	;;#ASMSTART
	v_dot2_f32_f16 v17, v23, v51, v17
	;;#ASMEND
	;; [unrolled: 13-line block ×5, first 2 shown]
	;;#ASMSTART
	v_dot2_f32_f16 v19, v100, v48, v19
	;;#ASMEND
	;;#ASMSTART
	v_dot2_f32_f16 v19, v101, v49, v19
	;;#ASMEND
	;; [unrolled: 3-line block ×12, first 2 shown]
	ds_load_b128 v[20:23], v105 offset:192
	ds_load_b128 v[28:31], v71 offset:192
	;; [unrolled: 1-line block ×6, first 2 shown]
	s_wait_dscnt 0x4
	;;#ASMSTART
	v_dot2_f32_f16 v12, v20, v28, v12
	;;#ASMEND
	;;#ASMSTART
	v_dot2_f32_f16 v12, v21, v29, v12
	;;#ASMEND
	;;#ASMSTART
	v_dot2_f32_f16 v12, v22, v30, v12
	;;#ASMEND
	;;#ASMSTART
	v_dot2_f32_f16 v12, v23, v31, v12
	;;#ASMEND
	s_wait_dscnt 0x3
	;;#ASMSTART
	v_dot2_f32_f16 v17, v20, v48, v17
	;;#ASMEND
	;;#ASMSTART
	v_dot2_f32_f16 v17, v21, v49, v17
	;;#ASMEND
	;;#ASMSTART
	v_dot2_f32_f16 v17, v22, v50, v17
	;;#ASMEND
	;;#ASMSTART
	v_dot2_f32_f16 v17, v23, v51, v17
	;;#ASMEND
	;; [unrolled: 13-line block ×5, first 2 shown]
	;;#ASMSTART
	v_dot2_f32_f16 v19, v100, v48, v19
	;;#ASMEND
	;;#ASMSTART
	v_dot2_f32_f16 v19, v101, v49, v19
	;;#ASMEND
	;; [unrolled: 3-line block ×12, first 2 shown]
	ds_load_b128 v[20:23], v105 offset:208
	ds_load_b128 v[28:31], v71 offset:208
	;; [unrolled: 1-line block ×6, first 2 shown]
	s_wait_dscnt 0x4
	;;#ASMSTART
	v_dot2_f32_f16 v12, v20, v28, v12
	;;#ASMEND
	;;#ASMSTART
	v_dot2_f32_f16 v12, v21, v29, v12
	;;#ASMEND
	;;#ASMSTART
	v_dot2_f32_f16 v12, v22, v30, v12
	;;#ASMEND
	;;#ASMSTART
	v_dot2_f32_f16 v12, v23, v31, v12
	;;#ASMEND
	s_wait_dscnt 0x3
	;;#ASMSTART
	v_dot2_f32_f16 v17, v20, v48, v17
	;;#ASMEND
	;;#ASMSTART
	v_dot2_f32_f16 v17, v21, v49, v17
	;;#ASMEND
	;;#ASMSTART
	v_dot2_f32_f16 v17, v22, v50, v17
	;;#ASMEND
	;;#ASMSTART
	v_dot2_f32_f16 v17, v23, v51, v17
	;;#ASMEND
	;; [unrolled: 13-line block ×5, first 2 shown]
	;;#ASMSTART
	v_dot2_f32_f16 v19, v100, v48, v19
	;;#ASMEND
	;;#ASMSTART
	v_dot2_f32_f16 v19, v101, v49, v19
	;;#ASMEND
	;; [unrolled: 3-line block ×12, first 2 shown]
	ds_load_b128 v[20:23], v105 offset:224
	ds_load_b128 v[28:31], v71 offset:224
	;; [unrolled: 1-line block ×6, first 2 shown]
	s_wait_dscnt 0x4
	;;#ASMSTART
	v_dot2_f32_f16 v12, v20, v28, v12
	;;#ASMEND
	;;#ASMSTART
	v_dot2_f32_f16 v12, v21, v29, v12
	;;#ASMEND
	;;#ASMSTART
	v_dot2_f32_f16 v12, v22, v30, v12
	;;#ASMEND
	;;#ASMSTART
	v_dot2_f32_f16 v12, v23, v31, v12
	;;#ASMEND
	s_wait_dscnt 0x3
	;;#ASMSTART
	v_dot2_f32_f16 v17, v20, v48, v17
	;;#ASMEND
	;;#ASMSTART
	v_dot2_f32_f16 v17, v21, v49, v17
	;;#ASMEND
	;;#ASMSTART
	v_dot2_f32_f16 v17, v22, v50, v17
	;;#ASMEND
	;;#ASMSTART
	v_dot2_f32_f16 v17, v23, v51, v17
	;;#ASMEND
	;; [unrolled: 13-line block ×5, first 2 shown]
	;;#ASMSTART
	v_dot2_f32_f16 v19, v100, v48, v19
	;;#ASMEND
	;;#ASMSTART
	v_dot2_f32_f16 v19, v101, v49, v19
	;;#ASMEND
	;; [unrolled: 3-line block ×12, first 2 shown]
	ds_load_b128 v[20:23], v105 offset:240
	ds_load_b128 v[28:31], v71 offset:240
	;; [unrolled: 1-line block ×6, first 2 shown]
	s_wait_dscnt 0x4
	;;#ASMSTART
	v_dot2_f32_f16 v12, v20, v28, v12
	;;#ASMEND
	;;#ASMSTART
	v_dot2_f32_f16 v12, v21, v29, v12
	;;#ASMEND
	;;#ASMSTART
	v_dot2_f32_f16 v12, v22, v30, v12
	;;#ASMEND
	;;#ASMSTART
	v_dot2_f32_f16 v12, v23, v31, v12
	;;#ASMEND
	s_wait_dscnt 0x3
	;;#ASMSTART
	v_dot2_f32_f16 v17, v20, v48, v17
	;;#ASMEND
	;;#ASMSTART
	v_dot2_f32_f16 v17, v21, v49, v17
	;;#ASMEND
	;;#ASMSTART
	v_dot2_f32_f16 v17, v22, v50, v17
	;;#ASMEND
	;;#ASMSTART
	v_dot2_f32_f16 v17, v23, v51, v17
	;;#ASMEND
	;; [unrolled: 13-line block ×5, first 2 shown]
	;;#ASMSTART
	v_dot2_f32_f16 v19, v100, v48, v19
	;;#ASMEND
	;;#ASMSTART
	v_dot2_f32_f16 v19, v101, v49, v19
	;;#ASMEND
	;; [unrolled: 3-line block ×12, first 2 shown]
	s_barrier_signal -1
	s_barrier_wait -1
	s_clause 0x3
	global_load_b128 v[20:23], v[0:1], off offset:256
	global_load_b128 v[28:31], v[2:3], off offset:256
	;; [unrolled: 1-line block ×4, first 2 shown]
	s_wait_loadcnt 0x3
	ds_store_b128 v109, v[20:23]
	s_wait_loadcnt 0x2
	ds_store_b128 v113, v[28:31]
	;; [unrolled: 2-line block ×4, first 2 shown]
	s_wait_dscnt 0x0
	s_barrier_signal -1
	s_barrier_wait -1
	ds_load_b128 v[0:3], v105
	ds_load_b128 v[4:7], v71 offset:256
	ds_load_b128 v[20:23], v71 offset:768
	;; [unrolled: 1-line block ×5, first 2 shown]
	s_wait_dscnt 0x4
	;;#ASMSTART
	v_dot2_f32_f16 v12, v0, v4, v12
	;;#ASMEND
	;;#ASMSTART
	v_dot2_f32_f16 v12, v1, v5, v12
	;;#ASMEND
	;;#ASMSTART
	v_dot2_f32_f16 v12, v2, v6, v12
	;;#ASMEND
	;;#ASMSTART
	v_dot2_f32_f16 v12, v3, v7, v12
	;;#ASMEND
	s_wait_dscnt 0x3
	;;#ASMSTART
	v_dot2_f32_f16 v17, v0, v20, v17
	;;#ASMEND
	;;#ASMSTART
	v_dot2_f32_f16 v17, v1, v21, v17
	;;#ASMEND
	;;#ASMSTART
	v_dot2_f32_f16 v17, v2, v22, v17
	;;#ASMEND
	;;#ASMSTART
	v_dot2_f32_f16 v17, v3, v23, v17
	;;#ASMEND
	;; [unrolled: 13-line block ×5, first 2 shown]
	;;#ASMSTART
	v_dot2_f32_f16 v19, v52, v20, v19
	;;#ASMEND
	;;#ASMSTART
	v_dot2_f32_f16 v19, v53, v21, v19
	;;#ASMEND
	;; [unrolled: 3-line block ×12, first 2 shown]
	ds_load_b128 v[0:3], v105 offset:16
	ds_load_b128 v[4:7], v71 offset:272
	;; [unrolled: 1-line block ×6, first 2 shown]
	s_wait_dscnt 0x4
	;;#ASMSTART
	v_dot2_f32_f16 v12, v0, v4, v12
	;;#ASMEND
	;;#ASMSTART
	v_dot2_f32_f16 v12, v1, v5, v12
	;;#ASMEND
	;;#ASMSTART
	v_dot2_f32_f16 v12, v2, v6, v12
	;;#ASMEND
	;;#ASMSTART
	v_dot2_f32_f16 v12, v3, v7, v12
	;;#ASMEND
	s_wait_dscnt 0x3
	;;#ASMSTART
	v_dot2_f32_f16 v17, v0, v20, v17
	;;#ASMEND
	;;#ASMSTART
	v_dot2_f32_f16 v17, v1, v21, v17
	;;#ASMEND
	;;#ASMSTART
	v_dot2_f32_f16 v17, v2, v22, v17
	;;#ASMEND
	;;#ASMSTART
	v_dot2_f32_f16 v17, v3, v23, v17
	;;#ASMEND
	;; [unrolled: 13-line block ×5, first 2 shown]
	;;#ASMSTART
	v_dot2_f32_f16 v19, v52, v20, v19
	;;#ASMEND
	;;#ASMSTART
	v_dot2_f32_f16 v19, v53, v21, v19
	;;#ASMEND
	;; [unrolled: 3-line block ×12, first 2 shown]
	ds_load_b128 v[0:3], v105 offset:32
	ds_load_b128 v[4:7], v71 offset:288
	;; [unrolled: 1-line block ×6, first 2 shown]
	s_wait_dscnt 0x4
	;;#ASMSTART
	v_dot2_f32_f16 v12, v0, v4, v12
	;;#ASMEND
	;;#ASMSTART
	v_dot2_f32_f16 v12, v1, v5, v12
	;;#ASMEND
	;;#ASMSTART
	v_dot2_f32_f16 v12, v2, v6, v12
	;;#ASMEND
	;;#ASMSTART
	v_dot2_f32_f16 v12, v3, v7, v12
	;;#ASMEND
	s_wait_dscnt 0x3
	;;#ASMSTART
	v_dot2_f32_f16 v17, v0, v20, v17
	;;#ASMEND
	;;#ASMSTART
	v_dot2_f32_f16 v17, v1, v21, v17
	;;#ASMEND
	;;#ASMSTART
	v_dot2_f32_f16 v17, v2, v22, v17
	;;#ASMEND
	;;#ASMSTART
	v_dot2_f32_f16 v17, v3, v23, v17
	;;#ASMEND
	s_wait_dscnt 0x2
	;;#ASMSTART
	v_dot2_f32_f16 v16, v0, v28, v16
	;;#ASMEND
	;;#ASMSTART
	v_dot2_f32_f16 v16, v1, v29, v16
	;;#ASMEND
	;;#ASMSTART
	v_dot2_f32_f16 v16, v2, v30, v16
	;;#ASMEND
	;;#ASMSTART
	v_dot2_f32_f16 v16, v3, v31, v16
	;;#ASMEND
	s_wait_dscnt 0x1
	;;#ASMSTART
	v_dot2_f32_f16 v59, v0, v48, v59
	;;#ASMEND
	;;#ASMSTART
	v_dot2_f32_f16 v59, v1, v49, v59
	;;#ASMEND
	;;#ASMSTART
	v_dot2_f32_f16 v59, v2, v50, v59
	;;#ASMEND
	;;#ASMSTART
	v_dot2_f32_f16 v59, v3, v51, v59
	;;#ASMEND
	s_wait_dscnt 0x0
	;;#ASMSTART
	v_dot2_f32_f16 v13, v52, v4, v13
	;;#ASMEND
	;;#ASMSTART
	v_dot2_f32_f16 v13, v53, v5, v13
	;;#ASMEND
	;;#ASMSTART
	v_dot2_f32_f16 v13, v54, v6, v13
	;;#ASMEND
	;;#ASMSTART
	v_dot2_f32_f16 v13, v55, v7, v13
	;;#ASMEND
	;;#ASMSTART
	v_dot2_f32_f16 v19, v52, v20, v19
	;;#ASMEND
	;;#ASMSTART
	v_dot2_f32_f16 v19, v53, v21, v19
	;;#ASMEND
	;;#ASMSTART
	v_dot2_f32_f16 v19, v54, v22, v19
	;;#ASMEND
	;;#ASMSTART
	v_dot2_f32_f16 v19, v55, v23, v19
	;;#ASMEND
	;;#ASMSTART
	v_dot2_f32_f16 v18, v52, v28, v18
	;;#ASMEND
	;;#ASMSTART
	v_dot2_f32_f16 v18, v53, v29, v18
	;;#ASMEND
	;;#ASMSTART
	v_dot2_f32_f16 v18, v54, v30, v18
	;;#ASMEND
	;;#ASMSTART
	v_dot2_f32_f16 v18, v55, v31, v18
	;;#ASMEND
	;;#ASMSTART
	v_dot2_f32_f16 v60, v52, v48, v60
	;;#ASMEND
	;;#ASMSTART
	v_dot2_f32_f16 v60, v53, v49, v60
	;;#ASMEND
	;;#ASMSTART
	v_dot2_f32_f16 v60, v54, v50, v60
	;;#ASMEND
	;;#ASMSTART
	v_dot2_f32_f16 v60, v55, v51, v60
	;;#ASMEND
	ds_load_b128 v[0:3], v105 offset:48
	ds_load_b128 v[4:7], v71 offset:304
	;; [unrolled: 1-line block ×6, first 2 shown]
	s_wait_dscnt 0x4
	;;#ASMSTART
	v_dot2_f32_f16 v12, v0, v4, v12
	;;#ASMEND
	;;#ASMSTART
	v_dot2_f32_f16 v12, v1, v5, v12
	;;#ASMEND
	;;#ASMSTART
	v_dot2_f32_f16 v12, v2, v6, v12
	;;#ASMEND
	;;#ASMSTART
	v_dot2_f32_f16 v12, v3, v7, v12
	;;#ASMEND
	s_wait_dscnt 0x3
	;;#ASMSTART
	v_dot2_f32_f16 v17, v0, v20, v17
	;;#ASMEND
	;;#ASMSTART
	v_dot2_f32_f16 v17, v1, v21, v17
	;;#ASMEND
	;;#ASMSTART
	v_dot2_f32_f16 v17, v2, v22, v17
	;;#ASMEND
	;;#ASMSTART
	v_dot2_f32_f16 v17, v3, v23, v17
	;;#ASMEND
	s_wait_dscnt 0x2
	;;#ASMSTART
	v_dot2_f32_f16 v16, v0, v28, v16
	;;#ASMEND
	;;#ASMSTART
	v_dot2_f32_f16 v16, v1, v29, v16
	;;#ASMEND
	;;#ASMSTART
	v_dot2_f32_f16 v16, v2, v30, v16
	;;#ASMEND
	;;#ASMSTART
	v_dot2_f32_f16 v16, v3, v31, v16
	;;#ASMEND
	s_wait_dscnt 0x1
	;;#ASMSTART
	v_dot2_f32_f16 v59, v0, v48, v59
	;;#ASMEND
	;;#ASMSTART
	v_dot2_f32_f16 v59, v1, v49, v59
	;;#ASMEND
	;;#ASMSTART
	v_dot2_f32_f16 v59, v2, v50, v59
	;;#ASMEND
	;;#ASMSTART
	v_dot2_f32_f16 v59, v3, v51, v59
	;;#ASMEND
	s_wait_dscnt 0x0
	;;#ASMSTART
	v_dot2_f32_f16 v13, v52, v4, v13
	;;#ASMEND
	;;#ASMSTART
	v_dot2_f32_f16 v13, v53, v5, v13
	;;#ASMEND
	;;#ASMSTART
	v_dot2_f32_f16 v13, v54, v6, v13
	;;#ASMEND
	;;#ASMSTART
	v_dot2_f32_f16 v13, v55, v7, v13
	;;#ASMEND
	;;#ASMSTART
	v_dot2_f32_f16 v19, v52, v20, v19
	;;#ASMEND
	;;#ASMSTART
	v_dot2_f32_f16 v19, v53, v21, v19
	;;#ASMEND
	;; [unrolled: 3-line block ×12, first 2 shown]
	ds_load_b128 v[0:3], v105 offset:64
	ds_load_b128 v[4:7], v71 offset:320
	;; [unrolled: 1-line block ×6, first 2 shown]
	s_wait_dscnt 0x4
	;;#ASMSTART
	v_dot2_f32_f16 v12, v0, v4, v12
	;;#ASMEND
	;;#ASMSTART
	v_dot2_f32_f16 v12, v1, v5, v12
	;;#ASMEND
	;;#ASMSTART
	v_dot2_f32_f16 v12, v2, v6, v12
	;;#ASMEND
	;;#ASMSTART
	v_dot2_f32_f16 v12, v3, v7, v12
	;;#ASMEND
	s_wait_dscnt 0x3
	;;#ASMSTART
	v_dot2_f32_f16 v17, v0, v20, v17
	;;#ASMEND
	;;#ASMSTART
	v_dot2_f32_f16 v17, v1, v21, v17
	;;#ASMEND
	;;#ASMSTART
	v_dot2_f32_f16 v17, v2, v22, v17
	;;#ASMEND
	;;#ASMSTART
	v_dot2_f32_f16 v17, v3, v23, v17
	;;#ASMEND
	s_wait_dscnt 0x2
	;;#ASMSTART
	v_dot2_f32_f16 v16, v0, v28, v16
	;;#ASMEND
	;;#ASMSTART
	v_dot2_f32_f16 v16, v1, v29, v16
	;;#ASMEND
	;;#ASMSTART
	v_dot2_f32_f16 v16, v2, v30, v16
	;;#ASMEND
	;;#ASMSTART
	v_dot2_f32_f16 v16, v3, v31, v16
	;;#ASMEND
	s_wait_dscnt 0x1
	;;#ASMSTART
	v_dot2_f32_f16 v59, v0, v48, v59
	;;#ASMEND
	;;#ASMSTART
	v_dot2_f32_f16 v59, v1, v49, v59
	;;#ASMEND
	;;#ASMSTART
	v_dot2_f32_f16 v59, v2, v50, v59
	;;#ASMEND
	;;#ASMSTART
	v_dot2_f32_f16 v59, v3, v51, v59
	;;#ASMEND
	s_wait_dscnt 0x0
	;;#ASMSTART
	v_dot2_f32_f16 v13, v52, v4, v13
	;;#ASMEND
	;;#ASMSTART
	v_dot2_f32_f16 v13, v53, v5, v13
	;;#ASMEND
	;;#ASMSTART
	v_dot2_f32_f16 v13, v54, v6, v13
	;;#ASMEND
	;;#ASMSTART
	v_dot2_f32_f16 v13, v55, v7, v13
	;;#ASMEND
	;;#ASMSTART
	v_dot2_f32_f16 v19, v52, v20, v19
	;;#ASMEND
	;;#ASMSTART
	v_dot2_f32_f16 v19, v53, v21, v19
	;;#ASMEND
	;; [unrolled: 3-line block ×12, first 2 shown]
	ds_load_b128 v[0:3], v105 offset:80
	ds_load_b128 v[4:7], v71 offset:336
	;; [unrolled: 1-line block ×6, first 2 shown]
	s_wait_dscnt 0x4
	;;#ASMSTART
	v_dot2_f32_f16 v12, v0, v4, v12
	;;#ASMEND
	;;#ASMSTART
	v_dot2_f32_f16 v12, v1, v5, v12
	;;#ASMEND
	;;#ASMSTART
	v_dot2_f32_f16 v12, v2, v6, v12
	;;#ASMEND
	;;#ASMSTART
	v_dot2_f32_f16 v12, v3, v7, v12
	;;#ASMEND
	s_wait_dscnt 0x3
	;;#ASMSTART
	v_dot2_f32_f16 v17, v0, v20, v17
	;;#ASMEND
	;;#ASMSTART
	v_dot2_f32_f16 v17, v1, v21, v17
	;;#ASMEND
	;;#ASMSTART
	v_dot2_f32_f16 v17, v2, v22, v17
	;;#ASMEND
	;;#ASMSTART
	v_dot2_f32_f16 v17, v3, v23, v17
	;;#ASMEND
	s_wait_dscnt 0x2
	;;#ASMSTART
	v_dot2_f32_f16 v16, v0, v28, v16
	;;#ASMEND
	;;#ASMSTART
	v_dot2_f32_f16 v16, v1, v29, v16
	;;#ASMEND
	;;#ASMSTART
	v_dot2_f32_f16 v16, v2, v30, v16
	;;#ASMEND
	;;#ASMSTART
	v_dot2_f32_f16 v16, v3, v31, v16
	;;#ASMEND
	s_wait_dscnt 0x1
	;;#ASMSTART
	v_dot2_f32_f16 v59, v0, v48, v59
	;;#ASMEND
	;;#ASMSTART
	v_dot2_f32_f16 v59, v1, v49, v59
	;;#ASMEND
	;;#ASMSTART
	v_dot2_f32_f16 v59, v2, v50, v59
	;;#ASMEND
	;;#ASMSTART
	v_dot2_f32_f16 v59, v3, v51, v59
	;;#ASMEND
	s_wait_dscnt 0x0
	;;#ASMSTART
	v_dot2_f32_f16 v13, v52, v4, v13
	;;#ASMEND
	;;#ASMSTART
	v_dot2_f32_f16 v13, v53, v5, v13
	;;#ASMEND
	;;#ASMSTART
	v_dot2_f32_f16 v13, v54, v6, v13
	;;#ASMEND
	;;#ASMSTART
	v_dot2_f32_f16 v13, v55, v7, v13
	;;#ASMEND
	;;#ASMSTART
	v_dot2_f32_f16 v19, v52, v20, v19
	;;#ASMEND
	;;#ASMSTART
	v_dot2_f32_f16 v19, v53, v21, v19
	;;#ASMEND
	;; [unrolled: 3-line block ×12, first 2 shown]
	ds_load_b128 v[0:3], v105 offset:96
	ds_load_b128 v[4:7], v71 offset:352
	;; [unrolled: 1-line block ×6, first 2 shown]
	s_wait_dscnt 0x4
	;;#ASMSTART
	v_dot2_f32_f16 v12, v0, v4, v12
	;;#ASMEND
	;;#ASMSTART
	v_dot2_f32_f16 v12, v1, v5, v12
	;;#ASMEND
	;;#ASMSTART
	v_dot2_f32_f16 v12, v2, v6, v12
	;;#ASMEND
	;;#ASMSTART
	v_dot2_f32_f16 v12, v3, v7, v12
	;;#ASMEND
	s_wait_dscnt 0x3
	;;#ASMSTART
	v_dot2_f32_f16 v17, v0, v20, v17
	;;#ASMEND
	;;#ASMSTART
	v_dot2_f32_f16 v17, v1, v21, v17
	;;#ASMEND
	;;#ASMSTART
	v_dot2_f32_f16 v17, v2, v22, v17
	;;#ASMEND
	;;#ASMSTART
	v_dot2_f32_f16 v17, v3, v23, v17
	;;#ASMEND
	;; [unrolled: 13-line block ×5, first 2 shown]
	;;#ASMSTART
	v_dot2_f32_f16 v19, v52, v20, v19
	;;#ASMEND
	;;#ASMSTART
	v_dot2_f32_f16 v19, v53, v21, v19
	;;#ASMEND
	;; [unrolled: 3-line block ×12, first 2 shown]
	ds_load_b128 v[0:3], v105 offset:112
	ds_load_b128 v[4:7], v71 offset:368
	;; [unrolled: 1-line block ×6, first 2 shown]
	s_wait_dscnt 0x4
	;;#ASMSTART
	v_dot2_f32_f16 v12, v0, v4, v12
	;;#ASMEND
	;;#ASMSTART
	v_dot2_f32_f16 v12, v1, v5, v12
	;;#ASMEND
	;;#ASMSTART
	v_dot2_f32_f16 v12, v2, v6, v12
	;;#ASMEND
	;;#ASMSTART
	v_dot2_f32_f16 v12, v3, v7, v12
	;;#ASMEND
	s_wait_dscnt 0x3
	;;#ASMSTART
	v_dot2_f32_f16 v17, v0, v20, v17
	;;#ASMEND
	;;#ASMSTART
	v_dot2_f32_f16 v17, v1, v21, v17
	;;#ASMEND
	;;#ASMSTART
	v_dot2_f32_f16 v17, v2, v22, v17
	;;#ASMEND
	;;#ASMSTART
	v_dot2_f32_f16 v17, v3, v23, v17
	;;#ASMEND
	;; [unrolled: 13-line block ×5, first 2 shown]
	;;#ASMSTART
	v_dot2_f32_f16 v19, v52, v20, v19
	;;#ASMEND
	;;#ASMSTART
	v_dot2_f32_f16 v19, v53, v21, v19
	;;#ASMEND
	;; [unrolled: 3-line block ×12, first 2 shown]
	ds_load_b128 v[0:3], v105 offset:128
	ds_load_b128 v[4:7], v71 offset:384
	;; [unrolled: 1-line block ×6, first 2 shown]
	s_wait_dscnt 0x4
	;;#ASMSTART
	v_dot2_f32_f16 v12, v0, v4, v12
	;;#ASMEND
	;;#ASMSTART
	v_dot2_f32_f16 v12, v1, v5, v12
	;;#ASMEND
	;;#ASMSTART
	v_dot2_f32_f16 v12, v2, v6, v12
	;;#ASMEND
	;;#ASMSTART
	v_dot2_f32_f16 v12, v3, v7, v12
	;;#ASMEND
	s_wait_dscnt 0x3
	;;#ASMSTART
	v_dot2_f32_f16 v17, v0, v20, v17
	;;#ASMEND
	;;#ASMSTART
	v_dot2_f32_f16 v17, v1, v21, v17
	;;#ASMEND
	;;#ASMSTART
	v_dot2_f32_f16 v17, v2, v22, v17
	;;#ASMEND
	;;#ASMSTART
	v_dot2_f32_f16 v17, v3, v23, v17
	;;#ASMEND
	;; [unrolled: 13-line block ×5, first 2 shown]
	;;#ASMSTART
	v_dot2_f32_f16 v19, v52, v20, v19
	;;#ASMEND
	;;#ASMSTART
	v_dot2_f32_f16 v19, v53, v21, v19
	;;#ASMEND
	;; [unrolled: 3-line block ×12, first 2 shown]
	ds_load_b128 v[0:3], v105 offset:144
	ds_load_b128 v[4:7], v71 offset:400
	;; [unrolled: 1-line block ×6, first 2 shown]
	s_wait_dscnt 0x4
	;;#ASMSTART
	v_dot2_f32_f16 v12, v0, v4, v12
	;;#ASMEND
	;;#ASMSTART
	v_dot2_f32_f16 v12, v1, v5, v12
	;;#ASMEND
	;;#ASMSTART
	v_dot2_f32_f16 v12, v2, v6, v12
	;;#ASMEND
	;;#ASMSTART
	v_dot2_f32_f16 v12, v3, v7, v12
	;;#ASMEND
	s_wait_dscnt 0x3
	;;#ASMSTART
	v_dot2_f32_f16 v17, v0, v20, v17
	;;#ASMEND
	;;#ASMSTART
	v_dot2_f32_f16 v17, v1, v21, v17
	;;#ASMEND
	;;#ASMSTART
	v_dot2_f32_f16 v17, v2, v22, v17
	;;#ASMEND
	;;#ASMSTART
	v_dot2_f32_f16 v17, v3, v23, v17
	;;#ASMEND
	;; [unrolled: 13-line block ×5, first 2 shown]
	;;#ASMSTART
	v_dot2_f32_f16 v19, v52, v20, v19
	;;#ASMEND
	;;#ASMSTART
	v_dot2_f32_f16 v19, v53, v21, v19
	;;#ASMEND
	;; [unrolled: 3-line block ×12, first 2 shown]
	ds_load_b128 v[0:3], v105 offset:160
	ds_load_b128 v[4:7], v71 offset:416
	;; [unrolled: 1-line block ×6, first 2 shown]
	s_wait_dscnt 0x4
	;;#ASMSTART
	v_dot2_f32_f16 v12, v0, v4, v12
	;;#ASMEND
	;;#ASMSTART
	v_dot2_f32_f16 v12, v1, v5, v12
	;;#ASMEND
	;;#ASMSTART
	v_dot2_f32_f16 v12, v2, v6, v12
	;;#ASMEND
	;;#ASMSTART
	v_dot2_f32_f16 v12, v3, v7, v12
	;;#ASMEND
	s_wait_dscnt 0x3
	;;#ASMSTART
	v_dot2_f32_f16 v17, v0, v20, v17
	;;#ASMEND
	;;#ASMSTART
	v_dot2_f32_f16 v17, v1, v21, v17
	;;#ASMEND
	;;#ASMSTART
	v_dot2_f32_f16 v17, v2, v22, v17
	;;#ASMEND
	;;#ASMSTART
	v_dot2_f32_f16 v17, v3, v23, v17
	;;#ASMEND
	;; [unrolled: 13-line block ×5, first 2 shown]
	;;#ASMSTART
	v_dot2_f32_f16 v19, v52, v20, v19
	;;#ASMEND
	;;#ASMSTART
	v_dot2_f32_f16 v19, v53, v21, v19
	;;#ASMEND
	;; [unrolled: 3-line block ×12, first 2 shown]
	ds_load_b128 v[0:3], v105 offset:176
	ds_load_b128 v[4:7], v71 offset:432
	ds_load_b128 v[20:23], v71 offset:944
	ds_load_b128 v[28:31], v71 offset:1456
	ds_load_b128 v[48:51], v71 offset:1968
	ds_load_b128 v[52:55], v105 offset:8880
	s_wait_dscnt 0x4
	;;#ASMSTART
	v_dot2_f32_f16 v12, v0, v4, v12
	;;#ASMEND
	;;#ASMSTART
	v_dot2_f32_f16 v12, v1, v5, v12
	;;#ASMEND
	;;#ASMSTART
	v_dot2_f32_f16 v12, v2, v6, v12
	;;#ASMEND
	;;#ASMSTART
	v_dot2_f32_f16 v12, v3, v7, v12
	;;#ASMEND
	s_wait_dscnt 0x3
	;;#ASMSTART
	v_dot2_f32_f16 v17, v0, v20, v17
	;;#ASMEND
	;;#ASMSTART
	v_dot2_f32_f16 v17, v1, v21, v17
	;;#ASMEND
	;;#ASMSTART
	v_dot2_f32_f16 v17, v2, v22, v17
	;;#ASMEND
	;;#ASMSTART
	v_dot2_f32_f16 v17, v3, v23, v17
	;;#ASMEND
	;; [unrolled: 13-line block ×5, first 2 shown]
	;;#ASMSTART
	v_dot2_f32_f16 v19, v52, v20, v19
	;;#ASMEND
	;;#ASMSTART
	v_dot2_f32_f16 v19, v53, v21, v19
	;;#ASMEND
	;; [unrolled: 3-line block ×12, first 2 shown]
	ds_load_b128 v[0:3], v105 offset:192
	ds_load_b128 v[4:7], v71 offset:448
	;; [unrolled: 1-line block ×6, first 2 shown]
	s_wait_dscnt 0x4
	;;#ASMSTART
	v_dot2_f32_f16 v12, v0, v4, v12
	;;#ASMEND
	;;#ASMSTART
	v_dot2_f32_f16 v12, v1, v5, v12
	;;#ASMEND
	;;#ASMSTART
	v_dot2_f32_f16 v12, v2, v6, v12
	;;#ASMEND
	;;#ASMSTART
	v_dot2_f32_f16 v12, v3, v7, v12
	;;#ASMEND
	s_wait_dscnt 0x3
	;;#ASMSTART
	v_dot2_f32_f16 v17, v0, v20, v17
	;;#ASMEND
	;;#ASMSTART
	v_dot2_f32_f16 v17, v1, v21, v17
	;;#ASMEND
	;;#ASMSTART
	v_dot2_f32_f16 v17, v2, v22, v17
	;;#ASMEND
	;;#ASMSTART
	v_dot2_f32_f16 v17, v3, v23, v17
	;;#ASMEND
	;; [unrolled: 13-line block ×5, first 2 shown]
	;;#ASMSTART
	v_dot2_f32_f16 v19, v52, v20, v19
	;;#ASMEND
	;;#ASMSTART
	v_dot2_f32_f16 v19, v53, v21, v19
	;;#ASMEND
	;; [unrolled: 3-line block ×12, first 2 shown]
	ds_load_b128 v[0:3], v105 offset:208
	ds_load_b128 v[4:7], v71 offset:464
	;; [unrolled: 1-line block ×6, first 2 shown]
	s_wait_dscnt 0x4
	;;#ASMSTART
	v_dot2_f32_f16 v12, v0, v4, v12
	;;#ASMEND
	;;#ASMSTART
	v_dot2_f32_f16 v12, v1, v5, v12
	;;#ASMEND
	;;#ASMSTART
	v_dot2_f32_f16 v12, v2, v6, v12
	;;#ASMEND
	;;#ASMSTART
	v_dot2_f32_f16 v12, v3, v7, v12
	;;#ASMEND
	s_wait_dscnt 0x3
	;;#ASMSTART
	v_dot2_f32_f16 v17, v0, v20, v17
	;;#ASMEND
	;;#ASMSTART
	v_dot2_f32_f16 v17, v1, v21, v17
	;;#ASMEND
	;;#ASMSTART
	v_dot2_f32_f16 v17, v2, v22, v17
	;;#ASMEND
	;;#ASMSTART
	v_dot2_f32_f16 v17, v3, v23, v17
	;;#ASMEND
	;; [unrolled: 13-line block ×5, first 2 shown]
	;;#ASMSTART
	v_dot2_f32_f16 v19, v52, v20, v19
	;;#ASMEND
	;;#ASMSTART
	v_dot2_f32_f16 v19, v53, v21, v19
	;;#ASMEND
	;; [unrolled: 3-line block ×12, first 2 shown]
	ds_load_b128 v[0:3], v105 offset:224
	ds_load_b128 v[4:7], v71 offset:480
	;; [unrolled: 1-line block ×6, first 2 shown]
	s_wait_dscnt 0x4
	;;#ASMSTART
	v_dot2_f32_f16 v12, v0, v4, v12
	;;#ASMEND
	;;#ASMSTART
	v_dot2_f32_f16 v12, v1, v5, v12
	;;#ASMEND
	;;#ASMSTART
	v_dot2_f32_f16 v12, v2, v6, v12
	;;#ASMEND
	;;#ASMSTART
	v_dot2_f32_f16 v12, v3, v7, v12
	;;#ASMEND
	s_wait_dscnt 0x3
	;;#ASMSTART
	v_dot2_f32_f16 v17, v0, v20, v17
	;;#ASMEND
	;;#ASMSTART
	v_dot2_f32_f16 v17, v1, v21, v17
	;;#ASMEND
	;;#ASMSTART
	v_dot2_f32_f16 v17, v2, v22, v17
	;;#ASMEND
	;;#ASMSTART
	v_dot2_f32_f16 v17, v3, v23, v17
	;;#ASMEND
	;; [unrolled: 13-line block ×5, first 2 shown]
	;;#ASMSTART
	v_dot2_f32_f16 v19, v52, v20, v19
	;;#ASMEND
	;;#ASMSTART
	v_dot2_f32_f16 v19, v53, v21, v19
	;;#ASMEND
	;; [unrolled: 3-line block ×12, first 2 shown]
	ds_load_b128 v[20:23], v105 offset:240
	ds_load_b128 v[28:31], v71 offset:496
	;; [unrolled: 1-line block ×6, first 2 shown]
	s_wait_dscnt 0x4
	;;#ASMSTART
	v_dot2_f32_f16 v12, v20, v28, v12
	;;#ASMEND
	;;#ASMSTART
	v_dot2_f32_f16 v12, v21, v29, v12
	;;#ASMEND
	;;#ASMSTART
	v_dot2_f32_f16 v12, v22, v30, v12
	;;#ASMEND
	;;#ASMSTART
	v_dot2_f32_f16 v12, v23, v31, v12
	;;#ASMEND
	s_wait_dscnt 0x3
	;;#ASMSTART
	v_dot2_f32_f16 v17, v20, v48, v17
	;;#ASMEND
	;;#ASMSTART
	v_dot2_f32_f16 v17, v21, v49, v17
	;;#ASMEND
	;;#ASMSTART
	v_dot2_f32_f16 v17, v22, v50, v17
	;;#ASMEND
	;;#ASMSTART
	v_dot2_f32_f16 v17, v23, v51, v17
	;;#ASMEND
	;; [unrolled: 13-line block ×4, first 2 shown]
	s_wait_dscnt 0x0
	;;#ASMSTART
	v_dot2_f32_f16 v13, v100, v28, v13
	;;#ASMEND
	;;#ASMSTART
	v_dot2_f32_f16 v13, v101, v29, v13
	;;#ASMEND
	v_dual_add_nc_u32 v0, s30, v136 :: v_dual_mov_b32 v4, 0
	;;#ASMSTART
	v_dot2_f32_f16 v13, v102, v30, v13
	;;#ASMEND
	;;#ASMSTART
	v_dot2_f32_f16 v13, v103, v31, v13
	;;#ASMEND
	;; [unrolled: 3-line block ×7, first 2 shown]
	v_add_nc_u32_e32 v2, v0, v73
	;;#ASMSTART
	v_dot2_f32_f16 v18, v101, v53, v18
	;;#ASMEND
	;;#ASMSTART
	v_dot2_f32_f16 v18, v102, v54, v18
	;;#ASMEND
	;;#ASMSTART
	v_dot2_f32_f16 v18, v103, v55, v18
	;;#ASMEND
	;;#ASMSTART
	v_dot2_f32_f16 v60, v100, v62, v60
	;;#ASMEND
	;;#ASMSTART
	v_dot2_f32_f16 v60, v101, v63, v60
	;;#ASMEND
	;;#ASMSTART
	v_dot2_f32_f16 v60, v102, v64, v60
	;;#ASMEND
	;;#ASMSTART
	v_dot2_f32_f16 v60, v103, v65, v60
	;;#ASMEND
	s_cbranch_vccnz .LBB42_10
; %bb.9:                                ;   in Loop: Header=BB42_8 Depth=1
	global_load_u16 v1, v2, s[36:37] scale_offset
	s_wait_loadcnt 0x0
	v_cvt_f32_f16_e32 v1, v1
	s_delay_alu instid0(VALU_DEP_1)
	v_mul_f32_e32 v4, v104, v1
.LBB42_10:                              ;   in Loop: Header=BB42_8 Depth=1
	v_dual_mov_b32 v1, 0 :: v_dual_mov_b32 v3, 0
	s_and_not1_b32 vcc_lo, exec_lo, s10
	s_cbranch_vccnz .LBB42_12
; %bb.11:                               ;   in Loop: Header=BB42_8 Depth=1
	global_load_u16 v2, v2, s[36:37] offset:64 scale_offset
	s_wait_loadcnt 0x0
	v_cvt_f32_f16_e32 v2, v2
	s_delay_alu instid0(VALU_DEP_1)
	v_mul_f32_e32 v3, v104, v2
.LBB42_12:                              ;   in Loop: Header=BB42_8 Depth=1
	v_xor_b32_e32 v2, 16, v108
	s_delay_alu instid0(VALU_DEP_2) | instskip(NEXT) | instid1(VALU_DEP_2)
	v_dual_add_f32 v30, v12, v4 :: v_dual_add_f32 v48, v13, v3
	v_cmp_gt_i32_e32 vcc_lo, 32, v2
	s_delay_alu instid0(VALU_DEP_2) | instskip(SKIP_1) | instid1(VALU_DEP_1)
	v_dual_add_f32 v3, 0x40051340, v30 :: v_dual_add_f32 v4, 0x40051340, v48
	v_cndmask_b32_e32 v2, v108, v2, vcc_lo
	v_lshlrev_b32_e32 v12, 2, v2
	s_delay_alu instid0(VALU_DEP_3) | instskip(SKIP_1) | instid1(VALU_DEP_1)
	v_max3_num_f32 v2, v25, v3, v4
	v_xor_b32_e32 v4, 8, v108
	v_cmp_gt_i32_e32 vcc_lo, 32, v4
	v_cndmask_b32_e32 v4, v108, v4, vcc_lo
	ds_bpermute_b32 v3, v12, v2
	s_wait_dscnt 0x0
	v_dual_max_num_f32 v3, v3, v3 :: v_dual_lshlrev_b32 v31, 2, v4
	s_delay_alu instid0(VALU_DEP_1) | instskip(SKIP_3) | instid1(VALU_DEP_1)
	v_max_num_f32_e32 v2, v2, v3
	ds_bpermute_b32 v3, v31, v2
	s_wait_dscnt 0x0
	v_dual_max_num_f32 v3, v3, v3 :: v_dual_bitop2_b32 v4, 4, v108 bitop3:0x14
	v_cmp_gt_i32_e32 vcc_lo, 32, v4
	s_delay_alu instid0(VALU_DEP_2) | instskip(NEXT) | instid1(VALU_DEP_1)
	v_dual_max_num_f32 v2, v2, v3 :: v_dual_cndmask_b32 v4, v108, v4, vcc_lo
	v_lshlrev_b32_e32 v29, 2, v4
	v_xor_b32_e32 v4, 2, v108
	s_delay_alu instid0(VALU_DEP_1) | instskip(SKIP_4) | instid1(VALU_DEP_1)
	v_cmp_gt_i32_e32 vcc_lo, 32, v4
	v_cndmask_b32_e32 v4, v108, v4, vcc_lo
	ds_bpermute_b32 v3, v29, v2
	s_wait_dscnt 0x0
	v_dual_max_num_f32 v3, v3, v3 :: v_dual_lshlrev_b32 v28, 2, v4
	v_max_num_f32_e32 v2, v2, v3
	ds_bpermute_b32 v3, v28, v2
	s_wait_dscnt 0x0
	v_dual_max_num_f32 v3, v3, v3 :: v_dual_bitop2_b32 v4, 1, v108 bitop3:0x14
	s_delay_alu instid0(VALU_DEP_1) | instskip(NEXT) | instid1(VALU_DEP_2)
	v_cmp_gt_i32_e32 vcc_lo, 32, v4
	v_dual_max_num_f32 v13, v2, v3 :: v_dual_cndmask_b32 v4, v108, v4
	v_add_nc_u32_e32 v3, v0, v116
	s_and_not1_b32 vcc_lo, exec_lo, s10
	s_delay_alu instid0(VALU_DEP_2)
	v_lshlrev_b32_e32 v15, 2, v4
	ds_bpermute_b32 v14, v15, v13
	s_cbranch_vccnz .LBB42_14
; %bb.13:                               ;   in Loop: Header=BB42_8 Depth=1
	global_load_u16 v1, v3, s[36:37] scale_offset
	s_wait_loadcnt 0x0
	v_cvt_f32_f16_e32 v1, v1
	s_delay_alu instid0(VALU_DEP_1)
	v_mul_f32_e32 v1, v104, v1
.LBB42_14:                              ;   in Loop: Header=BB42_8 Depth=1
	v_dual_mov_b32 v2, 0 :: v_dual_mov_b32 v4, 0
	s_and_not1_b32 vcc_lo, exec_lo, s10
	s_cbranch_vccnz .LBB42_16
; %bb.15:                               ;   in Loop: Header=BB42_8 Depth=1
	global_load_u16 v3, v3, s[36:37] offset:64 scale_offset
	s_wait_loadcnt 0x0
	v_cvt_f32_f16_e32 v3, v3
	s_delay_alu instid0(VALU_DEP_1)
	v_mul_f32_e32 v4, v104, v3
.LBB42_16:                              ;   in Loop: Header=BB42_8 Depth=1
	s_delay_alu instid0(VALU_DEP_1) | instskip(SKIP_1) | instid1(VALU_DEP_1)
	v_dual_add_f32 v49, v17, v1 :: v_dual_add_f32 v50, v19, v4
	s_and_not1_b32 vcc_lo, exec_lo, s10
	v_add_f32_e32 v1, 0x40051340, v49
	s_delay_alu instid0(VALU_DEP_2) | instskip(NEXT) | instid1(VALU_DEP_1)
	v_add_f32_e32 v3, 0x40051340, v50
	v_max3_num_f32 v1, v26, v1, v3
	ds_bpermute_b32 v3, v12, v1
	s_wait_dscnt 0x0
	v_max_num_f32_e32 v3, v3, v3
	s_delay_alu instid0(VALU_DEP_1) | instskip(SKIP_3) | instid1(VALU_DEP_1)
	v_max_num_f32_e32 v1, v1, v3
	ds_bpermute_b32 v3, v31, v1
	s_wait_dscnt 0x0
	v_max_num_f32_e32 v3, v3, v3
	v_max_num_f32_e32 v1, v1, v3
	ds_bpermute_b32 v3, v29, v1
	s_wait_dscnt 0x0
	v_max_num_f32_e32 v3, v3, v3
	s_delay_alu instid0(VALU_DEP_1) | instskip(SKIP_3) | instid1(VALU_DEP_1)
	v_max_num_f32_e32 v1, v1, v3
	ds_bpermute_b32 v3, v28, v1
	s_wait_dscnt 0x0
	v_max_num_f32_e32 v3, v3, v3
	v_dual_max_num_f32 v53, v1, v3 :: v_dual_add_nc_u32 v1, v0, v117
	ds_bpermute_b32 v54, v15, v53
	s_cbranch_vccnz .LBB42_18
; %bb.17:                               ;   in Loop: Header=BB42_8 Depth=1
	global_load_u16 v2, v1, s[36:37] scale_offset
	s_wait_loadcnt 0x0
	v_cvt_f32_f16_e32 v2, v2
	s_delay_alu instid0(VALU_DEP_1)
	v_mul_f32_e32 v2, v104, v2
.LBB42_18:                              ;   in Loop: Header=BB42_8 Depth=1
	v_dual_mov_b32 v55, 0 :: v_dual_mov_b32 v3, 0
	s_and_not1_b32 vcc_lo, exec_lo, s10
	s_cbranch_vccnz .LBB42_20
; %bb.19:                               ;   in Loop: Header=BB42_8 Depth=1
	global_load_u16 v1, v1, s[36:37] offset:64 scale_offset
	s_wait_loadcnt 0x0
	v_cvt_f32_f16_e32 v1, v1
	s_delay_alu instid0(VALU_DEP_1)
	v_mul_f32_e32 v3, v104, v1
.LBB42_20:                              ;   in Loop: Header=BB42_8 Depth=1
	s_delay_alu instid0(VALU_DEP_1) | instskip(SKIP_2) | instid1(VALU_DEP_2)
	v_dual_add_f32 v51, v16, v2 :: v_dual_add_f32 v52, v18, v3
	v_add_nc_u32_e32 v0, v0, v118
	s_and_not1_b32 vcc_lo, exec_lo, s10
	v_dual_add_f32 v1, 0x40051340, v51 :: v_dual_add_f32 v2, 0x40051340, v52
	s_delay_alu instid0(VALU_DEP_1) | instskip(SKIP_3) | instid1(VALU_DEP_1)
	v_max3_num_f32 v1, v27, v1, v2
	ds_bpermute_b32 v2, v12, v1
	s_wait_dscnt 0x0
	v_max_num_f32_e32 v2, v2, v2
	v_max_num_f32_e32 v1, v1, v2
	ds_bpermute_b32 v2, v31, v1
	s_wait_dscnt 0x0
	v_max_num_f32_e32 v2, v2, v2
	s_delay_alu instid0(VALU_DEP_1) | instskip(SKIP_3) | instid1(VALU_DEP_1)
	v_max_num_f32_e32 v1, v1, v2
	ds_bpermute_b32 v2, v29, v1
	s_wait_dscnt 0x0
	v_max_num_f32_e32 v2, v2, v2
	v_max_num_f32_e32 v1, v1, v2
	ds_bpermute_b32 v2, v28, v1
	s_wait_dscnt 0x0
	v_max_num_f32_e32 v2, v2, v2
	s_delay_alu instid0(VALU_DEP_1)
	v_max_num_f32_e32 v56, v1, v2
	ds_bpermute_b32 v57, v15, v56
	s_cbranch_vccnz .LBB42_22
; %bb.21:                               ;   in Loop: Header=BB42_8 Depth=1
	global_load_u16 v1, v0, s[36:37] scale_offset
	s_wait_loadcnt 0x0
	v_cvt_f32_f16_e32 v1, v1
	s_delay_alu instid0(VALU_DEP_1)
	v_mul_f32_e32 v55, v104, v1
.LBB42_22:                              ;   in Loop: Header=BB42_8 Depth=1
	s_and_not1_b32 vcc_lo, exec_lo, s10
	s_cbranch_vccnz .LBB42_24
; %bb.23:                               ;   in Loop: Header=BB42_8 Depth=1
	global_load_u16 v0, v0, s[36:37] offset:64 scale_offset
	s_wait_loadcnt 0x0
	v_cvt_f32_f16_e32 v0, v0
	s_delay_alu instid0(VALU_DEP_1)
	v_mul_f32_e32 v58, v104, v0
	s_branch .LBB42_25
.LBB42_24:                              ;   in Loop: Header=BB42_8 Depth=1
	v_mov_b32_e32 v58, 0
.LBB42_25:                              ;   in Loop: Header=BB42_8 Depth=1
	s_mul_u64 s[12:13], s[30:31], s[28:29]
	v_dual_add_f32 v55, v59, v55 :: v_dual_lshlrev_b32 v80, 2, v148
	s_lshl_b64 s[12:13], s[12:13], 2
	s_wait_dscnt 0x0
	s_add_nc_u64 s[12:13], s[18:19], s[12:13]
	s_barrier_signal -1
	v_add_nc_u64_e32 v[0:1], s[12:13], v[98:99]
	v_add_nc_u64_e32 v[2:3], s[12:13], v[88:89]
	;; [unrolled: 1-line block ×4, first 2 shown]
	s_barrier_wait -1
	v_dual_add_f32 v58, v60, v58 :: v_dual_add_f32 v59, 0x40051340, v55
	v_add_nc_u64_e32 v[62:63], v[0:1], v[80:81]
	v_add_nc_u64_e32 v[64:65], v[2:3], v[80:81]
	v_add_nc_u64_e32 v[66:67], v[4:5], v[80:81]
	v_add_nc_u64_e32 v[100:101], v[6:7], v[80:81]
	v_dual_add_f32 v60, 0x40051340, v58 :: v_dual_max_num_f32 v57, v57, v57
	s_clause 0x3
	global_load_b128 v[0:3], v[62:63], off
	global_load_b128 v[4:7], v[64:65], off
	;; [unrolled: 1-line block ×4, first 2 shown]
	v_dual_max_num_f32 v14, v14, v14 :: v_dual_max_num_f32 v13, v13, v13
	v_max3_num_f32 v59, v24, v59, v60
	v_dual_max_num_f32 v54, v54, v54 :: v_dual_max_num_f32 v53, v53, v53
	v_dual_max_num_f32 v56, v56, v56 :: v_dual_add_nc_u32 v61, v77, v158
	ds_bpermute_b32 v60, v12, v59
	v_max_num_f32_e32 v12, v13, v14
	v_dual_max_num_f32 v13, v53, v54 :: v_dual_max_num_f32 v14, v56, v57
	v_add_nc_u32_e32 v69, 0x800, v158
	s_or_b32 s12, s30, 32
	s_delay_alu instid0(VALU_DEP_2) | instskip(NEXT) | instid1(VALU_DEP_3)
	v_dual_sub_f32 v48, v48, v12 :: v_dual_sub_f32 v49, v49, v13
	v_dual_sub_f32 v50, v50, v13 :: v_dual_sub_f32 v54, v27, v14
	v_dual_sub_f32 v52, v52, v14 :: v_dual_sub_f32 v30, v30, v12
	s_delay_alu instid0(VALU_DEP_3) | instskip(SKIP_1) | instid1(VALU_DEP_3)
	v_mul_f32_e32 v57, 0x3fb8aa3b, v49
	v_dual_sub_f32 v25, v25, v12 :: v_dual_sub_f32 v53, v26, v13
	v_dual_mul_f32 v27, 0x3fb8aa3b, v48 :: v_dual_mul_f32 v26, 0x3fb8aa3b, v30
	s_delay_alu instid0(VALU_DEP_2) | instskip(SKIP_1) | instid1(VALU_DEP_3)
	v_dual_sub_f32 v51, v51, v14 :: v_dual_mul_f32 v56, 0x3fb8aa3b, v25
	s_wait_xcnt 0x3
	v_dual_mul_f32 v62, 0x3fb8aa3b, v50 :: v_dual_mul_f32 v63, 0x3fb8aa3b, v53
	s_wait_dscnt 0x0
	v_max_num_f32_e32 v60, v60, v60
	s_wait_xcnt 0x1
	v_fma_f32 v66, 0x3fb8aa3b, v30, -v26
	s_wait_xcnt 0x0
	v_fma_f32 v100, 0x3fb8aa3b, v48, -v27
	v_dual_mul_f32 v64, 0x3fb8aa3b, v51 :: v_dual_mul_f32 v65, 0x3fb8aa3b, v52
	v_dual_max_num_f32 v59, v59, v60 :: v_dual_mul_f32 v60, 0x3fb8aa3b, v54
	v_rndne_f32_e32 v67, v26
	v_rndne_f32_e32 v101, v27
	v_fma_f32 v102, 0x3fb8aa3b, v25, -v56
	ds_bpermute_b32 v31, v31, v59
	v_fmac_f32_e32 v66, 0x32a5705f, v30
	v_rndne_f32_e32 v103, v56
	v_fma_f32 v119, 0x3fb8aa3b, v49, -v57
	v_rndne_f32_e32 v120, v57
	v_rndne_f32_e32 v122, v62
	v_fma_f32 v123, 0x3fb8aa3b, v53, -v63
	v_rndne_f32_e32 v124, v63
	;; [unrolled: 3-line block ×3, first 2 shown]
	v_dual_sub_f32 v26, v26, v67 :: v_dual_sub_f32 v27, v27, v101
	v_fma_f32 v121, 0x3fb8aa3b, v50, -v62
	v_fma_f32 v125, 0x3fb8aa3b, v51, -v64
	v_dual_fmac_f32 v102, 0x32a5705f, v25 :: v_dual_sub_f32 v57, v57, v120
	v_dual_sub_f32 v56, v56, v103 :: v_dual_fmac_f32 v119, 0x32a5705f, v49
	v_dual_sub_f32 v62, v62, v122 :: v_dual_fmac_f32 v123, 0x32a5705f, v53
	s_wait_dscnt 0x0
	v_dual_max_num_f32 v31, v31, v31 :: v_dual_fmac_f32 v100, 0x32a5705f, v48
	v_dual_sub_f32 v63, v63, v124 :: v_dual_sub_f32 v64, v64, v126
	v_dual_fmac_f32 v127, 0x32a5705f, v52 :: v_dual_add_f32 v26, v26, v66
	s_delay_alu instid0(VALU_DEP_3) | instskip(NEXT) | instid1(VALU_DEP_4)
	v_dual_max_num_f32 v31, v59, v31 :: v_dual_sub_f32 v65, v65, v128
	v_dual_add_f32 v56, v56, v102 :: v_dual_add_f32 v27, v27, v100
	v_add_f32_e32 v57, v57, v119
	ds_bpermute_b32 v29, v29, v31
	v_exp_f32_e32 v26, v26
	v_add_f32_e32 v63, v63, v123
	v_fma_f32 v129, 0x3fb8aa3b, v54, -v60
	v_rndne_f32_e32 v130, v60
	v_cvt_i32_f32_e32 v67, v67
	v_fmac_f32_e32 v125, 0x32a5705f, v51
	v_exp_f32_e32 v27, v27
	v_cvt_i32_f32_e32 v101, v101
	v_sub_f32_e32 v60, v60, v130
	s_delay_alu instid0(VALU_DEP_3)
	v_dual_fmac_f32 v121, 0x32a5705f, v50 :: v_dual_add_f32 v64, v64, v125
	v_fmac_f32_e32 v129, 0x32a5705f, v54
	v_ldexp_f32 v26, v26, v67
	v_cmp_ngt_f32_e32 vcc_lo, 0xc2ce8ed0, v30
	v_exp_f32_e32 v56, v56
	v_cvt_i32_f32_e32 v59, v103
	v_add_f32_e32 v62, v62, v121
	v_ldexp_f32 v27, v27, v101
	s_wait_dscnt 0x0
	v_dual_cndmask_b32 v26, 0, v26 :: v_dual_max_num_f32 v29, v29, v29
	v_add_f32_e32 v65, v65, v127
	v_cmp_ngt_f32_e32 vcc_lo, 0xc2ce8ed0, v48
	v_exp_f32_e32 v57, v57
	v_cvt_i32_f32_e32 v103, v120
	v_max_num_f32_e32 v29, v31, v29
	v_add_f32_e32 v31, v60, v129
	v_ldexp_f32 v56, v56, v59
	v_exp_f32_e32 v60, v62
	v_exp_f32_e32 v62, v63
	ds_bpermute_b32 v28, v28, v29
	v_cndmask_b32_e32 v27, 0, v27, vcc_lo
	v_cmp_ngt_f32_e32 vcc_lo, 0xc2ce8ed0, v25
	v_exp_f32_e32 v63, v64
	v_exp_f32_e32 v64, v65
	v_cvt_i32_f32_e32 v120, v122
	v_cvt_i32_f32_e32 v122, v124
	;; [unrolled: 1-line block ×4, first 2 shown]
	v_ldexp_f32 v57, v57, v103
	v_cndmask_b32_e32 v56, 0, v56, vcc_lo
	v_cmp_ngt_f32_e32 vcc_lo, 0xc2ce8ed0, v49
	v_ldexp_f32 v59, v60, v120
	v_ldexp_f32 v60, v62, v122
	;; [unrolled: 1-line block ×4, first 2 shown]
	v_cndmask_b32_e32 v57, 0, v57, vcc_lo
	v_cmp_ngt_f32_e32 vcc_lo, 0xc2ce8ed0, v50
	v_exp_f32_e32 v31, v31
	v_cvt_i32_f32_e32 v128, v130
	s_wait_dscnt 0x0
	v_max_num_f32_e32 v28, v28, v28
	s_ashr_i32 s13, s12, 31
	s_delay_alu instid0(SALU_CYCLE_1) | instskip(NEXT) | instid1(VALU_DEP_1)
	s_mul_u64 s[12:13], s[12:13], s[28:29]
	v_dual_max_num_f32 v64, v29, v28 :: v_dual_cndmask_b32 v29, 0, v59
	v_cmp_ngt_f32_e32 vcc_lo, 0xc2ce8ed0, v53
	v_ldexp_f32 v31, v31, v128
	s_lshl_b64 s[12:13], s[12:13], 2
	ds_bpermute_b32 v15, v15, v64
	s_add_nc_u64 s[12:13], s[18:19], s[12:13]
	v_cndmask_b32_e32 v59, 0, v60, vcc_lo
	v_cmp_ngt_f32_e32 vcc_lo, 0xc2ce8ed0, v51
	v_add_nc_u64_e32 v[146:147], s[12:13], v[98:99]
	v_add_nc_u64_e32 v[168:169], s[12:13], v[88:89]
	;; [unrolled: 1-line block ×4, first 2 shown]
	v_cndmask_b32_e32 v60, 0, v62, vcc_lo
	v_cmp_ngt_f32_e32 vcc_lo, 0xc2ce8ed0, v52
	v_add_nc_u64_e32 v[146:147], v[146:147], v[80:81]
	v_add_nc_u64_e32 v[174:175], v[168:169], v[80:81]
	;; [unrolled: 1-line block ×4, first 2 shown]
	s_wait_dscnt 0x0
	v_max_num_f32_e32 v15, v15, v15
	s_delay_alu instid0(VALU_DEP_1) | instskip(NEXT) | instid1(VALU_DEP_1)
	v_max_num_f32_e32 v15, v64, v15
	v_sub_f32_e32 v24, v24, v15
	v_cndmask_b32_e32 v62, 0, v63, vcc_lo
	v_cmp_ngt_f32_e32 vcc_lo, 0xc2ce8ed0, v54
	v_cndmask_b32_e32 v31, 0, v31, vcc_lo
	v_cmp_nlt_f32_e32 vcc_lo, 0x42b17218, v30
	v_cndmask_b32_e32 v26, 0x7f800000, v26, vcc_lo
	v_cmp_nlt_f32_e32 vcc_lo, 0x42b17218, v48
	;; [unrolled: 2-line block ×6, first 2 shown]
	v_mul_f32_e32 v53, 0x3fb8aa3b, v24
	v_cndmask_b32_e32 v101, 0x7f800000, v59, vcc_lo
	v_cmp_nlt_f32_e32 vcc_lo, 0x42b17218, v51
	v_sub_f32_e32 v51, v55, v15
	v_pk_add_f32 v[102:103], v[26:27], v[28:29]
	v_cvt_pk_f16_f32 v26, v26, v27
	v_dual_sub_f32 v27, v58, v15 :: v_dual_cndmask_b32 v30, 0x7f800000, v60
	v_cmp_nlt_f32_e32 vcc_lo, 0x42b17218, v54
	v_fma_f32 v58, 0x3fb8aa3b, v24, -v53
	v_rndne_f32_e32 v59, v53
	v_cvt_f16_f32_e32 v25, v100
	s_delay_alu instid0(VALU_DEP_2)
	v_dual_fmac_f32 v58, 0x32a5705f, v24 :: v_dual_sub_f32 v53, v53, v59
	v_cndmask_b32_e32 v48, 0x7f800000, v31, vcc_lo
	v_cmp_nlt_f32_e32 vcc_lo, 0x42b17218, v52
	v_mul_f32_e32 v52, 0x3fb8aa3b, v27
	v_cvt_f16_f32_e32 v31, v101
	v_and_b32_e32 v25, 0xffff, v25
	v_cndmask_b32_e32 v50, 0x7f800000, v62, vcc_lo
	s_delay_alu instid0(VALU_DEP_4) | instskip(SKIP_3) | instid1(VALU_DEP_4)
	v_fma_f32 v56, 0x3fb8aa3b, v27, -v52
	v_rndne_f32_e32 v57, v52
	v_and_b32_e32 v31, 0xffff, v31
	v_cmp_ngt_f32_e32 vcc_lo, 0xc2ce8ed0, v51
	v_fmac_f32_e32 v56, 0x32a5705f, v27
	s_delay_alu instid0(VALU_DEP_4) | instskip(NEXT) | instid1(VALU_DEP_1)
	v_sub_f32_e32 v52, v52, v57
	v_add_f32_e32 v52, v52, v56
	v_cvt_pk_f16_f32 v28, v28, v29
	v_mul_f32_e32 v29, 0x3fb8aa3b, v51
	v_cvt_i32_f32_e32 v56, v57
	s_delay_alu instid0(VALU_DEP_4) | instskip(NEXT) | instid1(VALU_DEP_2)
	v_exp_f32_e32 v52, v52
	v_fma_f32 v54, 0x3fb8aa3b, v51, -v29
	v_rndne_f32_e32 v55, v29
	s_delay_alu instid0(VALU_DEP_2) | instskip(NEXT) | instid1(VALU_DEP_2)
	v_fmac_f32_e32 v54, 0x32a5705f, v51
	v_sub_f32_e32 v29, v29, v55
	s_delay_alu instid0(VALU_DEP_1)
	v_add_f32_e32 v29, v29, v54
	v_mul_u32_u24_e32 v54, 0x10001, v25
	v_add_f32_e32 v25, v53, v58
	v_mul_u32_u24_e32 v53, 0x10001, v31
	v_cvt_i32_f32_e32 v31, v55
	v_exp_f32_e32 v29, v29
	v_cvt_i32_f32_e32 v55, v59
	v_exp_f32_e32 v25, v25
	v_cvt_f16_f32_e32 v49, v48
	v_pk_mul_f16 v58, v40, v53
	v_pk_mul_f16 v59, v39, v53
	;; [unrolled: 1-line block ×3, first 2 shown]
	v_ldexp_f32 v29, v29, v31
	v_ldexp_f32 v31, v52, v56
	;; [unrolled: 1-line block ×3, first 2 shown]
	v_and_b32_e32 v49, 0xffff, v49
	v_pk_mul_f16 v55, v42, v54
	v_cndmask_b32_e32 v29, 0, v29, vcc_lo
	v_cmp_ngt_f32_e32 vcc_lo, 0xc2ce8ed0, v24
	v_pk_mul_f16 v56, v41, v53
	v_mul_u32_u24_e32 v57, 0x10001, v49
	v_cndmask_b32_e32 v25, 0, v25, vcc_lo
	v_cmp_ngt_f32_e32 vcc_lo, 0xc2ce8ed0, v27
	s_delay_alu instid0(VALU_DEP_3)
	v_pk_mul_f16 v60, v38, v57
	v_pk_mul_f16 v62, v36, v57
	v_cndmask_b32_e32 v52, 0, v31, vcc_lo
	v_cmp_nlt_f32_e32 vcc_lo, 0x42b17218, v51
	v_cndmask_b32_e32 v31, 0x7f800000, v29, vcc_lo
	v_cmp_nlt_f32_e32 vcc_lo, 0x42b17218, v24
	;; [unrolled: 2-line block ×3, first 2 shown]
	s_delay_alu instid0(VALU_DEP_4) | instskip(NEXT) | instid1(VALU_DEP_3)
	v_cvt_pk_f16_f32 v27, v30, v31
	v_cvt_f16_f32_e32 v24, v49
	v_cndmask_b32_e32 v51, 0x7f800000, v52, vcc_lo
	v_pk_mul_f16 v52, v43, v54
	s_delay_alu instid0(VALU_DEP_3) | instskip(NEXT) | instid1(VALU_DEP_3)
	v_and_b32_e32 v24, 0xffff, v24
	v_cvt_pk_f16_f32 v29, v50, v51
	ds_store_2addr_b64 v61, v[26:27], v[28:29] offset1:32
	s_wait_loadcnt 0x3
	ds_store_b128 v107, v[0:3]
	s_wait_loadcnt 0x2
	ds_store_b128 v110, v[4:7]
	;; [unrolled: 2-line block ×4, first 2 shown]
	s_wait_dscnt 0x0
	s_barrier_signal -1
	s_barrier_wait -1
	ds_load_b128 v[0:3], v77
	v_pk_add_f32 v[4:5], v[30:31], v[50:51]
	v_mul_u32_u24_e32 v16, 0x10001, v24
	v_pk_mul_f16 v61, v37, v57
	s_delay_alu instid0(VALU_DEP_3)
	v_pk_fma_f32 v[10:11], v[10:11], v[48:49], v[4:5]
	ds_load_b128 v[4:7], v77 offset:16
	v_pk_mul_f16 v63, v35, v16
	v_pk_mul_f16 v64, v34, v16
	;; [unrolled: 1-line block ×4, first 2 shown]
	ds_load_2addr_b64 v[16:19], v158 offset1:32
	ds_load_b128 v[20:23], v77 offset:32
	ds_load_b128 v[24:27], v77 offset:48
	ds_load_2addr_b64 v[28:31], v158 offset0:64 offset1:96
	ds_load_2addr_b64 v[32:35], v158 offset0:128 offset1:160
	;; [unrolled: 1-line block ×3, first 2 shown]
	ds_load_2addr_b64 v[40:43], v69 offset1:32
	ds_load_2addr_b64 v[48:51], v69 offset0:64 offset1:96
	s_wait_dscnt 0x9
	v_dual_lshrrev_b32 v67, 16, v0 :: v_dual_lshrrev_b32 v119, 16, v1
	v_and_b32_e32 v0, 0xffff, v0
	v_and_b32_e32 v1, 0xffff, v1
	v_lshrrev_b32_e32 v120, 16, v2
	s_delay_alu instid0(VALU_DEP_4)
	v_mul_u32_u24_e32 v67, 0x10001, v67
	s_wait_dscnt 0x6
	v_dual_lshrrev_b32 v121, 16, v3 :: v_dual_lshrrev_b32 v127, 16, v21
	v_mul_u32_u24_e32 v0, 0x10001, v0
	v_mul_u32_u24_e32 v1, 0x10001, v1
	v_and_b32_e32 v2, 0xffff, v2
	v_and_b32_e32 v3, 0xffff, v3
	v_mul_u32_u24_e32 v119, 0x10001, v119
	v_pk_mul_f16 v130, v16, v0
	v_pk_mul_f16 v131, v16, v67
	;; [unrolled: 1-line block ×3, first 2 shown]
	v_dual_lshrrev_b32 v122, 16, v4 :: v_dual_lshrrev_b32 v123, 16, v5
	v_and_b32_e32 v4, 0xffff, v4
	v_and_b32_e32 v5, 0xffff, v5
	v_mul_u32_u24_e32 v2, 0x10001, v2
	v_mul_u32_u24_e32 v120, 0x10001, v120
	;; [unrolled: 1-line block ×4, first 2 shown]
	v_pk_fma_f16 v16, v16, v119, v63
	v_pk_fma_f16 v47, v17, v0, v47
	v_pk_fma_f16 v56, v17, v67, v56
	v_pk_fma_f16 v60, v17, v1, v60
	v_pk_fma_f16 v17, v17, v119, v64
	v_pk_fma_f16 v52, v18, v0, v52
	v_pk_fma_f16 v58, v18, v67, v58
	v_pk_fma_f16 v61, v18, v1, v61
	v_pk_fma_f16 v18, v18, v119, v65
	v_pk_fma_f16 v0, v19, v0, v55
	v_pk_fma_f16 v55, v19, v67, v59
	v_pk_fma_f16 v1, v19, v1, v62
	v_pk_fma_f16 v19, v19, v119, v66
	v_pk_fma_f16 v46, v46, v54, v130
	v_pk_fma_f16 v45, v45, v53, v131
	v_pk_fma_f16 v44, v44, v57, v132
	v_dual_lshrrev_b32 v124, 16, v6 :: v_dual_lshrrev_b32 v125, 16, v7
	v_and_b32_e32 v6, 0xffff, v6
	v_and_b32_e32 v7, 0xffff, v7
	v_mul_u32_u24_e32 v4, 0x10001, v4
	v_mul_u32_u24_e32 v122, 0x10001, v122
	;; [unrolled: 1-line block ×4, first 2 shown]
	s_wait_dscnt 0x4
	v_pk_fma_f16 v16, v28, v121, v16
	v_pk_fma_f16 v47, v29, v2, v47
	;; [unrolled: 1-line block ×16, first 2 shown]
	v_lshrrev_b32_e32 v126, 16, v20
	v_and_b32_e32 v20, 0xffff, v20
	v_and_b32_e32 v21, 0xffff, v21
	v_mul_u32_u24_e32 v6, 0x10001, v6
	v_mul_u32_u24_e32 v124, 0x10001, v124
	;; [unrolled: 1-line block ×4, first 2 shown]
	s_wait_dscnt 0x3
	v_pk_fma_f16 v16, v32, v123, v16
	v_pk_fma_f16 v28, v33, v4, v47
	;; [unrolled: 1-line block ×13, first 2 shown]
	v_dual_lshrrev_b32 v128, 16, v22 :: v_dual_lshrrev_b32 v129, 16, v23
	v_and_b32_e32 v22, 0xffff, v22
	v_and_b32_e32 v23, 0xffff, v23
	v_mul_u32_u24_e32 v20, 0x10001, v20
	v_mul_u32_u24_e32 v126, 0x10001, v126
	;; [unrolled: 1-line block ×3, first 2 shown]
	s_wait_dscnt 0x2
	v_pk_fma_f16 v5, v36, v125, v16
	v_pk_fma_f16 v16, v37, v6, v28
	v_pk_fma_f16 v28, v37, v124, v44
	v_pk_fma_f16 v31, v37, v7, v45
	v_pk_fma_f16 v29, v38, v6, v29
	v_pk_fma_f16 v32, v38, v124, v33
	v_pk_fma_f16 v33, v38, v7, v46
	v_pk_fma_f16 v0, v39, v6, v0
	v_pk_fma_f16 v1, v39, v7, v1
	v_pk_fma_f16 v2, v36, v6, v2
	v_pk_fma_f16 v4, v36, v124, v4
	v_pk_fma_f16 v3, v36, v7, v3
	v_pk_fma_f16 v30, v35, v122, v30
	s_wait_dscnt 0x1
	v_pk_fma_f16 v6, v41, v20, v16
	v_pk_fma_f16 v7, v41, v126, v28
	;; [unrolled: 1-line block ×11, first 2 shown]
	v_mul_u32_u24_e32 v4, 0x10001, v22
	v_mul_u32_u24_e32 v20, 0x10001, v128
	;; [unrolled: 1-line block ×3, first 2 shown]
	v_pk_fma_f16 v18, v34, v123, v18
	v_pk_fma_f16 v19, v35, v123, v19
	;; [unrolled: 1-line block ×3, first 2 shown]
	s_wait_dscnt 0x0
	v_pk_fma_f16 v23, v48, v4, v0
	v_pk_fma_f16 v34, v48, v20, v1
	;; [unrolled: 1-line block ×3, first 2 shown]
	ds_load_2addr_b64 v[0:3], v69 offset0:128 offset1:160
	v_mul_u32_u24_e32 v127, 0x10001, v127
	v_pk_fma_f16 v17, v37, v125, v17
	v_pk_fma_f16 v30, v43, v126, v30
	;; [unrolled: 1-line block ×6, first 2 shown]
	v_mul_u32_u24_e32 v22, 0x10001, v129
	v_pk_fma_f16 v6, v49, v4, v6
	v_pk_fma_f16 v7, v49, v20, v7
	;; [unrolled: 1-line block ×6, first 2 shown]
	v_and_b32_e32 v4, 0xffff, v24
	v_lshrrev_b32_e32 v24, 16, v24
	v_and_b32_e32 v30, 0xffff, v25
	v_lshrrev_b32_e32 v25, 16, v25
	v_pk_fma_f16 v18, v42, v127, v18
	v_pk_fma_f16 v19, v43, v127, v19
	v_pk_fma_f16 v5, v48, v22, v5
	v_pk_fma_f16 v16, v49, v21, v16
	v_pk_fma_f16 v17, v49, v22, v17
	v_pk_fma_f16 v31, v50, v21, v31
	v_pk_fma_f16 v21, v51, v21, v33
	v_mul_u32_u24_e32 v33, 0x10001, v4
	v_mul_u32_u24_e32 v24, 0x10001, v24
	;; [unrolled: 1-line block ×4, first 2 shown]
	v_pk_fma_f16 v18, v50, v22, v18
	v_pk_fma_f16 v19, v51, v22, v19
	s_wait_dscnt 0x0
	v_pk_fma_f16 v22, v0, v33, v23
	v_pk_fma_f16 v23, v0, v24, v34
	v_pk_fma_f16 v34, v0, v30, v35
	v_pk_fma_f16 v35, v0, v25, v5
	v_pk_fma_f16 v36, v1, v33, v6
	v_pk_fma_f16 v37, v1, v24, v7
	v_pk_fma_f16 v38, v1, v30, v16
	v_pk_fma_f16 v39, v1, v25, v17
	v_and_b32_e32 v0, 0xffff, v26
	v_lshrrev_b32_e32 v1, 16, v26
	ds_load_2addr_b64 v[4:7], v69 offset0:192 offset1:224
	v_pk_fma_f16 v28, v2, v33, v28
	v_pk_fma_f16 v29, v2, v24, v29
	;; [unrolled: 1-line block ×8, first 2 shown]
	v_mul_u32_u24_e32 v21, 0x10001, v0
	v_mul_u32_u24_e32 v26, 0x10001, v1
	ds_load_b128 v[0:3], v77 offset:64
	v_and_b32_e32 v16, 0xffff, v27
	v_lshrrev_b32_e32 v17, 16, v27
	v_add_nc_u32_e32 v119, 0x1000, v158
	v_add_nc_u32_e32 v120, 0x1800, v158
	;; [unrolled: 1-line block ×3, first 2 shown]
	v_mul_u32_u24_e32 v27, 0x10001, v16
	v_mul_u32_u24_e32 v30, 0x10001, v17
	ds_load_2addr_b64 v[16:19], v119 offset1:32
	s_wait_dscnt 0x2
	v_pk_fma_f16 v33, v4, v21, v22
	v_pk_fma_f16 v41, v4, v26, v23
	;; [unrolled: 1-line block ×12, first 2 shown]
	ds_load_b128 v[20:23], v77 offset:80
	s_wait_dscnt 0x2
	v_and_b32_e32 v5, 0xffff, v0
	v_pk_fma_f16 v31, v6, v27, v31
	v_pk_fma_f16 v39, v6, v30, v40
	v_lshrrev_b32_e32 v0, 16, v0
	v_and_b32_e32 v6, 0xffff, v1
	v_lshrrev_b32_e32 v1, 16, v1
	v_pk_fma_f16 v24, v7, v27, v24
	v_mul_u32_u24_e32 v27, 0x10001, v5
	v_mul_u32_u24_e32 v0, 0x10001, v0
	v_mul_u32_u24_e32 v40, 0x10001, v6
	v_pk_fma_f16 v25, v7, v30, v25
	v_pk_fma_f32 v[8:9], v[8:9], v[100:101], v[102:103]
	s_wait_dscnt 0x1
	v_pk_fma_f16 v30, v16, v27, v33
	v_pk_fma_f16 v35, v17, v27, v35
	;; [unrolled: 1-line block ×4, first 2 shown]
	v_and_b32_e32 v32, 0xffff, v3
	v_lshrrev_b32_e32 v3, 16, v3
	v_mul_u32_u24_e32 v1, 0x10001, v1
	v_pk_fma_f16 v33, v16, v0, v41
	v_pk_fma_f16 v34, v16, v40, v34
	v_pk_fma_f16 v36, v17, v0, v36
	v_pk_fma_f16 v29, v18, v0, v29
	v_pk_fma_f16 v16, v16, v1, v4
	ds_load_2addr_b64 v[4:7], v119 offset0:64 offset1:96
	v_pk_fma_f16 v26, v19, v0, v26
	v_and_b32_e32 v0, 0xffff, v2
	v_lshrrev_b32_e32 v2, 16, v2
	v_pk_fma_f16 v37, v17, v40, v37
	v_pk_fma_f16 v17, v17, v1, v38
	v_pk_fma_f16 v31, v18, v40, v31
	v_pk_fma_f16 v18, v18, v1, v39
	v_pk_fma_f16 v24, v19, v40, v24
	v_mul_u32_u24_e32 v38, 0x10001, v0
	v_mul_u32_u24_e32 v39, 0x10001, v2
	v_mul_u32_u24_e32 v40, 0x10001, v3
	v_pk_fma_f16 v19, v19, v1, v25
	ds_load_2addr_b64 v[0:3], v119 offset0:128 offset1:160
	v_mul_u32_u24_e32 v32, 0x10001, v32
	s_wait_dscnt 0x1
	v_pk_fma_f16 v25, v4, v38, v30
	v_pk_fma_f16 v30, v4, v39, v33
	s_delay_alu instid0(VALU_DEP_3)
	v_pk_fma_f16 v33, v4, v32, v34
	v_pk_fma_f16 v4, v4, v40, v16
	;; [unrolled: 1-line block ×10, first 2 shown]
	v_and_b32_e32 v5, 0xffff, v20
	v_lshrrev_b32_e32 v6, 16, v20
	v_and_b32_e32 v20, 0xffff, v21
	v_lshrrev_b32_e32 v21, 16, v21
	v_pk_fma_f16 v27, v7, v38, v27
	v_pk_fma_f16 v26, v7, v39, v26
	;; [unrolled: 1-line block ×3, first 2 shown]
	v_mul_u32_u24_e32 v32, 0x10001, v5
	v_mul_u32_u24_e32 v21, 0x10001, v21
	;; [unrolled: 1-line block ×4, first 2 shown]
	v_pk_fma_f16 v19, v7, v40, v19
	s_wait_dscnt 0x0
	v_pk_fma_f16 v25, v0, v32, v25
	v_pk_fma_f16 v37, v0, v21, v4
	ds_load_2addr_b64 v[4:7], v119 offset0:192 offset1:224
	v_pk_fma_f16 v30, v0, v36, v30
	v_pk_fma_f16 v33, v0, v20, v33
	;; [unrolled: 1-line block ×6, first 2 shown]
	v_and_b32_e32 v0, 0xffff, v22
	v_lshrrev_b32_e32 v1, 16, v22
	v_pk_fma_f16 v28, v2, v32, v28
	v_pk_fma_f16 v29, v2, v36, v29
	v_pk_fma_f16 v31, v2, v20, v31
	v_pk_fma_f16 v39, v2, v21, v18
	v_pk_fma_f16 v27, v3, v32, v27
	v_pk_fma_f16 v26, v3, v36, v26
	v_pk_fma_f16 v24, v3, v20, v24
	v_pk_fma_f16 v32, v3, v21, v19
	v_and_b32_e32 v17, 0xffff, v23
	v_lshrrev_b32_e32 v18, 16, v23
	v_mul_u32_u24_e32 v20, 0x10001, v0
	v_mul_u32_u24_e32 v21, 0x10001, v1
	ds_load_b128 v[0:3], v77 offset:96
	v_mul_u32_u24_e32 v36, 0x10001, v17
	v_mul_u32_u24_e32 v40, 0x10001, v18
	s_wait_dscnt 0x1
	v_pk_fma_f16 v25, v4, v20, v25
	v_pk_fma_f16 v30, v4, v21, v30
	;; [unrolled: 1-line block ×6, first 2 shown]
	ds_load_2addr_b64 v[16:19], v120 offset1:32
	v_pk_fma_f16 v35, v5, v36, v35
	v_pk_fma_f16 v38, v5, v40, v38
	v_pk_fma_f16 v28, v6, v20, v28
	v_pk_fma_f16 v29, v6, v21, v29
	v_pk_fma_f16 v31, v6, v36, v31
	v_pk_fma_f16 v39, v6, v40, v39
	v_pk_fma_f16 v27, v7, v20, v27
	v_pk_fma_f16 v26, v7, v21, v26
	ds_load_b128 v[20:23], v77 offset:112
	v_pk_fma_f16 v24, v7, v36, v24
	s_wait_dscnt 0x2
	v_and_b32_e32 v5, 0xffff, v0
	v_lshrrev_b32_e32 v0, 16, v0
	v_and_b32_e32 v6, 0xffff, v1
	v_lshrrev_b32_e32 v1, 16, v1
	v_pk_fma_f16 v32, v7, v40, v32
	v_mul_u32_u24_e32 v36, 0x10001, v5
	v_mul_u32_u24_e32 v0, 0x10001, v0
	;; [unrolled: 1-line block ×4, first 2 shown]
	s_wait_dscnt 0x1
	v_pk_fma_f16 v25, v16, v36, v25
	v_pk_fma_f16 v30, v16, v0, v30
	;; [unrolled: 1-line block ×4, first 2 shown]
	ds_load_2addr_b64 v[4:7], v120 offset0:64 offset1:96
	v_pk_fma_f16 v37, v17, v36, v37
	v_pk_fma_f16 v34, v17, v0, v34
	;; [unrolled: 1-line block ×6, first 2 shown]
	v_and_b32_e32 v0, 0xffff, v2
	v_lshrrev_b32_e32 v2, 16, v2
	v_and_b32_e32 v36, 0xffff, v3
	v_lshrrev_b32_e32 v3, 16, v3
	v_pk_fma_f16 v35, v17, v41, v35
	v_pk_fma_f16 v17, v17, v1, v38
	;; [unrolled: 1-line block ×5, first 2 shown]
	v_mul_u32_u24_e32 v38, 0x10001, v0
	v_mul_u32_u24_e32 v39, 0x10001, v2
	;; [unrolled: 1-line block ×3, first 2 shown]
	v_pk_fma_f16 v19, v19, v1, v32
	ds_load_2addr_b64 v[0:3], v120 offset0:128 offset1:160
	v_mul_u32_u24_e32 v36, 0x10001, v36
	s_wait_dscnt 0x1
	v_pk_fma_f16 v25, v4, v38, v25
	v_pk_fma_f16 v30, v4, v39, v30
	v_pk_fma_f16 v17, v5, v40, v17
	v_pk_fma_f16 v28, v6, v38, v28
	v_pk_fma_f16 v32, v4, v36, v33
	v_pk_fma_f16 v4, v4, v40, v16
	v_pk_fma_f16 v16, v5, v38, v37
	v_pk_fma_f16 v33, v5, v39, v34
	v_pk_fma_f16 v34, v5, v36, v35
	v_pk_fma_f16 v29, v6, v39, v29
	v_pk_fma_f16 v31, v6, v36, v31
	v_pk_fma_f16 v18, v6, v40, v18
	v_and_b32_e32 v5, 0xffff, v20
	v_lshrrev_b32_e32 v6, 16, v20
	v_and_b32_e32 v20, 0xffff, v21
	v_lshrrev_b32_e32 v21, 16, v21
	v_pk_fma_f16 v24, v7, v36, v24
	v_mul_u32_u24_e32 v35, 0x10001, v5
	v_mul_u32_u24_e32 v36, 0x10001, v6
	;; [unrolled: 1-line block ×4, first 2 shown]
	v_pk_fma_f16 v27, v7, v38, v27
	v_pk_fma_f16 v26, v7, v39, v26
	;; [unrolled: 1-line block ×3, first 2 shown]
	s_wait_dscnt 0x0
	v_pk_fma_f16 v37, v1, v35, v16
	v_pk_fma_f16 v33, v1, v36, v33
	;; [unrolled: 1-line block ×4, first 2 shown]
	v_and_b32_e32 v16, 0xffff, v22
	v_lshrrev_b32_e32 v17, 16, v22
	v_pk_fma_f16 v25, v0, v35, v25
	v_pk_fma_f16 v30, v0, v36, v30
	;; [unrolled: 1-line block ×4, first 2 shown]
	ds_load_2addr_b64 v[4:7], v120 offset0:192 offset1:224
	v_pk_fma_f16 v28, v2, v35, v28
	v_pk_fma_f16 v29, v2, v36, v29
	;; [unrolled: 1-line block ×8, first 2 shown]
	v_lshrrev_b32_e32 v20, 16, v23
	v_mul_u32_u24_e32 v36, 0x10001, v16
	v_mul_u32_u24_e32 v38, 0x10001, v17
	ds_load_b128 v[16:19], v77 offset:128
	v_and_b32_e32 v3, 0xffff, v23
	v_mul_u32_u24_e32 v40, 0x10001, v20
	ds_load_2addr_b64 v[20:23], v121 offset1:32
	v_mul_u32_u24_e32 v39, 0x10001, v3
	s_wait_dscnt 0x2
	v_pk_fma_f16 v25, v4, v36, v25
	v_pk_fma_f16 v30, v4, v38, v30
	;; [unrolled: 1-line block ×12, first 2 shown]
	ds_load_b128 v[0:3], v77 offset:144
	s_wait_dscnt 0x2
	v_and_b32_e32 v5, 0xffff, v16
	v_lshrrev_b32_e32 v6, 16, v16
	v_and_b32_e32 v16, 0xffff, v17
	v_lshrrev_b32_e32 v17, 16, v17
	v_pk_fma_f16 v27, v7, v36, v27
	v_pk_fma_f16 v26, v7, v38, v26
	v_mul_u32_u24_e32 v36, 0x10001, v5
	v_mul_u32_u24_e32 v38, 0x10001, v6
	;; [unrolled: 1-line block ×4, first 2 shown]
	v_pk_fma_f16 v24, v7, v39, v24
	v_pk_fma_f16 v35, v7, v40, v35
	s_wait_dscnt 0x1
	v_pk_fma_f16 v25, v20, v36, v25
	v_pk_fma_f16 v30, v20, v38, v30
	;; [unrolled: 1-line block ×4, first 2 shown]
	ds_load_2addr_b64 v[4:7], v121 offset0:64 offset1:96
	v_pk_fma_f16 v37, v21, v36, v37
	v_pk_fma_f16 v33, v21, v38, v33
	;; [unrolled: 1-line block ×6, first 2 shown]
	v_and_b32_e32 v36, 0xffff, v18
	v_lshrrev_b32_e32 v18, 16, v18
	v_and_b32_e32 v38, 0xffff, v19
	v_lshrrev_b32_e32 v19, 16, v19
	v_pk_fma_f16 v34, v21, v16, v34
	v_mul_u32_u24_e32 v36, 0x10001, v36
	v_mul_u32_u24_e32 v39, 0x10001, v18
	v_mul_u32_u24_e32 v38, 0x10001, v38
	v_mul_u32_u24_e32 v134, 0x10001, v19
	v_pk_fma_f16 v21, v21, v17, v41
	v_pk_fma_f16 v31, v22, v16, v31
	;; [unrolled: 1-line block ×4, first 2 shown]
	s_wait_dscnt 0x1
	v_and_b32_e32 v195, 0xffff, v0
	v_dual_lshrrev_b32 v196, 16, v0 :: v_dual_lshrrev_b32 v198, 16, v1
	v_and_b32_e32 v197, 0xffff, v1
	v_add_nc_u32_e32 v1, 0x3000, v158
	v_add_nc_u32_e32 v0, 0x3800, v158
	s_wait_dscnt 0x0
	v_pk_fma_f16 v159, v4, v36, v25
	v_pk_fma_f16 v184, v4, v39, v30
	;; [unrolled: 1-line block ×4, first 2 shown]
	v_add_nc_u32_e32 v4, 0x2800, v158
	v_pk_fma_f16 v137, v23, v17, v35
	v_pk_fma_f16 v187, v5, v36, v37
	ds_load_2addr_b64 v[16:19], v121 offset0:128 offset1:160
	v_pk_fma_f16 v188, v5, v39, v33
	v_pk_fma_f16 v189, v5, v38, v34
	;; [unrolled: 1-line block ×10, first 2 shown]
	ds_load_2addr_b64 v[24:27], v121 offset0:192 offset1:224
	ds_load_2addr_b64 v[20:23], v4 offset1:32
	ds_load_b128 v[64:67], v77 offset:160
	ds_load_b128 v[44:47], v77 offset:176
	ds_load_2addr_b64 v[52:55], v4 offset0:64 offset1:96
	ds_load_2addr_b64 v[48:51], v4 offset0:128 offset1:160
	;; [unrolled: 1-line block ×3, first 2 shown]
	ds_load_2addr_b64 v[28:31], v1 offset1:32
	ds_load_2addr_b64 v[32:35], v1 offset0:64 offset1:96
	ds_load_2addr_b64 v[36:39], v1 offset0:128 offset1:160
	ds_load_b128 v[122:125], v77 offset:192
	ds_load_b128 v[126:129], v77 offset:208
	ds_load_2addr_b64 v[130:133], v1 offset0:192 offset1:224
	ds_load_2addr_b64 v[138:141], v0 offset1:32
	ds_load_2addr_b64 v[142:145], v0 offset0:64 offset1:96
	ds_load_2addr_b64 v[60:63], v0 offset0:128 offset1:160
	ds_load_b128 v[160:163], v77 offset:224
	ds_load_b128 v[164:167], v77 offset:240
	ds_load_2addr_b64 v[56:59], v0 offset0:192 offset1:224
	s_wait_dscnt 0x0
	s_barrier_signal -1
	s_barrier_wait -1
	s_clause 0x3
	global_load_b128 v[168:171], v[146:147], off
	global_load_b128 v[172:175], v[174:175], off
	;; [unrolled: 1-line block ×4, first 2 shown]
	v_mul_u32_u24_e32 v80, 0x10001, v195
	s_wait_xcnt 0x3
	v_mul_u32_u24_e32 v146, 0x10001, v196
	v_mul_u32_u24_e32 v147, 0x10001, v197
	;; [unrolled: 1-line block ×3, first 2 shown]
	v_pk_fma_f16 v7, v7, v134, v137
	v_pk_fma_f16 v134, v16, v80, v159
	;; [unrolled: 1-line block ×15, first 2 shown]
	v_and_b32_e32 v146, 0xffff, v2
	v_lshrrev_b32_e32 v2, 16, v2
	v_and_b32_e32 v189, 0xffff, v3
	v_lshrrev_b32_e32 v3, 16, v3
	v_pk_fma_f16 v147, v19, v147, v199
	v_mul_u32_u24_e32 v146, 0x10001, v146
	v_mul_u32_u24_e32 v2, 0x10001, v2
	;; [unrolled: 1-line block ×4, first 2 shown]
	v_pk_fma_f16 v7, v19, v195, v7
	v_pk_fma_f16 v19, v24, v146, v134
	v_pk_fma_f16 v134, v24, v2, v137
	v_pk_fma_f16 v137, v24, v189, v159
	v_pk_fma_f16 v16, v24, v3, v16
	v_pk_fma_f16 v24, v25, v146, v184
	v_pk_fma_f16 v159, v25, v2, v185
	v_pk_fma_f16 v184, v25, v189, v186
	v_pk_fma_f16 v5, v25, v3, v5
	v_pk_fma_f16 v17, v26, v146, v17
	v_pk_fma_f16 v25, v26, v2, v187
	v_pk_fma_f16 v185, v26, v189, v188
	v_pk_fma_f16 v6, v26, v3, v6
	v_pk_fma_f16 v2, v27, v2, v80
	v_and_b32_e32 v26, 0xffff, v64
	v_lshrrev_b32_e32 v64, 16, v64
	v_and_b32_e32 v80, 0xffff, v65
	v_lshrrev_b32_e32 v65, 16, v65
	v_pk_fma_f16 v18, v27, v146, v18
	v_mul_u32_u24_e32 v26, 0x10001, v26
	v_mul_u32_u24_e32 v64, 0x10001, v64
	v_mul_u32_u24_e32 v80, 0x10001, v80
	v_mul_u32_u24_e32 v65, 0x10001, v65
	v_pk_fma_f16 v146, v27, v189, v147
	v_pk_fma_f16 v3, v27, v3, v7
	;; [unrolled: 1-line block ×15, first 2 shown]
	v_and_b32_e32 v22, 0xffff, v66
	v_dual_lshrrev_b32 v26, 16, v66 :: v_dual_lshrrev_b32 v66, 16, v67
	v_pk_fma_f16 v2, v23, v64, v2
	v_and_b32_e32 v64, 0xffff, v67
	s_delay_alu instid0(VALU_DEP_4) | instskip(NEXT) | instid1(VALU_DEP_4)
	v_mul_u32_u24_e32 v22, 0x10001, v22
	v_mul_u32_u24_e32 v26, 0x10001, v26
	v_pk_fma_f16 v67, v23, v80, v146
	v_mul_u32_u24_e32 v66, 0x10001, v66
	v_mul_u32_u24_e32 v64, 0x10001, v64
	v_pk_fma_f16 v7, v52, v22, v7
	v_pk_fma_f16 v19, v52, v26, v19
	;; [unrolled: 1-line block ×8, first 2 shown]
	v_and_b32_e32 v22, 0xffff, v44
	v_lshrrev_b32_e32 v26, 16, v44
	v_and_b32_e32 v44, 0xffff, v45
	v_pk_fma_f16 v3, v23, v65, v3
	v_pk_fma_f16 v23, v52, v64, v27
	;; [unrolled: 1-line block ×5, first 2 shown]
	v_lshrrev_b32_e32 v45, 16, v45
	v_pk_fma_f16 v52, v55, v64, v67
	v_mul_u32_u24_e32 v22, 0x10001, v22
	v_mul_u32_u24_e32 v26, 0x10001, v26
	;; [unrolled: 1-line block ×3, first 2 shown]
	v_pk_fma_f16 v5, v53, v66, v5
	v_pk_fma_f16 v6, v54, v66, v6
	v_mul_u32_u24_e32 v45, 0x10001, v45
	v_pk_fma_f16 v3, v55, v66, v3
	v_pk_fma_f16 v7, v48, v22, v7
	;; [unrolled: 1-line block ×13, first 2 shown]
	v_and_b32_e32 v26, 0xffff, v46
	v_lshrrev_b32_e32 v44, 16, v46
	v_and_b32_e32 v46, 0xffff, v47
	v_lshrrev_b32_e32 v47, 16, v47
	v_pk_fma_f16 v16, v48, v45, v16
	v_pk_fma_f16 v5, v49, v45, v5
	;; [unrolled: 1-line block ×4, first 2 shown]
	v_mul_u32_u24_e32 v26, 0x10001, v26
	v_mul_u32_u24_e32 v44, 0x10001, v44
	;; [unrolled: 1-line block ×4, first 2 shown]
	s_wait_loadcnt 0x3
	ds_store_b128 v107, v[168:171]
	s_wait_loadcnt 0x2
	ds_store_b128 v110, v[172:175]
	;; [unrolled: 2-line block ×4, first 2 shown]
	v_pk_fma_f16 v7, v40, v26, v7
	v_pk_fma_f16 v19, v40, v44, v19
	;; [unrolled: 1-line block ×13, first 2 shown]
	v_and_b32_e32 v26, 0xffff, v122
	v_dual_lshrrev_b32 v40, 16, v122 :: v_dual_lshrrev_b32 v42, 16, v123
	v_and_b32_e32 v41, 0xffff, v123
	v_pk_fma_f16 v2, v43, v44, v2
	s_delay_alu instid0(VALU_DEP_4) | instskip(NEXT) | instid1(VALU_DEP_4)
	v_mul_u32_u24_e32 v26, 0x10001, v26
	v_mul_u32_u24_e32 v40, 0x10001, v40
	;; [unrolled: 1-line block ×4, first 2 shown]
	v_pk_fma_f16 v22, v43, v45, v22
	v_pk_fma_f16 v7, v28, v26, v7
	;; [unrolled: 1-line block ×8, first 2 shown]
	v_and_b32_e32 v26, 0xffff, v124
	v_lshrrev_b32_e32 v28, 16, v124
	v_pk_fma_f16 v24, v29, v40, v24
	v_pk_fma_f16 v27, v29, v41, v27
	v_pk_fma_f16 v5, v29, v42, v5
	v_pk_fma_f16 v21, v30, v40, v21
	v_pk_fma_f16 v25, v30, v41, v25
	v_pk_fma_f16 v6, v30, v42, v6
	v_pk_fma_f16 v2, v31, v40, v2
	v_and_b32_e32 v29, 0xffff, v125
	v_lshrrev_b32_e32 v30, 16, v125
	v_mul_u32_u24_e32 v26, 0x10001, v26
	v_mul_u32_u24_e32 v28, 0x10001, v28
	v_pk_fma_f16 v3, v43, v46, v3
	v_mul_u32_u24_e32 v29, 0x10001, v29
	v_mul_u32_u24_e32 v30, 0x10001, v30
	v_pk_fma_f16 v7, v32, v26, v7
	v_pk_fma_f16 v19, v32, v28, v19
	;; [unrolled: 1-line block ×8, first 2 shown]
	v_and_b32_e32 v26, 0xffff, v126
	v_lshrrev_b32_e32 v28, 16, v126
	v_pk_fma_f16 v23, v32, v29, v23
	v_pk_fma_f16 v16, v32, v30, v16
	v_lshrrev_b32_e32 v32, 16, v127
	v_mul_u32_u24_e32 v26, 0x10001, v26
	v_mul_u32_u24_e32 v28, 0x10001, v28
	v_pk_fma_f16 v22, v31, v41, v22
	v_pk_fma_f16 v3, v31, v42, v3
	v_and_b32_e32 v31, 0xffff, v127
	v_pk_fma_f16 v7, v36, v26, v7
	v_pk_fma_f16 v19, v36, v28, v19
	;; [unrolled: 1-line block ×8, first 2 shown]
	v_and_b32_e32 v26, 0xffff, v128
	v_lshrrev_b32_e32 v28, 16, v128
	v_pk_fma_f16 v27, v33, v29, v27
	v_pk_fma_f16 v25, v34, v29, v25
	;; [unrolled: 1-line block ×3, first 2 shown]
	v_mul_u32_u24_e32 v29, 0x10001, v31
	v_mul_u32_u24_e32 v31, 0x10001, v32
	v_lshrrev_b32_e32 v32, 16, v129
	v_mul_u32_u24_e32 v26, 0x10001, v26
	v_mul_u32_u24_e32 v28, 0x10001, v28
	v_pk_fma_f16 v5, v33, v30, v5
	v_pk_fma_f16 v6, v34, v30, v6
	;; [unrolled: 1-line block ×3, first 2 shown]
	v_and_b32_e32 v30, 0xffff, v129
	v_pk_fma_f16 v7, v130, v26, v7
	v_pk_fma_f16 v19, v130, v28, v19
	;; [unrolled: 1-line block ×8, first 2 shown]
	v_and_b32_e32 v26, 0xffff, v160
	v_lshrrev_b32_e32 v28, 16, v160
	v_pk_fma_f16 v23, v36, v29, v23
	v_pk_fma_f16 v27, v37, v29, v27
	;; [unrolled: 1-line block ×4, first 2 shown]
	v_mul_u32_u24_e32 v29, 0x10001, v30
	v_mul_u32_u24_e32 v30, 0x10001, v32
	v_lshrrev_b32_e32 v32, 16, v161
	v_mul_u32_u24_e32 v26, 0x10001, v26
	v_mul_u32_u24_e32 v28, 0x10001, v28
	v_pk_fma_f16 v16, v36, v31, v16
	v_pk_fma_f16 v5, v37, v31, v5
	;; [unrolled: 1-line block ×4, first 2 shown]
	v_and_b32_e32 v31, 0xffff, v161
	v_pk_fma_f16 v7, v138, v26, v7
	v_pk_fma_f16 v19, v138, v28, v19
	;; [unrolled: 1-line block ×8, first 2 shown]
	v_and_b32_e32 v26, 0xffff, v162
	v_lshrrev_b32_e32 v28, 16, v162
	v_pk_fma_f16 v23, v130, v29, v23
	v_pk_fma_f16 v16, v130, v30, v16
	;; [unrolled: 1-line block ×7, first 2 shown]
	v_mul_u32_u24_e32 v29, 0x10001, v31
	v_mul_u32_u24_e32 v31, 0x10001, v32
	v_pk_fma_f16 v3, v133, v30, v3
	v_and_b32_e32 v30, 0xffff, v163
	v_lshrrev_b32_e32 v32, 16, v163
	v_mul_u32_u24_e32 v26, 0x10001, v26
	v_mul_u32_u24_e32 v28, 0x10001, v28
	v_pk_fma_f16 v23, v138, v29, v23
	v_pk_fma_f16 v16, v138, v31, v16
	;; [unrolled: 1-line block ×7, first 2 shown]
	v_mul_u32_u24_e32 v29, 0x10001, v30
	v_mul_u32_u24_e32 v30, 0x10001, v32
	v_pk_fma_f16 v3, v141, v31, v3
	v_pk_fma_f16 v7, v142, v26, v7
	;; [unrolled: 1-line block ×9, first 2 shown]
	v_and_b32_e32 v26, 0xffff, v164
	v_dual_lshrrev_b32 v28, 16, v164 :: v_dual_lshrrev_b32 v32, 16, v165
	v_and_b32_e32 v31, 0xffff, v165
	v_pk_fma_f16 v23, v142, v29, v23
	v_pk_fma_f16 v16, v142, v30, v16
	;; [unrolled: 1-line block ×5, first 2 shown]
	v_mul_u32_u24_e32 v26, 0x10001, v26
	v_mul_u32_u24_e32 v29, 0x10001, v31
	v_mul_u32_u24_e32 v31, 0x10001, v32
	v_mul_u32_u24_e32 v28, 0x10001, v28
	v_pk_fma_f16 v5, v143, v30, v5
	v_pk_fma_f16 v7, v60, v26, v7
	;; [unrolled: 1-line block ×6, first 2 shown]
	v_and_b32_e32 v16, 0xffff, v166
	v_lshrrev_b32_e32 v17, 16, v166
	v_and_b32_e32 v18, 0xffff, v167
	v_pk_fma_f16 v6, v144, v30, v6
	v_pk_fma_f16 v3, v145, v30, v3
	;; [unrolled: 1-line block ×10, first 2 shown]
	v_lshrrev_b32_e32 v21, 16, v167
	v_mul_u32_u24_e32 v29, 0x10001, v16
	v_mul_u32_u24_e32 v35, 0x10001, v17
	;; [unrolled: 1-line block ×3, first 2 shown]
	s_wait_dscnt 0x0
	s_barrier_signal -1
	s_barrier_wait -1
	ds_load_b128 v[16:19], v77 offset:256
	v_mul_u32_u24_e32 v37, 0x10001, v21
	v_pk_fma_f16 v39, v56, v36, v23
	v_pk_fma_f16 v41, v57, v29, v20
	ds_load_2addr_b64 v[20:23], v158 offset1:32
	v_pk_fma_f16 v7, v56, v29, v7
	v_pk_fma_f16 v42, v57, v35, v24
	;; [unrolled: 1-line block ×7, first 2 shown]
	ds_load_b128 v[24:27], v77 offset:272
	v_pk_fma_f16 v5, v61, v31, v5
	v_pk_fma_f16 v6, v62, v31, v6
	;; [unrolled: 1-line block ×7, first 2 shown]
	s_wait_dscnt 0x2
	v_and_b32_e32 v28, 0xffff, v16
	v_lshrrev_b32_e32 v16, 16, v16
	v_and_b32_e32 v29, 0xffff, v17
	v_lshrrev_b32_e32 v17, 16, v17
	v_pk_fma_f16 v6, v58, v37, v6
	v_pk_fma_f16 v2, v59, v35, v2
	v_mul_u32_u24_e32 v16, 0x10001, v16
	v_mul_u32_u24_e32 v50, 0x10001, v29
	v_pk_fma_f16 v3, v59, v37, v3
	v_mul_u32_u24_e32 v49, 0x10001, v28
	v_mul_u32_u24_e32 v17, 0x10001, v17
	ds_load_b128 v[28:31], v77 offset:288
	ds_load_b128 v[32:35], v77 offset:304
	s_wait_dscnt 0x3
	v_pk_fma_f16 v51, v20, v16, v38
	v_pk_fma_f16 v52, v20, v50, v39
	ds_load_2addr_b64 v[36:39], v158 offset0:64 offset1:96
	v_pk_fma_f16 v7, v20, v49, v7
	v_pk_fma_f16 v20, v20, v17, v40
	;; [unrolled: 1-line block ×7, first 2 shown]
	v_and_b32_e32 v16, 0xffff, v18
	v_lshrrev_b32_e32 v18, 16, v18
	v_and_b32_e32 v45, 0xffff, v19
	v_lshrrev_b32_e32 v19, 16, v19
	v_pk_fma_f16 v5, v21, v17, v5
	v_pk_fma_f16 v21, v22, v49, v44
	;; [unrolled: 1-line block ×6, first 2 shown]
	v_mul_u32_u24_e32 v47, 0x10001, v16
	v_mul_u32_u24_e32 v48, 0x10001, v18
	;; [unrolled: 1-line block ×3, first 2 shown]
	v_pk_fma_f16 v3, v23, v17, v3
	ds_load_2addr_b64 v[16:19], v158 offset0:128 offset1:160
	v_mul_u32_u24_e32 v45, 0x10001, v45
	s_wait_dscnt 0x1
	v_pk_fma_f16 v7, v36, v47, v7
	v_pk_fma_f16 v23, v36, v48, v51
	;; [unrolled: 1-line block ×13, first 2 shown]
	v_and_b32_e32 v21, 0xffff, v24
	v_lshrrev_b32_e32 v22, 16, v24
	v_and_b32_e32 v24, 0xffff, v25
	v_lshrrev_b32_e32 v25, 16, v25
	v_pk_fma_f16 v44, v39, v45, v46
	v_mul_u32_u24_e32 v45, 0x10001, v21
	v_mul_u32_u24_e32 v46, 0x10001, v22
	;; [unrolled: 1-line block ×4, first 2 shown]
	v_pk_fma_f16 v2, v39, v48, v2
	v_pk_fma_f16 v3, v39, v49, v3
	s_wait_dscnt 0x0
	v_pk_fma_f16 v7, v16, v45, v7
	v_pk_fma_f16 v39, v16, v46, v23
	;; [unrolled: 1-line block ×4, first 2 shown]
	ds_load_2addr_b64 v[20:23], v158 offset0:192 offset1:224
	v_pk_fma_f16 v36, v17, v45, v36
	v_pk_fma_f16 v40, v17, v46, v40
	;; [unrolled: 1-line block ×8, first 2 shown]
	v_and_b32_e32 v17, 0xffff, v26
	v_lshrrev_b32_e32 v18, 16, v26
	v_and_b32_e32 v26, 0xffff, v27
	v_lshrrev_b32_e32 v27, 16, v27
	v_pk_fma_f16 v38, v19, v45, v38
	v_pk_fma_f16 v24, v19, v24, v44
	v_mul_u32_u24_e32 v44, 0x10001, v17
	v_mul_u32_u24_e32 v45, 0x10001, v18
	;; [unrolled: 1-line block ×4, first 2 shown]
	v_pk_fma_f16 v2, v19, v46, v2
	v_pk_fma_f16 v3, v19, v25, v3
	s_wait_dscnt 0x0
	v_pk_fma_f16 v7, v20, v44, v7
	v_pk_fma_f16 v25, v20, v45, v39
	;; [unrolled: 1-line block ×4, first 2 shown]
	ds_load_2addr_b64 v[16:19], v69 offset1:32
	v_pk_fma_f16 v36, v21, v44, v36
	v_pk_fma_f16 v40, v21, v45, v40
	;; [unrolled: 1-line block ×8, first 2 shown]
	v_and_b32_e32 v21, 0xffff, v28
	v_lshrrev_b32_e32 v22, 16, v28
	v_and_b32_e32 v28, 0xffff, v29
	v_lshrrev_b32_e32 v29, 16, v29
	v_pk_fma_f16 v38, v23, v44, v38
	v_pk_fma_f16 v24, v23, v26, v24
	v_mul_u32_u24_e32 v26, 0x10001, v21
	v_mul_u32_u24_e32 v44, 0x10001, v22
	;; [unrolled: 1-line block ×4, first 2 shown]
	v_pk_fma_f16 v2, v23, v45, v2
	v_pk_fma_f16 v3, v23, v27, v3
	s_wait_dscnt 0x0
	v_pk_fma_f16 v7, v16, v26, v7
	v_pk_fma_f16 v25, v16, v44, v25
	;; [unrolled: 1-line block ×4, first 2 shown]
	ds_load_2addr_b64 v[20:23], v69 offset0:64 offset1:96
	v_pk_fma_f16 v36, v17, v26, v36
	v_pk_fma_f16 v39, v17, v44, v40
	;; [unrolled: 1-line block ×8, first 2 shown]
	v_and_b32_e32 v17, 0xffff, v30
	v_lshrrev_b32_e32 v18, 16, v30
	v_and_b32_e32 v30, 0xffff, v31
	v_lshrrev_b32_e32 v31, 16, v31
	v_pk_fma_f16 v26, v19, v26, v38
	v_pk_fma_f16 v24, v19, v28, v24
	v_mul_u32_u24_e32 v28, 0x10001, v17
	v_mul_u32_u24_e32 v38, 0x10001, v18
	;; [unrolled: 1-line block ×4, first 2 shown]
	v_pk_fma_f16 v2, v19, v44, v2
	v_pk_fma_f16 v3, v19, v29, v3
	s_wait_dscnt 0x0
	v_pk_fma_f16 v7, v20, v28, v7
	v_pk_fma_f16 v25, v20, v38, v25
	;; [unrolled: 1-line block ×4, first 2 shown]
	ds_load_2addr_b64 v[16:19], v69 offset0:128 offset1:160
	v_pk_fma_f16 v29, v21, v28, v36
	v_pk_fma_f16 v36, v21, v38, v39
	;; [unrolled: 1-line block ×9, first 2 shown]
	v_and_b32_e32 v21, 0xffff, v32
	v_dual_lshrrev_b32 v22, 16, v32 :: v_dual_lshrrev_b32 v32, 16, v33
	v_and_b32_e32 v28, 0xffff, v33
	v_pk_fma_f16 v24, v23, v30, v24
	s_delay_alu instid0(VALU_DEP_4) | instskip(NEXT) | instid1(VALU_DEP_4)
	v_mul_u32_u24_e32 v30, 0x10001, v21
	v_mul_u32_u24_e32 v33, 0x10001, v22
	;; [unrolled: 1-line block ×4, first 2 shown]
	v_pk_fma_f16 v2, v23, v38, v2
	v_pk_fma_f16 v3, v23, v31, v3
	s_wait_dscnt 0x0
	v_pk_fma_f16 v7, v16, v30, v7
	v_pk_fma_f16 v31, v16, v33, v25
	;; [unrolled: 1-line block ×4, first 2 shown]
	ds_load_2addr_b64 v[20:23], v69 offset0:192 offset1:224
	v_pk_fma_f16 v29, v17, v30, v29
	v_pk_fma_f16 v36, v17, v33, v36
	;; [unrolled: 1-line block ×10, first 2 shown]
	v_and_b32_e32 v17, 0xffff, v34
	v_dual_lshrrev_b32 v18, 16, v34 :: v_dual_lshrrev_b32 v34, 16, v35
	v_pk_fma_f16 v33, v19, v28, v24
	v_and_b32_e32 v28, 0xffff, v35
	ds_load_b128 v[24:27], v77 offset:320
	v_mul_u32_u24_e32 v35, 0x10001, v17
	v_mul_u32_u24_e32 v42, 0x10001, v18
	;; [unrolled: 1-line block ×4, first 2 shown]
	v_pk_fma_f16 v3, v19, v32, v3
	s_wait_dscnt 0x1
	v_pk_fma_f16 v7, v20, v35, v7
	v_pk_fma_f16 v32, v20, v42, v31
	;; [unrolled: 1-line block ×5, first 2 shown]
	ds_load_2addr_b64 v[16:19], v119 offset1:32
	v_pk_fma_f16 v36, v21, v42, v36
	v_pk_fma_f16 v39, v21, v43, v39
	;; [unrolled: 1-line block ×8, first 2 shown]
	ds_load_b128 v[28:31], v77 offset:336
	s_wait_dscnt 0x2
	v_and_b32_e32 v21, 0xffff, v24
	v_lshrrev_b32_e32 v22, 16, v24
	v_and_b32_e32 v24, 0xffff, v25
	v_lshrrev_b32_e32 v25, 16, v25
	v_pk_fma_f16 v2, v23, v42, v2
	v_pk_fma_f16 v33, v23, v43, v33
	v_mul_u32_u24_e32 v42, 0x10001, v21
	v_mul_u32_u24_e32 v43, 0x10001, v22
	;; [unrolled: 1-line block ×4, first 2 shown]
	v_pk_fma_f16 v3, v23, v34, v3
	s_wait_dscnt 0x1
	v_pk_fma_f16 v7, v16, v42, v7
	v_pk_fma_f16 v32, v16, v43, v32
	;; [unrolled: 1-line block ×4, first 2 shown]
	ds_load_2addr_b64 v[20:23], v119 offset0:64 offset1:96
	v_pk_fma_f16 v38, v17, v42, v44
	v_pk_fma_f16 v36, v17, v43, v36
	;; [unrolled: 1-line block ×8, first 2 shown]
	v_and_b32_e32 v17, 0xffff, v26
	v_lshrrev_b32_e32 v18, 16, v26
	v_and_b32_e32 v26, 0xffff, v27
	v_lshrrev_b32_e32 v27, 16, v27
	v_pk_fma_f16 v35, v19, v42, v35
	v_pk_fma_f16 v24, v19, v24, v33
	v_mul_u32_u24_e32 v33, 0x10001, v17
	v_mul_u32_u24_e32 v42, 0x10001, v18
	;; [unrolled: 1-line block ×4, first 2 shown]
	v_pk_fma_f16 v2, v19, v43, v2
	v_pk_fma_f16 v3, v19, v25, v3
	s_wait_dscnt 0x0
	v_pk_fma_f16 v7, v20, v33, v7
	v_pk_fma_f16 v25, v20, v42, v32
	;; [unrolled: 1-line block ×4, first 2 shown]
	ds_load_2addr_b64 v[16:19], v119 offset0:128 offset1:160
	v_pk_fma_f16 v34, v21, v33, v38
	v_pk_fma_f16 v36, v21, v42, v36
	;; [unrolled: 1-line block ×8, first 2 shown]
	v_and_b32_e32 v21, 0xffff, v28
	v_lshrrev_b32_e32 v22, 16, v28
	v_and_b32_e32 v28, 0xffff, v29
	v_lshrrev_b32_e32 v29, 16, v29
	v_pk_fma_f16 v33, v23, v33, v35
	v_pk_fma_f16 v24, v23, v26, v24
	v_mul_u32_u24_e32 v26, 0x10001, v21
	v_mul_u32_u24_e32 v35, 0x10001, v22
	;; [unrolled: 1-line block ×4, first 2 shown]
	v_pk_fma_f16 v2, v23, v42, v2
	v_pk_fma_f16 v3, v23, v27, v3
	s_wait_dscnt 0x0
	v_pk_fma_f16 v7, v16, v26, v7
	v_pk_fma_f16 v41, v16, v35, v25
	;; [unrolled: 1-line block ×4, first 2 shown]
	ds_load_2addr_b64 v[20:23], v119 offset0:192 offset1:224
	v_pk_fma_f16 v34, v17, v26, v34
	v_pk_fma_f16 v36, v17, v35, v36
	;; [unrolled: 1-line block ×10, first 2 shown]
	v_and_b32_e32 v17, 0xffff, v30
	v_dual_lshrrev_b32 v18, 16, v30 :: v_dual_lshrrev_b32 v30, 16, v31
	v_pk_fma_f16 v35, v19, v28, v24
	v_and_b32_e32 v28, 0xffff, v31
	ds_load_b128 v[24:27], v77 offset:352
	v_mul_u32_u24_e32 v31, 0x10001, v17
	v_mul_u32_u24_e32 v42, 0x10001, v18
	;; [unrolled: 1-line block ×4, first 2 shown]
	v_pk_fma_f16 v3, v19, v29, v3
	s_wait_dscnt 0x1
	v_pk_fma_f16 v7, v20, v31, v7
	v_pk_fma_f16 v41, v20, v42, v41
	;; [unrolled: 1-line block ×5, first 2 shown]
	ds_load_2addr_b64 v[16:19], v120 offset1:32
	v_pk_fma_f16 v36, v21, v42, v36
	v_pk_fma_f16 v38, v21, v43, v38
	;; [unrolled: 1-line block ×8, first 2 shown]
	ds_load_b128 v[28:31], v77 offset:368
	s_wait_dscnt 0x2
	v_and_b32_e32 v21, 0xffff, v24
	v_lshrrev_b32_e32 v22, 16, v24
	v_and_b32_e32 v24, 0xffff, v25
	v_lshrrev_b32_e32 v25, 16, v25
	v_pk_fma_f16 v2, v23, v42, v2
	v_pk_fma_f16 v35, v23, v43, v35
	v_mul_u32_u24_e32 v42, 0x10001, v21
	v_mul_u32_u24_e32 v43, 0x10001, v22
	;; [unrolled: 1-line block ×4, first 2 shown]
	v_pk_fma_f16 v3, v23, v44, v3
	s_wait_dscnt 0x1
	v_pk_fma_f16 v7, v16, v42, v7
	v_pk_fma_f16 v41, v16, v43, v41
	;; [unrolled: 1-line block ×4, first 2 shown]
	ds_load_2addr_b64 v[20:23], v120 offset0:64 offset1:96
	v_pk_fma_f16 v34, v17, v42, v34
	v_pk_fma_f16 v36, v17, v43, v36
	;; [unrolled: 1-line block ×8, first 2 shown]
	v_and_b32_e32 v17, 0xffff, v26
	v_lshrrev_b32_e32 v18, 16, v26
	v_and_b32_e32 v26, 0xffff, v27
	v_lshrrev_b32_e32 v27, 16, v27
	v_pk_fma_f16 v33, v19, v42, v33
	v_pk_fma_f16 v24, v19, v24, v35
	v_mul_u32_u24_e32 v35, 0x10001, v17
	v_mul_u32_u24_e32 v42, 0x10001, v18
	;; [unrolled: 1-line block ×4, first 2 shown]
	v_pk_fma_f16 v2, v19, v43, v2
	v_pk_fma_f16 v3, v19, v25, v3
	s_wait_dscnt 0x0
	v_pk_fma_f16 v7, v20, v35, v7
	v_pk_fma_f16 v25, v20, v42, v41
	v_pk_fma_f16 v32, v20, v26, v32
	v_pk_fma_f16 v20, v20, v27, v16
	ds_load_2addr_b64 v[16:19], v120 offset0:128 offset1:160
	v_pk_fma_f16 v34, v21, v35, v34
	v_pk_fma_f16 v36, v21, v42, v36
	;; [unrolled: 1-line block ×8, first 2 shown]
	v_and_b32_e32 v21, 0xffff, v28
	v_lshrrev_b32_e32 v22, 16, v28
	v_and_b32_e32 v28, 0xffff, v29
	v_lshrrev_b32_e32 v29, 16, v29
	v_pk_fma_f16 v33, v23, v35, v33
	v_pk_fma_f16 v24, v23, v26, v24
	v_mul_u32_u24_e32 v26, 0x10001, v21
	v_mul_u32_u24_e32 v35, 0x10001, v22
	;; [unrolled: 1-line block ×4, first 2 shown]
	v_pk_fma_f16 v2, v23, v42, v2
	v_pk_fma_f16 v3, v23, v27, v3
	s_wait_dscnt 0x0
	v_pk_fma_f16 v7, v16, v26, v7
	v_pk_fma_f16 v41, v16, v35, v25
	;; [unrolled: 1-line block ×4, first 2 shown]
	ds_load_2addr_b64 v[20:23], v120 offset0:192 offset1:224
	v_pk_fma_f16 v34, v17, v26, v34
	v_pk_fma_f16 v36, v17, v35, v36
	;; [unrolled: 1-line block ×10, first 2 shown]
	v_and_b32_e32 v17, 0xffff, v30
	v_dual_lshrrev_b32 v18, 16, v30 :: v_dual_lshrrev_b32 v30, 16, v31
	v_pk_fma_f16 v35, v19, v28, v24
	v_and_b32_e32 v28, 0xffff, v31
	ds_load_b128 v[24:27], v77 offset:384
	v_mul_u32_u24_e32 v31, 0x10001, v17
	v_mul_u32_u24_e32 v42, 0x10001, v18
	;; [unrolled: 1-line block ×4, first 2 shown]
	v_pk_fma_f16 v3, v19, v29, v3
	s_wait_dscnt 0x1
	v_pk_fma_f16 v7, v20, v31, v7
	v_pk_fma_f16 v41, v20, v42, v41
	;; [unrolled: 1-line block ×5, first 2 shown]
	ds_load_2addr_b64 v[16:19], v121 offset1:32
	v_pk_fma_f16 v36, v21, v42, v36
	v_pk_fma_f16 v38, v21, v43, v38
	;; [unrolled: 1-line block ×8, first 2 shown]
	ds_load_b128 v[28:31], v77 offset:400
	s_wait_dscnt 0x2
	v_and_b32_e32 v21, 0xffff, v24
	v_lshrrev_b32_e32 v22, 16, v24
	v_and_b32_e32 v24, 0xffff, v25
	v_lshrrev_b32_e32 v25, 16, v25
	v_pk_fma_f16 v2, v23, v42, v2
	v_pk_fma_f16 v35, v23, v43, v35
	v_mul_u32_u24_e32 v42, 0x10001, v21
	v_mul_u32_u24_e32 v43, 0x10001, v22
	v_mul_u32_u24_e32 v24, 0x10001, v24
	v_mul_u32_u24_e32 v25, 0x10001, v25
	v_pk_fma_f16 v3, v23, v44, v3
	s_wait_dscnt 0x1
	v_pk_fma_f16 v7, v16, v42, v7
	v_pk_fma_f16 v41, v16, v43, v41
	;; [unrolled: 1-line block ×4, first 2 shown]
	ds_load_2addr_b64 v[20:23], v121 offset0:64 offset1:96
	v_pk_fma_f16 v34, v17, v42, v34
	v_pk_fma_f16 v36, v17, v43, v36
	;; [unrolled: 1-line block ×8, first 2 shown]
	v_and_b32_e32 v17, 0xffff, v26
	v_lshrrev_b32_e32 v18, 16, v26
	v_and_b32_e32 v26, 0xffff, v27
	v_lshrrev_b32_e32 v27, 16, v27
	v_pk_fma_f16 v33, v19, v42, v33
	v_pk_fma_f16 v24, v19, v24, v35
	v_mul_u32_u24_e32 v35, 0x10001, v17
	v_mul_u32_u24_e32 v42, 0x10001, v18
	;; [unrolled: 1-line block ×4, first 2 shown]
	v_pk_fma_f16 v2, v19, v43, v2
	v_pk_fma_f16 v3, v19, v25, v3
	s_wait_dscnt 0x0
	v_pk_fma_f16 v7, v20, v35, v7
	v_pk_fma_f16 v25, v20, v42, v41
	;; [unrolled: 1-line block ×4, first 2 shown]
	ds_load_2addr_b64 v[16:19], v121 offset0:128 offset1:160
	v_pk_fma_f16 v34, v21, v35, v34
	v_pk_fma_f16 v36, v21, v42, v36
	;; [unrolled: 1-line block ×8, first 2 shown]
	v_and_b32_e32 v21, 0xffff, v28
	v_lshrrev_b32_e32 v22, 16, v28
	v_and_b32_e32 v28, 0xffff, v29
	v_lshrrev_b32_e32 v29, 16, v29
	v_pk_fma_f16 v33, v23, v35, v33
	v_pk_fma_f16 v24, v23, v26, v24
	v_mul_u32_u24_e32 v26, 0x10001, v21
	v_mul_u32_u24_e32 v35, 0x10001, v22
	;; [unrolled: 1-line block ×4, first 2 shown]
	v_pk_fma_f16 v2, v23, v42, v2
	v_pk_fma_f16 v3, v23, v27, v3
	s_wait_dscnt 0x0
	v_pk_fma_f16 v7, v16, v26, v7
	v_pk_fma_f16 v41, v16, v35, v25
	;; [unrolled: 1-line block ×4, first 2 shown]
	ds_load_2addr_b64 v[20:23], v121 offset0:192 offset1:224
	v_pk_fma_f16 v34, v17, v26, v34
	v_pk_fma_f16 v36, v17, v35, v36
	;; [unrolled: 1-line block ×10, first 2 shown]
	v_and_b32_e32 v17, 0xffff, v30
	v_dual_lshrrev_b32 v18, 16, v30 :: v_dual_lshrrev_b32 v30, 16, v31
	v_pk_fma_f16 v35, v19, v28, v24
	v_and_b32_e32 v28, 0xffff, v31
	ds_load_b128 v[24:27], v77 offset:416
	v_mul_u32_u24_e32 v31, 0x10001, v17
	v_mul_u32_u24_e32 v42, 0x10001, v18
	;; [unrolled: 1-line block ×4, first 2 shown]
	v_pk_fma_f16 v3, v19, v29, v3
	s_wait_dscnt 0x1
	v_pk_fma_f16 v7, v20, v31, v7
	v_pk_fma_f16 v41, v20, v42, v41
	;; [unrolled: 1-line block ×5, first 2 shown]
	ds_load_2addr_b64 v[16:19], v4 offset1:32
	v_pk_fma_f16 v36, v21, v42, v36
	v_pk_fma_f16 v38, v21, v43, v38
	;; [unrolled: 1-line block ×8, first 2 shown]
	ds_load_b128 v[28:31], v77 offset:432
	s_wait_dscnt 0x2
	v_and_b32_e32 v21, 0xffff, v24
	v_lshrrev_b32_e32 v22, 16, v24
	v_and_b32_e32 v24, 0xffff, v25
	v_lshrrev_b32_e32 v25, 16, v25
	v_pk_fma_f16 v2, v23, v42, v2
	v_pk_fma_f16 v35, v23, v43, v35
	v_mul_u32_u24_e32 v42, 0x10001, v21
	v_mul_u32_u24_e32 v43, 0x10001, v22
	;; [unrolled: 1-line block ×4, first 2 shown]
	v_pk_fma_f16 v3, v23, v44, v3
	s_wait_dscnt 0x1
	v_pk_fma_f16 v7, v16, v42, v7
	v_pk_fma_f16 v41, v16, v43, v41
	;; [unrolled: 1-line block ×4, first 2 shown]
	ds_load_2addr_b64 v[20:23], v4 offset0:64 offset1:96
	v_pk_fma_f16 v34, v17, v42, v34
	v_pk_fma_f16 v36, v17, v43, v36
	v_pk_fma_f16 v38, v17, v24, v38
	v_pk_fma_f16 v5, v17, v25, v5
	v_pk_fma_f16 v37, v18, v42, v37
	v_pk_fma_f16 v39, v18, v43, v39
	v_pk_fma_f16 v40, v18, v24, v40
	v_pk_fma_f16 v6, v18, v25, v6
	v_and_b32_e32 v17, 0xffff, v26
	v_lshrrev_b32_e32 v18, 16, v26
	v_and_b32_e32 v26, 0xffff, v27
	v_lshrrev_b32_e32 v27, 16, v27
	v_pk_fma_f16 v33, v19, v42, v33
	v_pk_fma_f16 v24, v19, v24, v35
	v_mul_u32_u24_e32 v35, 0x10001, v17
	v_mul_u32_u24_e32 v42, 0x10001, v18
	;; [unrolled: 1-line block ×4, first 2 shown]
	v_pk_fma_f16 v2, v19, v43, v2
	v_pk_fma_f16 v3, v19, v25, v3
	s_wait_dscnt 0x0
	v_pk_fma_f16 v7, v20, v35, v7
	v_pk_fma_f16 v25, v20, v42, v41
	;; [unrolled: 1-line block ×4, first 2 shown]
	ds_load_2addr_b64 v[16:19], v4 offset0:128 offset1:160
	v_pk_fma_f16 v34, v21, v35, v34
	v_pk_fma_f16 v36, v21, v42, v36
	;; [unrolled: 1-line block ×10, first 2 shown]
	v_and_b32_e32 v2, 0xffff, v28
	v_lshrrev_b32_e32 v5, 16, v28
	v_and_b32_e32 v28, 0xffff, v29
	v_lshrrev_b32_e32 v29, 16, v29
	v_pk_fma_f16 v24, v23, v26, v24
	v_mul_u32_u24_e32 v26, 0x10001, v2
	v_mul_u32_u24_e32 v35, 0x10001, v5
	v_pk_fma_f16 v27, v23, v27, v3
	ds_load_2addr_b64 v[2:5], v4 offset0:192 offset1:224
	v_mul_u32_u24_e32 v28, 0x10001, v28
	v_mul_u32_u24_e32 v29, 0x10001, v29
	s_wait_dscnt 0x1
	v_pk_fma_f16 v7, v16, v26, v7
	v_pk_fma_f16 v25, v16, v35, v25
	;; [unrolled: 1-line block ×13, first 2 shown]
	v_and_b32_e32 v17, 0xffff, v30
	v_dual_lshrrev_b32 v18, 16, v30 :: v_dual_lshrrev_b32 v30, 16, v31
	v_pk_fma_f16 v28, v19, v28, v24
	v_and_b32_e32 v24, 0xffff, v31
	ds_load_b128 v[20:23], v77 offset:448
	v_pk_fma_f16 v33, v19, v35, v33
	v_mul_u32_u24_e32 v31, 0x10001, v17
	v_mul_u32_u24_e32 v35, 0x10001, v18
	v_mul_u32_u24_e32 v42, 0x10001, v24
	v_mul_u32_u24_e32 v30, 0x10001, v30
	v_pk_fma_f16 v29, v19, v29, v27
	s_wait_dscnt 0x1
	v_pk_fma_f16 v7, v2, v31, v7
	v_pk_fma_f16 v43, v2, v35, v25
	;; [unrolled: 1-line block ×4, first 2 shown]
	ds_load_2addr_b64 v[16:19], v1 offset1:32
	v_pk_fma_f16 v34, v3, v31, v34
	v_pk_fma_f16 v36, v3, v35, v36
	;; [unrolled: 1-line block ×9, first 2 shown]
	ds_load_b128 v[24:27], v77 offset:464
	s_wait_dscnt 0x2
	v_and_b32_e32 v3, 0xffff, v20
	v_lshrrev_b32_e32 v4, 16, v20
	v_and_b32_e32 v20, 0xffff, v21
	v_lshrrev_b32_e32 v21, 16, v21
	v_pk_fma_f16 v33, v5, v35, v33
	v_pk_fma_f16 v28, v5, v42, v28
	v_mul_u32_u24_e32 v35, 0x10001, v3
	v_mul_u32_u24_e32 v42, 0x10001, v4
	;; [unrolled: 1-line block ×4, first 2 shown]
	v_pk_fma_f16 v29, v5, v30, v29
	s_wait_dscnt 0x1
	v_pk_fma_f16 v7, v16, v35, v7
	v_pk_fma_f16 v30, v16, v42, v43
	;; [unrolled: 1-line block ×4, first 2 shown]
	ds_load_2addr_b64 v[2:5], v1 offset0:64 offset1:96
	v_pk_fma_f16 v34, v17, v35, v34
	v_pk_fma_f16 v36, v17, v42, v36
	;; [unrolled: 1-line block ×8, first 2 shown]
	v_and_b32_e32 v17, 0xffff, v22
	v_lshrrev_b32_e32 v18, 16, v22
	v_and_b32_e32 v22, 0xffff, v23
	v_lshrrev_b32_e32 v23, 16, v23
	v_pk_fma_f16 v31, v19, v35, v31
	v_pk_fma_f16 v20, v19, v20, v28
	v_mul_u32_u24_e32 v28, 0x10001, v17
	v_mul_u32_u24_e32 v35, 0x10001, v18
	;; [unrolled: 1-line block ×4, first 2 shown]
	v_pk_fma_f16 v33, v19, v42, v33
	v_pk_fma_f16 v21, v19, v21, v29
	s_wait_dscnt 0x0
	v_pk_fma_f16 v7, v2, v28, v7
	v_pk_fma_f16 v29, v2, v35, v30
	;; [unrolled: 1-line block ×4, first 2 shown]
	ds_load_2addr_b64 v[16:19], v1 offset0:128 offset1:160
	v_pk_fma_f16 v32, v3, v28, v34
	v_pk_fma_f16 v34, v3, v35, v36
	;; [unrolled: 1-line block ×8, first 2 shown]
	v_and_b32_e32 v3, 0xffff, v24
	v_lshrrev_b32_e32 v4, 16, v24
	v_and_b32_e32 v24, 0xffff, v25
	v_lshrrev_b32_e32 v25, 16, v25
	v_pk_fma_f16 v28, v5, v28, v31
	v_pk_fma_f16 v31, v5, v35, v33
	;; [unrolled: 1-line block ×3, first 2 shown]
	v_mul_u32_u24_e32 v22, 0x10001, v3
	v_mul_u32_u24_e32 v33, 0x10001, v4
	;; [unrolled: 1-line block ×4, first 2 shown]
	v_pk_fma_f16 v35, v5, v23, v21
	s_wait_dscnt 0x0
	v_pk_fma_f16 v7, v16, v22, v7
	v_pk_fma_f16 v29, v16, v33, v29
	;; [unrolled: 1-line block ×4, first 2 shown]
	ds_load_2addr_b64 v[2:5], v1 offset0:192 offset1:224
	v_pk_fma_f16 v32, v17, v22, v32
	v_pk_fma_f16 v34, v17, v33, v34
	v_pk_fma_f16 v1, v17, v24, v36
	v_pk_fma_f16 v36, v17, v25, v38
	v_pk_fma_f16 v37, v18, v22, v37
	v_pk_fma_f16 v38, v18, v33, v39
	v_pk_fma_f16 v39, v18, v24, v40
	v_pk_fma_f16 v6, v18, v25, v6
	v_pk_fma_f16 v28, v19, v22, v28
	v_pk_fma_f16 v31, v19, v33, v31
	v_and_b32_e32 v17, 0xffff, v26
	v_dual_lshrrev_b32 v18, 16, v26 :: v_dual_lshrrev_b32 v26, 16, v27
	v_pk_fma_f16 v33, v19, v24, v20
	v_and_b32_e32 v24, 0xffff, v27
	ds_load_b128 v[20:23], v77 offset:480
	v_mul_u32_u24_e32 v27, 0x10001, v17
	v_mul_u32_u24_e32 v40, 0x10001, v18
	;; [unrolled: 1-line block ×4, first 2 shown]
	v_pk_fma_f16 v35, v19, v25, v35
	s_wait_dscnt 0x1
	v_pk_fma_f16 v7, v2, v27, v7
	v_pk_fma_f16 v29, v2, v40, v29
	;; [unrolled: 1-line block ×5, first 2 shown]
	ds_load_2addr_b64 v[16:19], v0 offset1:32
	v_pk_fma_f16 v34, v3, v40, v34
	v_pk_fma_f16 v1, v3, v41, v1
	;; [unrolled: 1-line block ×8, first 2 shown]
	ds_load_b128 v[24:27], v77 offset:496
	s_wait_dscnt 0x2
	v_and_b32_e32 v3, 0xffff, v20
	v_lshrrev_b32_e32 v4, 16, v20
	v_and_b32_e32 v20, 0xffff, v21
	v_lshrrev_b32_e32 v21, 16, v21
	v_pk_fma_f16 v31, v5, v40, v31
	v_pk_fma_f16 v33, v5, v41, v33
	v_mul_u32_u24_e32 v40, 0x10001, v3
	v_mul_u32_u24_e32 v41, 0x10001, v4
	;; [unrolled: 1-line block ×4, first 2 shown]
	v_pk_fma_f16 v35, v5, v42, v35
	s_wait_dscnt 0x1
	v_pk_fma_f16 v7, v16, v40, v7
	v_pk_fma_f16 v29, v16, v41, v29
	;; [unrolled: 1-line block ×4, first 2 shown]
	ds_load_2addr_b64 v[2:5], v0 offset0:64 offset1:96
	v_pk_fma_f16 v32, v17, v40, v32
	v_pk_fma_f16 v34, v17, v41, v34
	;; [unrolled: 1-line block ×8, first 2 shown]
	v_and_b32_e32 v17, 0xffff, v22
	v_lshrrev_b32_e32 v18, 16, v22
	v_and_b32_e32 v22, 0xffff, v23
	v_lshrrev_b32_e32 v23, 16, v23
	v_pk_fma_f16 v28, v19, v40, v28
	v_pk_fma_f16 v20, v19, v20, v33
	v_mul_u32_u24_e32 v33, 0x10001, v17
	v_mul_u32_u24_e32 v40, 0x10001, v18
	;; [unrolled: 1-line block ×4, first 2 shown]
	v_pk_fma_f16 v31, v19, v41, v31
	v_pk_fma_f16 v21, v19, v21, v35
	s_wait_dscnt 0x0
	v_pk_fma_f16 v7, v2, v33, v7
	v_pk_fma_f16 v29, v2, v40, v29
	;; [unrolled: 1-line block ×4, first 2 shown]
	ds_load_2addr_b64 v[16:19], v0 offset0:128 offset1:160
	v_pk_fma_f16 v32, v3, v33, v32
	v_pk_fma_f16 v34, v3, v40, v34
	;; [unrolled: 1-line block ×10, first 2 shown]
	v_and_b32_e32 v31, 0xffff, v24
	v_lshrrev_b32_e32 v24, 16, v24
	v_and_b32_e32 v33, 0xffff, v25
	v_lshrrev_b32_e32 v25, 16, v25
	v_pk_fma_f16 v20, v5, v22, v20
	v_mul_u32_u24_e32 v22, 0x10001, v31
	v_mul_u32_u24_e32 v24, 0x10001, v24
	;; [unrolled: 1-line block ×4, first 2 shown]
	v_pk_fma_f16 v5, v5, v23, v21
	s_wait_dscnt 0x0
	v_pk_fma_f16 v7, v16, v22, v7
	v_pk_fma_f16 v21, v16, v24, v29
	;; [unrolled: 1-line block ×8, first 2 shown]
	ds_load_2addr_b64 v[0:3], v0 offset0:192 offset1:224
	s_wait_dscnt 0x0
	s_barrier_signal -1
	s_barrier_wait -1
	s_load_b32 s11, s[6:7], 0x4
	v_pk_fma_f16 v33, v18, v22, v35
	v_pk_fma_f16 v36, v18, v24, v36
	;; [unrolled: 1-line block ×5, first 2 shown]
	v_and_b32_e32 v18, 0xffff, v26
	v_pk_fma_f16 v22, v19, v24, v28
	v_dual_lshrrev_b32 v24, 16, v26 :: v_dual_lshrrev_b32 v26, 16, v27
	v_and_b32_e32 v27, 0xffff, v27
	v_pk_fma_f16 v20, v19, v31, v20
	v_mul_u32_u24_e32 v18, 0x10001, v18
	s_delay_alu instid0(VALU_DEP_4)
	v_mul_u32_u24_e32 v24, 0x10001, v24
	v_mul_u32_u24_e32 v26, 0x10001, v26
	;; [unrolled: 1-line block ×3, first 2 shown]
	v_pk_fma_f16 v5, v19, v25, v5
	v_pk_fma_f16 v46, v0, v18, v7
	;; [unrolled: 1-line block ×4, first 2 shown]
	s_wait_kmcnt 0x0
	s_lshl_b32 s11, s11, 6
	v_pk_fma_f16 v44, v0, v27, v23
	v_pk_fma_f16 v47, v1, v18, v29
	;; [unrolled: 1-line block ×13, first 2 shown]
	s_add_co_i32 s30, s11, s30
	s_delay_alu instid0(SALU_CYCLE_1)
	s_cmp_lt_i32 s30, s3
	s_cbranch_scc0 .LBB42_28
; %bb.26:                               ;   in Loop: Header=BB42_8 Depth=1
	v_dual_mov_b32 v25, v12 :: v_dual_mov_b32 v26, v13
	v_dual_mov_b32 v27, v14 :: v_dual_mov_b32 v24, v15
	s_branch .LBB42_8
.LBB42_27:
	v_dual_mov_b32 v12, 0xfeffffff :: v_dual_mov_b32 v9, 0
	v_dual_mov_b32 v46, 0 :: v_dual_mov_b32 v10, 0
	;; [unrolled: 1-line block ×3, first 2 shown]
	s_delay_alu instid0(VALU_DEP_3)
	v_dual_mov_b32 v13, v12 :: v_dual_mov_b32 v14, v12
	v_dual_mov_b32 v15, v12 :: v_dual_mov_b32 v8, 0
	;; [unrolled: 1-line block ×8, first 2 shown]
	v_mov_b32_e32 v33, 0
.LBB42_28:
	s_cmp_gt_i32 s2, s30
	s_cbranch_scc1 .LBB42_31
; %bb.29:
	v_mbcnt_lo_u32_b32 v0, -1, 0
	v_mov_b32_e32 v163, 32
	s_delay_alu instid0(VALU_DEP_2)
	v_xor_b32_e32 v164, 16, v0
	v_xor_b32_e32 v161, 8, v0
	v_xor_b32_e32 v160, 4, v0
	v_xor_b32_e32 v159, 2, v0
	v_xor_b32_e32 v162, 1, v0
	s_cbranch_execz .LBB42_32
; %bb.30:
	v_mov_b32_e32 v156, v0
	s_branch .LBB42_69
.LBB42_31:
                                        ; implicit-def: $vgpr0
                                        ; implicit-def: $vgpr163
                                        ; implicit-def: $vgpr164
                                        ; implicit-def: $vgpr161
                                        ; implicit-def: $vgpr160
                                        ; implicit-def: $vgpr159
                                        ; implicit-def: $vgpr162
.LBB42_32:
	v_lshl_add_u32 v28, v79, 1, v106
	s_ashr_i32 s31, s30, 31
	s_ashr_i32 s15, s14, 31
	s_mov_b32 s44, 0
	s_mul_u64 s[6:7], s[30:31], s[14:15]
	v_mul_lo_u32 v4, s14, v28
	s_lshl_b64 s[6:7], s[6:7], 2
	v_dual_mov_b32 v0, 0 :: v_dual_lshlrev_b32 v1, 20, v156
	s_add_nc_u64 s[6:7], s[4:5], s[6:7]
	s_mov_b32 s45, s44
	s_mov_b32 s46, s44
	v_dual_mov_b32 v21, 0 :: v_dual_mov_b32 v16, s44
	v_add_nc_u64_e32 v[22:23], src_flat_scratch_base_lo, v[0:1]
	s_sub_co_i32 s38, s2, s30
	s_delay_alu instid0(VALU_DEP_4) | instskip(SKIP_2) | instid1(VALU_DEP_3)
	v_dual_ashrrev_i32 v5, 31, v4 :: v_dual_lshlrev_b32 v20, 2, v78
	v_cmp_gt_i32_e64 s4, s38, v28
	v_dual_mov_b32 v17, s45 :: v_dual_mov_b32 v18, s46
	v_lshl_add_u64 v[2:3], v[4:5], 2, s[6:7]
	s_clause 0x1
	scratch_store_b32 off, v21, off
	scratch_store_b96 off, v[16:18], off offset:4
	s_lshl_b32 s3, s14, 4
	v_add_nc_u64_e32 v[30:31], v[2:3], v[20:21]
	v_add_nc_u32_e32 v4, s3, v4
	v_mad_u32_u24 v19, 0x110, v28, v20
	s_cmp_lg_u64 s[36:37], 0
	s_delay_alu instid0(VALU_DEP_2) | instskip(NEXT) | instid1(VALU_DEP_4)
	v_dual_ashrrev_i32 v5, 31, v4 :: v_dual_cndmask_b32 v1, v23, v31, s4
	v_cndmask_b32_e64 v0, v22, v30, s4
	v_add_nc_u64_e32 v[30:31], 0x100, v[30:31]
	s_delay_alu instid0(VALU_DEP_3)
	v_lshl_add_u64 v[6:7], v[4:5], 2, s[6:7]
	v_add_nc_u32_e32 v5, 16, v28
	flat_load_b128 v[0:3], v[0:1]
	s_clause 0x1
	scratch_store_b32 off, v21, off
	scratch_store_b96 off, v[16:18], off offset:4
	v_add_nc_u64_e32 v[24:25], v[6:7], v[20:21]
	v_cmp_gt_i32_e32 vcc_lo, s38, v5
	s_delay_alu instid0(VALU_DEP_2) | instskip(NEXT) | instid1(VALU_DEP_3)
	v_dual_cndmask_b32 v31, v23, v31, s4 :: v_dual_cndmask_b32 v7, v23, v25, vcc_lo
	v_cndmask_b32_e32 v6, v22, v24, vcc_lo
	v_add_nc_u32_e32 v4, s3, v4
	v_add_nc_u64_e32 v[24:25], 0x100, v[24:25]
	s_delay_alu instid0(VALU_DEP_2) | instskip(NEXT) | instid1(VALU_DEP_2)
	v_dual_cndmask_b32 v30, v22, v30, s4 :: v_dual_ashrrev_i32 v5, 31, v4
	v_cndmask_b32_e32 v25, v23, v25, vcc_lo
	s_wait_loadcnt_dscnt 0x0
	ds_store_b128 v19, v[0:3]
	flat_load_b128 v[0:3], v[6:7]
	s_wait_xcnt 0x0
	v_lshl_add_u64 v[6:7], v[4:5], 2, s[6:7]
	v_add_nc_u32_e32 v5, 32, v28
	s_clause 0x1
	scratch_store_b32 off, v21, off
	scratch_store_b96 off, v[16:18], off offset:4
	v_add_nc_u32_e32 v4, s3, v4
	v_add_nc_u64_e32 v[26:27], v[6:7], v[20:21]
	v_cmp_gt_i32_e64 s2, s38, v5
	v_cndmask_b32_e32 v24, v22, v24, vcc_lo
	s_delay_alu instid0(VALU_DEP_2) | instskip(NEXT) | instid1(VALU_DEP_4)
	v_dual_ashrrev_i32 v5, 31, v4 :: v_dual_cndmask_b32 v7, v23, v27, s2
	v_cndmask_b32_e64 v6, v22, v26, s2
	s_delay_alu instid0(VALU_DEP_2)
	v_lshl_add_u64 v[4:5], v[4:5], 2, s[6:7]
	s_wait_loadcnt_dscnt 0x0
	ds_store_b128 v19, v[0:3] offset:4352
	flat_load_b128 v[0:3], v[6:7]
	s_wait_xcnt 0x0
	v_add_nc_u32_e32 v6, 48, v28
	v_add_nc_u64_e32 v[28:29], v[4:5], v[20:21]
	s_clause 0x1
	scratch_store_b32 off, v21, off
	scratch_store_b96 off, v[16:18], off offset:4
	v_mov_b32_e32 v7, v21
	v_mad_u32 v20, v74, s24, s30
	v_cmp_gt_i32_e64 s3, s38, v6
	s_delay_alu instid0(VALU_DEP_1)
	v_dual_mov_b32 v6, v21 :: v_dual_cndmask_b32 v5, v23, v29, s3
	v_cndmask_b32_e64 v4, v22, v28, s3
	v_add_nc_u64_e32 v[28:29], 0x100, v[28:29]
	s_wait_loadcnt_dscnt 0x0
	ds_store_b128 v19, v[0:3] offset:8704
	flat_load_b128 v[0:3], v[4:5]
	s_wait_xcnt 0x0
	v_dual_mov_b32 v5, v21 :: v_dual_mov_b32 v4, v21
	s_wait_loadcnt_dscnt 0x0
	ds_store_b128 v19, v[0:3] offset:13056
	s_wait_storecnt_dscnt 0x0
	s_barrier_signal -1
	s_barrier_wait -1
	ds_load_b128 v[48:51], v105
	ds_load_b128 v[52:55], v75 offset:17408
	ds_load_b128 v[56:59], v75 offset:17920
	;; [unrolled: 1-line block ×3, first 2 shown]
	v_mov_b32_e32 v0, v21
	ds_load_b128 v[64:67], v75 offset:18944
	ds_load_b128 v[80:83], v105 offset:8704
	v_dual_mov_b32 v1, v21 :: v_dual_mov_b32 v2, v21
	v_mov_b32_e32 v3, v21
	s_wait_dscnt 0x4
	;;#ASMSTART
	v_dot2_f32_f16 v0, v48, v52, v0
	;;#ASMEND
	;;#ASMSTART
	v_dot2_f32_f16 v0, v49, v53, v0
	;;#ASMEND
	;;#ASMSTART
	v_dot2_f32_f16 v0, v50, v54, v0
	;;#ASMEND
	;;#ASMSTART
	v_dot2_f32_f16 v0, v51, v55, v0
	;;#ASMEND
	s_wait_dscnt 0x3
	;;#ASMSTART
	v_dot2_f32_f16 v1, v48, v56, v1
	;;#ASMEND
	;;#ASMSTART
	v_dot2_f32_f16 v1, v49, v57, v1
	;;#ASMEND
	;;#ASMSTART
	v_dot2_f32_f16 v1, v50, v58, v1
	;;#ASMEND
	;;#ASMSTART
	v_dot2_f32_f16 v1, v51, v59, v1
	;;#ASMEND
	;; [unrolled: 13-line block ×5, first 2 shown]
	;;#ASMSTART
	v_dot2_f32_f16 v5, v80, v56, v5
	;;#ASMEND
	;;#ASMSTART
	v_dot2_f32_f16 v5, v81, v57, v5
	;;#ASMEND
	;; [unrolled: 3-line block ×12, first 2 shown]
	ds_load_b128 v[48:51], v105 offset:16
	ds_load_b128 v[52:55], v75 offset:17424
	;; [unrolled: 1-line block ×6, first 2 shown]
	s_wait_dscnt 0x4
	;;#ASMSTART
	v_dot2_f32_f16 v0, v48, v52, v0
	;;#ASMEND
	;;#ASMSTART
	v_dot2_f32_f16 v0, v49, v53, v0
	;;#ASMEND
	;;#ASMSTART
	v_dot2_f32_f16 v0, v50, v54, v0
	;;#ASMEND
	;;#ASMSTART
	v_dot2_f32_f16 v0, v51, v55, v0
	;;#ASMEND
	s_wait_dscnt 0x3
	;;#ASMSTART
	v_dot2_f32_f16 v1, v48, v56, v1
	;;#ASMEND
	;;#ASMSTART
	v_dot2_f32_f16 v1, v49, v57, v1
	;;#ASMEND
	;;#ASMSTART
	v_dot2_f32_f16 v1, v50, v58, v1
	;;#ASMEND
	;;#ASMSTART
	v_dot2_f32_f16 v1, v51, v59, v1
	;;#ASMEND
	s_wait_dscnt 0x2
	;;#ASMSTART
	v_dot2_f32_f16 v2, v48, v60, v2
	;;#ASMEND
	;;#ASMSTART
	v_dot2_f32_f16 v2, v49, v61, v2
	;;#ASMEND
	;;#ASMSTART
	v_dot2_f32_f16 v2, v50, v62, v2
	;;#ASMEND
	;;#ASMSTART
	v_dot2_f32_f16 v2, v51, v63, v2
	;;#ASMEND
	s_wait_dscnt 0x1
	;;#ASMSTART
	v_dot2_f32_f16 v3, v48, v64, v3
	;;#ASMEND
	;;#ASMSTART
	v_dot2_f32_f16 v3, v49, v65, v3
	;;#ASMEND
	;;#ASMSTART
	v_dot2_f32_f16 v3, v50, v66, v3
	;;#ASMEND
	;;#ASMSTART
	v_dot2_f32_f16 v3, v51, v67, v3
	;;#ASMEND
	s_wait_dscnt 0x0
	;;#ASMSTART
	v_dot2_f32_f16 v4, v80, v52, v4
	;;#ASMEND
	;;#ASMSTART
	v_dot2_f32_f16 v4, v81, v53, v4
	;;#ASMEND
	;;#ASMSTART
	v_dot2_f32_f16 v4, v82, v54, v4
	;;#ASMEND
	;;#ASMSTART
	v_dot2_f32_f16 v4, v83, v55, v4
	;;#ASMEND
	;;#ASMSTART
	v_dot2_f32_f16 v5, v80, v56, v5
	;;#ASMEND
	;;#ASMSTART
	v_dot2_f32_f16 v5, v81, v57, v5
	;;#ASMEND
	;; [unrolled: 3-line block ×12, first 2 shown]
	ds_load_b128 v[48:51], v105 offset:32
	ds_load_b128 v[52:55], v75 offset:17440
	;; [unrolled: 1-line block ×6, first 2 shown]
	s_wait_dscnt 0x4
	;;#ASMSTART
	v_dot2_f32_f16 v0, v48, v52, v0
	;;#ASMEND
	;;#ASMSTART
	v_dot2_f32_f16 v0, v49, v53, v0
	;;#ASMEND
	;;#ASMSTART
	v_dot2_f32_f16 v0, v50, v54, v0
	;;#ASMEND
	;;#ASMSTART
	v_dot2_f32_f16 v0, v51, v55, v0
	;;#ASMEND
	s_wait_dscnt 0x3
	;;#ASMSTART
	v_dot2_f32_f16 v1, v48, v56, v1
	;;#ASMEND
	;;#ASMSTART
	v_dot2_f32_f16 v1, v49, v57, v1
	;;#ASMEND
	;;#ASMSTART
	v_dot2_f32_f16 v1, v50, v58, v1
	;;#ASMEND
	;;#ASMSTART
	v_dot2_f32_f16 v1, v51, v59, v1
	;;#ASMEND
	;; [unrolled: 13-line block ×5, first 2 shown]
	;;#ASMSTART
	v_dot2_f32_f16 v5, v80, v56, v5
	;;#ASMEND
	;;#ASMSTART
	v_dot2_f32_f16 v5, v81, v57, v5
	;;#ASMEND
	;; [unrolled: 3-line block ×12, first 2 shown]
	ds_load_b128 v[48:51], v105 offset:48
	ds_load_b128 v[52:55], v75 offset:17456
	;; [unrolled: 1-line block ×6, first 2 shown]
	s_wait_dscnt 0x4
	;;#ASMSTART
	v_dot2_f32_f16 v0, v48, v52, v0
	;;#ASMEND
	;;#ASMSTART
	v_dot2_f32_f16 v0, v49, v53, v0
	;;#ASMEND
	;;#ASMSTART
	v_dot2_f32_f16 v0, v50, v54, v0
	;;#ASMEND
	;;#ASMSTART
	v_dot2_f32_f16 v0, v51, v55, v0
	;;#ASMEND
	s_wait_dscnt 0x3
	;;#ASMSTART
	v_dot2_f32_f16 v1, v48, v56, v1
	;;#ASMEND
	;;#ASMSTART
	v_dot2_f32_f16 v1, v49, v57, v1
	;;#ASMEND
	;;#ASMSTART
	v_dot2_f32_f16 v1, v50, v58, v1
	;;#ASMEND
	;;#ASMSTART
	v_dot2_f32_f16 v1, v51, v59, v1
	;;#ASMEND
	;; [unrolled: 13-line block ×5, first 2 shown]
	;;#ASMSTART
	v_dot2_f32_f16 v5, v80, v56, v5
	;;#ASMEND
	;;#ASMSTART
	v_dot2_f32_f16 v5, v81, v57, v5
	;;#ASMEND
	;; [unrolled: 3-line block ×12, first 2 shown]
	ds_load_b128 v[48:51], v105 offset:64
	ds_load_b128 v[52:55], v75 offset:17472
	;; [unrolled: 1-line block ×6, first 2 shown]
	s_wait_dscnt 0x4
	;;#ASMSTART
	v_dot2_f32_f16 v0, v48, v52, v0
	;;#ASMEND
	;;#ASMSTART
	v_dot2_f32_f16 v0, v49, v53, v0
	;;#ASMEND
	;;#ASMSTART
	v_dot2_f32_f16 v0, v50, v54, v0
	;;#ASMEND
	;;#ASMSTART
	v_dot2_f32_f16 v0, v51, v55, v0
	;;#ASMEND
	s_wait_dscnt 0x3
	;;#ASMSTART
	v_dot2_f32_f16 v1, v48, v56, v1
	;;#ASMEND
	;;#ASMSTART
	v_dot2_f32_f16 v1, v49, v57, v1
	;;#ASMEND
	;;#ASMSTART
	v_dot2_f32_f16 v1, v50, v58, v1
	;;#ASMEND
	;;#ASMSTART
	v_dot2_f32_f16 v1, v51, v59, v1
	;;#ASMEND
	;; [unrolled: 13-line block ×5, first 2 shown]
	;;#ASMSTART
	v_dot2_f32_f16 v5, v80, v56, v5
	;;#ASMEND
	;;#ASMSTART
	v_dot2_f32_f16 v5, v81, v57, v5
	;;#ASMEND
	;; [unrolled: 3-line block ×12, first 2 shown]
	ds_load_b128 v[48:51], v105 offset:80
	ds_load_b128 v[52:55], v75 offset:17488
	;; [unrolled: 1-line block ×6, first 2 shown]
	s_wait_dscnt 0x4
	;;#ASMSTART
	v_dot2_f32_f16 v0, v48, v52, v0
	;;#ASMEND
	;;#ASMSTART
	v_dot2_f32_f16 v0, v49, v53, v0
	;;#ASMEND
	;;#ASMSTART
	v_dot2_f32_f16 v0, v50, v54, v0
	;;#ASMEND
	;;#ASMSTART
	v_dot2_f32_f16 v0, v51, v55, v0
	;;#ASMEND
	s_wait_dscnt 0x3
	;;#ASMSTART
	v_dot2_f32_f16 v1, v48, v56, v1
	;;#ASMEND
	;;#ASMSTART
	v_dot2_f32_f16 v1, v49, v57, v1
	;;#ASMEND
	;;#ASMSTART
	v_dot2_f32_f16 v1, v50, v58, v1
	;;#ASMEND
	;;#ASMSTART
	v_dot2_f32_f16 v1, v51, v59, v1
	;;#ASMEND
	;; [unrolled: 13-line block ×5, first 2 shown]
	;;#ASMSTART
	v_dot2_f32_f16 v5, v80, v56, v5
	;;#ASMEND
	;;#ASMSTART
	v_dot2_f32_f16 v5, v81, v57, v5
	;;#ASMEND
	;; [unrolled: 3-line block ×12, first 2 shown]
	ds_load_b128 v[48:51], v105 offset:96
	ds_load_b128 v[52:55], v75 offset:17504
	;; [unrolled: 1-line block ×6, first 2 shown]
	s_wait_dscnt 0x4
	;;#ASMSTART
	v_dot2_f32_f16 v0, v48, v52, v0
	;;#ASMEND
	;;#ASMSTART
	v_dot2_f32_f16 v0, v49, v53, v0
	;;#ASMEND
	;;#ASMSTART
	v_dot2_f32_f16 v0, v50, v54, v0
	;;#ASMEND
	;;#ASMSTART
	v_dot2_f32_f16 v0, v51, v55, v0
	;;#ASMEND
	s_wait_dscnt 0x3
	;;#ASMSTART
	v_dot2_f32_f16 v1, v48, v56, v1
	;;#ASMEND
	;;#ASMSTART
	v_dot2_f32_f16 v1, v49, v57, v1
	;;#ASMEND
	;;#ASMSTART
	v_dot2_f32_f16 v1, v50, v58, v1
	;;#ASMEND
	;;#ASMSTART
	v_dot2_f32_f16 v1, v51, v59, v1
	;;#ASMEND
	;; [unrolled: 13-line block ×5, first 2 shown]
	;;#ASMSTART
	v_dot2_f32_f16 v5, v80, v56, v5
	;;#ASMEND
	;;#ASMSTART
	v_dot2_f32_f16 v5, v81, v57, v5
	;;#ASMEND
	;; [unrolled: 3-line block ×12, first 2 shown]
	ds_load_b128 v[48:51], v105 offset:112
	ds_load_b128 v[52:55], v75 offset:17520
	;; [unrolled: 1-line block ×6, first 2 shown]
	s_wait_dscnt 0x4
	;;#ASMSTART
	v_dot2_f32_f16 v0, v48, v52, v0
	;;#ASMEND
	;;#ASMSTART
	v_dot2_f32_f16 v0, v49, v53, v0
	;;#ASMEND
	;;#ASMSTART
	v_dot2_f32_f16 v0, v50, v54, v0
	;;#ASMEND
	;;#ASMSTART
	v_dot2_f32_f16 v0, v51, v55, v0
	;;#ASMEND
	s_wait_dscnt 0x3
	;;#ASMSTART
	v_dot2_f32_f16 v1, v48, v56, v1
	;;#ASMEND
	;;#ASMSTART
	v_dot2_f32_f16 v1, v49, v57, v1
	;;#ASMEND
	;;#ASMSTART
	v_dot2_f32_f16 v1, v50, v58, v1
	;;#ASMEND
	;;#ASMSTART
	v_dot2_f32_f16 v1, v51, v59, v1
	;;#ASMEND
	;; [unrolled: 13-line block ×5, first 2 shown]
	;;#ASMSTART
	v_dot2_f32_f16 v5, v80, v56, v5
	;;#ASMEND
	;;#ASMSTART
	v_dot2_f32_f16 v5, v81, v57, v5
	;;#ASMEND
	;; [unrolled: 3-line block ×12, first 2 shown]
	ds_load_b128 v[48:51], v105 offset:128
	ds_load_b128 v[52:55], v75 offset:17536
	;; [unrolled: 1-line block ×6, first 2 shown]
	s_wait_dscnt 0x4
	;;#ASMSTART
	v_dot2_f32_f16 v0, v48, v52, v0
	;;#ASMEND
	;;#ASMSTART
	v_dot2_f32_f16 v0, v49, v53, v0
	;;#ASMEND
	;;#ASMSTART
	v_dot2_f32_f16 v0, v50, v54, v0
	;;#ASMEND
	;;#ASMSTART
	v_dot2_f32_f16 v0, v51, v55, v0
	;;#ASMEND
	s_wait_dscnt 0x3
	;;#ASMSTART
	v_dot2_f32_f16 v1, v48, v56, v1
	;;#ASMEND
	;;#ASMSTART
	v_dot2_f32_f16 v1, v49, v57, v1
	;;#ASMEND
	;;#ASMSTART
	v_dot2_f32_f16 v1, v50, v58, v1
	;;#ASMEND
	;;#ASMSTART
	v_dot2_f32_f16 v1, v51, v59, v1
	;;#ASMEND
	;; [unrolled: 13-line block ×5, first 2 shown]
	;;#ASMSTART
	v_dot2_f32_f16 v5, v80, v56, v5
	;;#ASMEND
	;;#ASMSTART
	v_dot2_f32_f16 v5, v81, v57, v5
	;;#ASMEND
	;; [unrolled: 3-line block ×12, first 2 shown]
	ds_load_b128 v[48:51], v105 offset:144
	ds_load_b128 v[52:55], v75 offset:17552
	ds_load_b128 v[56:59], v75 offset:18064
	ds_load_b128 v[60:63], v75 offset:18576
	ds_load_b128 v[64:67], v75 offset:19088
	ds_load_b128 v[80:83], v105 offset:8848
	s_wait_dscnt 0x4
	;;#ASMSTART
	v_dot2_f32_f16 v0, v48, v52, v0
	;;#ASMEND
	;;#ASMSTART
	v_dot2_f32_f16 v0, v49, v53, v0
	;;#ASMEND
	;;#ASMSTART
	v_dot2_f32_f16 v0, v50, v54, v0
	;;#ASMEND
	;;#ASMSTART
	v_dot2_f32_f16 v0, v51, v55, v0
	;;#ASMEND
	s_wait_dscnt 0x3
	;;#ASMSTART
	v_dot2_f32_f16 v1, v48, v56, v1
	;;#ASMEND
	;;#ASMSTART
	v_dot2_f32_f16 v1, v49, v57, v1
	;;#ASMEND
	;;#ASMSTART
	v_dot2_f32_f16 v1, v50, v58, v1
	;;#ASMEND
	;;#ASMSTART
	v_dot2_f32_f16 v1, v51, v59, v1
	;;#ASMEND
	;; [unrolled: 13-line block ×5, first 2 shown]
	;;#ASMSTART
	v_dot2_f32_f16 v5, v80, v56, v5
	;;#ASMEND
	;;#ASMSTART
	v_dot2_f32_f16 v5, v81, v57, v5
	;;#ASMEND
	;; [unrolled: 3-line block ×12, first 2 shown]
	ds_load_b128 v[48:51], v105 offset:160
	ds_load_b128 v[52:55], v75 offset:17568
	;; [unrolled: 1-line block ×6, first 2 shown]
	s_wait_dscnt 0x4
	;;#ASMSTART
	v_dot2_f32_f16 v0, v48, v52, v0
	;;#ASMEND
	;;#ASMSTART
	v_dot2_f32_f16 v0, v49, v53, v0
	;;#ASMEND
	;;#ASMSTART
	v_dot2_f32_f16 v0, v50, v54, v0
	;;#ASMEND
	;;#ASMSTART
	v_dot2_f32_f16 v0, v51, v55, v0
	;;#ASMEND
	s_wait_dscnt 0x3
	;;#ASMSTART
	v_dot2_f32_f16 v1, v48, v56, v1
	;;#ASMEND
	;;#ASMSTART
	v_dot2_f32_f16 v1, v49, v57, v1
	;;#ASMEND
	;;#ASMSTART
	v_dot2_f32_f16 v1, v50, v58, v1
	;;#ASMEND
	;;#ASMSTART
	v_dot2_f32_f16 v1, v51, v59, v1
	;;#ASMEND
	;; [unrolled: 13-line block ×5, first 2 shown]
	;;#ASMSTART
	v_dot2_f32_f16 v5, v80, v56, v5
	;;#ASMEND
	;;#ASMSTART
	v_dot2_f32_f16 v5, v81, v57, v5
	;;#ASMEND
	;; [unrolled: 3-line block ×12, first 2 shown]
	ds_load_b128 v[48:51], v105 offset:176
	ds_load_b128 v[52:55], v75 offset:17584
	;; [unrolled: 1-line block ×6, first 2 shown]
	s_wait_dscnt 0x4
	;;#ASMSTART
	v_dot2_f32_f16 v0, v48, v52, v0
	;;#ASMEND
	;;#ASMSTART
	v_dot2_f32_f16 v0, v49, v53, v0
	;;#ASMEND
	;;#ASMSTART
	v_dot2_f32_f16 v0, v50, v54, v0
	;;#ASMEND
	;;#ASMSTART
	v_dot2_f32_f16 v0, v51, v55, v0
	;;#ASMEND
	s_wait_dscnt 0x3
	;;#ASMSTART
	v_dot2_f32_f16 v1, v48, v56, v1
	;;#ASMEND
	;;#ASMSTART
	v_dot2_f32_f16 v1, v49, v57, v1
	;;#ASMEND
	;;#ASMSTART
	v_dot2_f32_f16 v1, v50, v58, v1
	;;#ASMEND
	;;#ASMSTART
	v_dot2_f32_f16 v1, v51, v59, v1
	;;#ASMEND
	;; [unrolled: 13-line block ×5, first 2 shown]
	;;#ASMSTART
	v_dot2_f32_f16 v5, v80, v56, v5
	;;#ASMEND
	;;#ASMSTART
	v_dot2_f32_f16 v5, v81, v57, v5
	;;#ASMEND
	;; [unrolled: 3-line block ×12, first 2 shown]
	ds_load_b128 v[48:51], v105 offset:192
	ds_load_b128 v[52:55], v75 offset:17600
	;; [unrolled: 1-line block ×6, first 2 shown]
	s_wait_dscnt 0x4
	;;#ASMSTART
	v_dot2_f32_f16 v0, v48, v52, v0
	;;#ASMEND
	;;#ASMSTART
	v_dot2_f32_f16 v0, v49, v53, v0
	;;#ASMEND
	;;#ASMSTART
	v_dot2_f32_f16 v0, v50, v54, v0
	;;#ASMEND
	;;#ASMSTART
	v_dot2_f32_f16 v0, v51, v55, v0
	;;#ASMEND
	s_wait_dscnt 0x3
	;;#ASMSTART
	v_dot2_f32_f16 v1, v48, v56, v1
	;;#ASMEND
	;;#ASMSTART
	v_dot2_f32_f16 v1, v49, v57, v1
	;;#ASMEND
	;;#ASMSTART
	v_dot2_f32_f16 v1, v50, v58, v1
	;;#ASMEND
	;;#ASMSTART
	v_dot2_f32_f16 v1, v51, v59, v1
	;;#ASMEND
	;; [unrolled: 13-line block ×5, first 2 shown]
	;;#ASMSTART
	v_dot2_f32_f16 v5, v80, v56, v5
	;;#ASMEND
	;;#ASMSTART
	v_dot2_f32_f16 v5, v81, v57, v5
	;;#ASMEND
	;; [unrolled: 3-line block ×12, first 2 shown]
	ds_load_b128 v[48:51], v105 offset:208
	ds_load_b128 v[52:55], v75 offset:17616
	;; [unrolled: 1-line block ×6, first 2 shown]
	s_wait_dscnt 0x4
	;;#ASMSTART
	v_dot2_f32_f16 v0, v48, v52, v0
	;;#ASMEND
	;;#ASMSTART
	v_dot2_f32_f16 v0, v49, v53, v0
	;;#ASMEND
	;;#ASMSTART
	v_dot2_f32_f16 v0, v50, v54, v0
	;;#ASMEND
	;;#ASMSTART
	v_dot2_f32_f16 v0, v51, v55, v0
	;;#ASMEND
	s_wait_dscnt 0x3
	;;#ASMSTART
	v_dot2_f32_f16 v1, v48, v56, v1
	;;#ASMEND
	;;#ASMSTART
	v_dot2_f32_f16 v1, v49, v57, v1
	;;#ASMEND
	;;#ASMSTART
	v_dot2_f32_f16 v1, v50, v58, v1
	;;#ASMEND
	;;#ASMSTART
	v_dot2_f32_f16 v1, v51, v59, v1
	;;#ASMEND
	s_wait_dscnt 0x2
	;;#ASMSTART
	v_dot2_f32_f16 v2, v48, v60, v2
	;;#ASMEND
	;;#ASMSTART
	v_dot2_f32_f16 v2, v49, v61, v2
	;;#ASMEND
	;;#ASMSTART
	v_dot2_f32_f16 v2, v50, v62, v2
	;;#ASMEND
	;;#ASMSTART
	v_dot2_f32_f16 v2, v51, v63, v2
	;;#ASMEND
	s_wait_dscnt 0x1
	;;#ASMSTART
	v_dot2_f32_f16 v3, v48, v64, v3
	;;#ASMEND
	;;#ASMSTART
	v_dot2_f32_f16 v3, v49, v65, v3
	;;#ASMEND
	;;#ASMSTART
	v_dot2_f32_f16 v3, v50, v66, v3
	;;#ASMEND
	;;#ASMSTART
	v_dot2_f32_f16 v3, v51, v67, v3
	;;#ASMEND
	s_wait_dscnt 0x0
	;;#ASMSTART
	v_dot2_f32_f16 v4, v80, v52, v4
	;;#ASMEND
	;;#ASMSTART
	v_dot2_f32_f16 v4, v81, v53, v4
	;;#ASMEND
	;;#ASMSTART
	v_dot2_f32_f16 v4, v82, v54, v4
	;;#ASMEND
	;;#ASMSTART
	v_dot2_f32_f16 v4, v83, v55, v4
	;;#ASMEND
	;;#ASMSTART
	v_dot2_f32_f16 v5, v80, v56, v5
	;;#ASMEND
	;;#ASMSTART
	v_dot2_f32_f16 v5, v81, v57, v5
	;;#ASMEND
	;; [unrolled: 3-line block ×12, first 2 shown]
	ds_load_b128 v[48:51], v105 offset:224
	ds_load_b128 v[52:55], v75 offset:17632
	;; [unrolled: 1-line block ×6, first 2 shown]
	s_wait_dscnt 0x4
	;;#ASMSTART
	v_dot2_f32_f16 v0, v48, v52, v0
	;;#ASMEND
	;;#ASMSTART
	v_dot2_f32_f16 v0, v49, v53, v0
	;;#ASMEND
	;;#ASMSTART
	v_dot2_f32_f16 v0, v50, v54, v0
	;;#ASMEND
	;;#ASMSTART
	v_dot2_f32_f16 v0, v51, v55, v0
	;;#ASMEND
	s_wait_dscnt 0x3
	;;#ASMSTART
	v_dot2_f32_f16 v1, v48, v56, v1
	;;#ASMEND
	;;#ASMSTART
	v_dot2_f32_f16 v1, v49, v57, v1
	;;#ASMEND
	;;#ASMSTART
	v_dot2_f32_f16 v1, v50, v58, v1
	;;#ASMEND
	;;#ASMSTART
	v_dot2_f32_f16 v1, v51, v59, v1
	;;#ASMEND
	;; [unrolled: 13-line block ×5, first 2 shown]
	;;#ASMSTART
	v_dot2_f32_f16 v5, v80, v56, v5
	;;#ASMEND
	;;#ASMSTART
	v_dot2_f32_f16 v5, v81, v57, v5
	;;#ASMEND
	;; [unrolled: 3-line block ×12, first 2 shown]
	ds_load_b128 v[48:51], v105 offset:240
	ds_load_b128 v[52:55], v75 offset:17648
	;; [unrolled: 1-line block ×6, first 2 shown]
	s_wait_dscnt 0x4
	;;#ASMSTART
	v_dot2_f32_f16 v0, v48, v52, v0
	;;#ASMEND
	;;#ASMSTART
	v_dot2_f32_f16 v0, v49, v53, v0
	;;#ASMEND
	;;#ASMSTART
	v_dot2_f32_f16 v0, v50, v54, v0
	;;#ASMEND
	;;#ASMSTART
	v_dot2_f32_f16 v0, v51, v55, v0
	;;#ASMEND
	s_wait_dscnt 0x3
	;;#ASMSTART
	v_dot2_f32_f16 v1, v48, v56, v1
	;;#ASMEND
	;;#ASMSTART
	v_dot2_f32_f16 v1, v49, v57, v1
	;;#ASMEND
	;;#ASMSTART
	v_dot2_f32_f16 v1, v50, v58, v1
	;;#ASMEND
	;;#ASMSTART
	v_dot2_f32_f16 v1, v51, v59, v1
	;;#ASMEND
	;; [unrolled: 13-line block ×5, first 2 shown]
	;;#ASMSTART
	v_dot2_f32_f16 v5, v80, v56, v5
	;;#ASMEND
	;;#ASMSTART
	v_dot2_f32_f16 v5, v81, v57, v5
	;;#ASMEND
	;; [unrolled: 3-line block ×12, first 2 shown]
	s_barrier_signal -1
	s_barrier_wait -1
	s_clause 0x1
	scratch_store_b32 off, v21, off
	scratch_store_b96 off, v[16:18], off offset:4
	flat_load_b128 v[48:51], v[30:31]
	s_clause 0x1
	scratch_store_b32 off, v21, off
	scratch_store_b96 off, v[16:18], off offset:4
	s_wait_loadcnt_dscnt 0x0
	ds_store_b128 v19, v[48:51]
	flat_load_b128 v[48:51], v[24:25]
	s_wait_xcnt 0x0
	v_add_nc_u64_e32 v[24:25], 0x100, v[26:27]
	s_clause 0x1
	scratch_store_b32 off, v21, off
	scratch_store_b96 off, v[16:18], off offset:4
	v_dual_cndmask_b32 v25, v23, v25, s2 :: v_dual_cndmask_b32 v24, v22, v24, s2
	v_dual_cndmask_b32 v23, v23, v29, s3 :: v_dual_cndmask_b32 v22, v22, v28, s3
	s_cselect_b32 s3, -1, 0
	v_cmp_gt_i32_e64 s2, s38, v136
	s_wait_loadcnt_dscnt 0x0
	ds_store_b128 v19, v[48:51] offset:4352
	flat_load_b128 v[24:27], v[24:25]
	s_clause 0x1
	scratch_store_b32 off, v21, off
	scratch_store_b96 off, v[16:18], off offset:4
	s_wait_loadcnt_dscnt 0x0
	ds_store_b128 v19, v[24:27] offset:8704
	flat_load_b128 v[22:25], v[22:23]
	s_wait_loadcnt_dscnt 0x0
	ds_store_b128 v19, v[22:25] offset:13056
	s_wait_storecnt_dscnt 0x0
	s_barrier_signal -1
	s_barrier_wait -1
	s_wait_xcnt 0x1
	ds_load_b128 v[16:19], v105
	s_wait_xcnt 0x0
	ds_load_b128 v[22:25], v75 offset:17664
	ds_load_b128 v[26:29], v75 offset:18176
	;; [unrolled: 1-line block ×5, first 2 shown]
	s_wait_dscnt 0x4
	;;#ASMSTART
	v_dot2_f32_f16 v0, v16, v22, v0
	;;#ASMEND
	;;#ASMSTART
	v_dot2_f32_f16 v0, v17, v23, v0
	;;#ASMEND
	;;#ASMSTART
	v_dot2_f32_f16 v0, v18, v24, v0
	;;#ASMEND
	;;#ASMSTART
	v_dot2_f32_f16 v0, v19, v25, v0
	;;#ASMEND
	s_wait_dscnt 0x3
	;;#ASMSTART
	v_dot2_f32_f16 v1, v16, v26, v1
	;;#ASMEND
	;;#ASMSTART
	v_dot2_f32_f16 v1, v17, v27, v1
	;;#ASMEND
	;;#ASMSTART
	v_dot2_f32_f16 v1, v18, v28, v1
	;;#ASMEND
	;;#ASMSTART
	v_dot2_f32_f16 v1, v19, v29, v1
	;;#ASMEND
	;; [unrolled: 13-line block ×5, first 2 shown]
	;;#ASMSTART
	v_dot2_f32_f16 v5, v56, v26, v5
	;;#ASMEND
	;;#ASMSTART
	v_dot2_f32_f16 v5, v57, v27, v5
	;;#ASMEND
	;; [unrolled: 3-line block ×12, first 2 shown]
	ds_load_b128 v[16:19], v105 offset:16
	ds_load_b128 v[22:25], v75 offset:17680
	;; [unrolled: 1-line block ×6, first 2 shown]
	s_wait_dscnt 0x4
	;;#ASMSTART
	v_dot2_f32_f16 v0, v16, v22, v0
	;;#ASMEND
	;;#ASMSTART
	v_dot2_f32_f16 v0, v17, v23, v0
	;;#ASMEND
	;;#ASMSTART
	v_dot2_f32_f16 v0, v18, v24, v0
	;;#ASMEND
	;;#ASMSTART
	v_dot2_f32_f16 v0, v19, v25, v0
	;;#ASMEND
	s_wait_dscnt 0x3
	;;#ASMSTART
	v_dot2_f32_f16 v1, v16, v26, v1
	;;#ASMEND
	;;#ASMSTART
	v_dot2_f32_f16 v1, v17, v27, v1
	;;#ASMEND
	;;#ASMSTART
	v_dot2_f32_f16 v1, v18, v28, v1
	;;#ASMEND
	;;#ASMSTART
	v_dot2_f32_f16 v1, v19, v29, v1
	;;#ASMEND
	;; [unrolled: 13-line block ×5, first 2 shown]
	;;#ASMSTART
	v_dot2_f32_f16 v5, v56, v26, v5
	;;#ASMEND
	;;#ASMSTART
	v_dot2_f32_f16 v5, v57, v27, v5
	;;#ASMEND
	;; [unrolled: 3-line block ×12, first 2 shown]
	ds_load_b128 v[16:19], v105 offset:32
	ds_load_b128 v[22:25], v75 offset:17696
	;; [unrolled: 1-line block ×6, first 2 shown]
	s_wait_dscnt 0x4
	;;#ASMSTART
	v_dot2_f32_f16 v0, v16, v22, v0
	;;#ASMEND
	;;#ASMSTART
	v_dot2_f32_f16 v0, v17, v23, v0
	;;#ASMEND
	;;#ASMSTART
	v_dot2_f32_f16 v0, v18, v24, v0
	;;#ASMEND
	;;#ASMSTART
	v_dot2_f32_f16 v0, v19, v25, v0
	;;#ASMEND
	s_wait_dscnt 0x3
	;;#ASMSTART
	v_dot2_f32_f16 v1, v16, v26, v1
	;;#ASMEND
	;;#ASMSTART
	v_dot2_f32_f16 v1, v17, v27, v1
	;;#ASMEND
	;;#ASMSTART
	v_dot2_f32_f16 v1, v18, v28, v1
	;;#ASMEND
	;;#ASMSTART
	v_dot2_f32_f16 v1, v19, v29, v1
	;;#ASMEND
	s_wait_dscnt 0x2
	;;#ASMSTART
	v_dot2_f32_f16 v2, v16, v48, v2
	;;#ASMEND
	;;#ASMSTART
	v_dot2_f32_f16 v2, v17, v49, v2
	;;#ASMEND
	;;#ASMSTART
	v_dot2_f32_f16 v2, v18, v50, v2
	;;#ASMEND
	;;#ASMSTART
	v_dot2_f32_f16 v2, v19, v51, v2
	;;#ASMEND
	s_wait_dscnt 0x1
	;;#ASMSTART
	v_dot2_f32_f16 v3, v16, v52, v3
	;;#ASMEND
	;;#ASMSTART
	v_dot2_f32_f16 v3, v17, v53, v3
	;;#ASMEND
	;;#ASMSTART
	v_dot2_f32_f16 v3, v18, v54, v3
	;;#ASMEND
	;;#ASMSTART
	v_dot2_f32_f16 v3, v19, v55, v3
	;;#ASMEND
	s_wait_dscnt 0x0
	;;#ASMSTART
	v_dot2_f32_f16 v4, v56, v22, v4
	;;#ASMEND
	;;#ASMSTART
	v_dot2_f32_f16 v4, v57, v23, v4
	;;#ASMEND
	;;#ASMSTART
	v_dot2_f32_f16 v4, v58, v24, v4
	;;#ASMEND
	;;#ASMSTART
	v_dot2_f32_f16 v4, v59, v25, v4
	;;#ASMEND
	;;#ASMSTART
	v_dot2_f32_f16 v5, v56, v26, v5
	;;#ASMEND
	;;#ASMSTART
	v_dot2_f32_f16 v5, v57, v27, v5
	;;#ASMEND
	;; [unrolled: 3-line block ×12, first 2 shown]
	ds_load_b128 v[16:19], v105 offset:48
	ds_load_b128 v[22:25], v75 offset:17712
	;; [unrolled: 1-line block ×6, first 2 shown]
	s_wait_dscnt 0x4
	;;#ASMSTART
	v_dot2_f32_f16 v0, v16, v22, v0
	;;#ASMEND
	;;#ASMSTART
	v_dot2_f32_f16 v0, v17, v23, v0
	;;#ASMEND
	;;#ASMSTART
	v_dot2_f32_f16 v0, v18, v24, v0
	;;#ASMEND
	;;#ASMSTART
	v_dot2_f32_f16 v0, v19, v25, v0
	;;#ASMEND
	s_wait_dscnt 0x3
	;;#ASMSTART
	v_dot2_f32_f16 v1, v16, v26, v1
	;;#ASMEND
	;;#ASMSTART
	v_dot2_f32_f16 v1, v17, v27, v1
	;;#ASMEND
	;;#ASMSTART
	v_dot2_f32_f16 v1, v18, v28, v1
	;;#ASMEND
	;;#ASMSTART
	v_dot2_f32_f16 v1, v19, v29, v1
	;;#ASMEND
	;; [unrolled: 13-line block ×5, first 2 shown]
	;;#ASMSTART
	v_dot2_f32_f16 v5, v56, v26, v5
	;;#ASMEND
	;;#ASMSTART
	v_dot2_f32_f16 v5, v57, v27, v5
	;;#ASMEND
	;; [unrolled: 3-line block ×12, first 2 shown]
	ds_load_b128 v[16:19], v105 offset:64
	ds_load_b128 v[22:25], v75 offset:17728
	;; [unrolled: 1-line block ×6, first 2 shown]
	s_wait_dscnt 0x4
	;;#ASMSTART
	v_dot2_f32_f16 v0, v16, v22, v0
	;;#ASMEND
	;;#ASMSTART
	v_dot2_f32_f16 v0, v17, v23, v0
	;;#ASMEND
	;;#ASMSTART
	v_dot2_f32_f16 v0, v18, v24, v0
	;;#ASMEND
	;;#ASMSTART
	v_dot2_f32_f16 v0, v19, v25, v0
	;;#ASMEND
	s_wait_dscnt 0x3
	;;#ASMSTART
	v_dot2_f32_f16 v1, v16, v26, v1
	;;#ASMEND
	;;#ASMSTART
	v_dot2_f32_f16 v1, v17, v27, v1
	;;#ASMEND
	;;#ASMSTART
	v_dot2_f32_f16 v1, v18, v28, v1
	;;#ASMEND
	;;#ASMSTART
	v_dot2_f32_f16 v1, v19, v29, v1
	;;#ASMEND
	;; [unrolled: 13-line block ×5, first 2 shown]
	;;#ASMSTART
	v_dot2_f32_f16 v5, v56, v26, v5
	;;#ASMEND
	;;#ASMSTART
	v_dot2_f32_f16 v5, v57, v27, v5
	;;#ASMEND
	;; [unrolled: 3-line block ×12, first 2 shown]
	ds_load_b128 v[16:19], v105 offset:80
	ds_load_b128 v[22:25], v75 offset:17744
	;; [unrolled: 1-line block ×6, first 2 shown]
	s_wait_dscnt 0x4
	;;#ASMSTART
	v_dot2_f32_f16 v0, v16, v22, v0
	;;#ASMEND
	;;#ASMSTART
	v_dot2_f32_f16 v0, v17, v23, v0
	;;#ASMEND
	;;#ASMSTART
	v_dot2_f32_f16 v0, v18, v24, v0
	;;#ASMEND
	;;#ASMSTART
	v_dot2_f32_f16 v0, v19, v25, v0
	;;#ASMEND
	s_wait_dscnt 0x3
	;;#ASMSTART
	v_dot2_f32_f16 v1, v16, v26, v1
	;;#ASMEND
	;;#ASMSTART
	v_dot2_f32_f16 v1, v17, v27, v1
	;;#ASMEND
	;;#ASMSTART
	v_dot2_f32_f16 v1, v18, v28, v1
	;;#ASMEND
	;;#ASMSTART
	v_dot2_f32_f16 v1, v19, v29, v1
	;;#ASMEND
	;; [unrolled: 13-line block ×5, first 2 shown]
	;;#ASMSTART
	v_dot2_f32_f16 v5, v56, v26, v5
	;;#ASMEND
	;;#ASMSTART
	v_dot2_f32_f16 v5, v57, v27, v5
	;;#ASMEND
	;; [unrolled: 3-line block ×12, first 2 shown]
	ds_load_b128 v[16:19], v105 offset:96
	ds_load_b128 v[22:25], v75 offset:17760
	;; [unrolled: 1-line block ×6, first 2 shown]
	s_wait_dscnt 0x4
	;;#ASMSTART
	v_dot2_f32_f16 v0, v16, v22, v0
	;;#ASMEND
	;;#ASMSTART
	v_dot2_f32_f16 v0, v17, v23, v0
	;;#ASMEND
	;;#ASMSTART
	v_dot2_f32_f16 v0, v18, v24, v0
	;;#ASMEND
	;;#ASMSTART
	v_dot2_f32_f16 v0, v19, v25, v0
	;;#ASMEND
	s_wait_dscnt 0x3
	;;#ASMSTART
	v_dot2_f32_f16 v1, v16, v26, v1
	;;#ASMEND
	;;#ASMSTART
	v_dot2_f32_f16 v1, v17, v27, v1
	;;#ASMEND
	;;#ASMSTART
	v_dot2_f32_f16 v1, v18, v28, v1
	;;#ASMEND
	;;#ASMSTART
	v_dot2_f32_f16 v1, v19, v29, v1
	;;#ASMEND
	;; [unrolled: 13-line block ×5, first 2 shown]
	;;#ASMSTART
	v_dot2_f32_f16 v5, v56, v26, v5
	;;#ASMEND
	;;#ASMSTART
	v_dot2_f32_f16 v5, v57, v27, v5
	;;#ASMEND
	;; [unrolled: 3-line block ×12, first 2 shown]
	ds_load_b128 v[16:19], v105 offset:112
	ds_load_b128 v[22:25], v75 offset:17776
	;; [unrolled: 1-line block ×6, first 2 shown]
	s_wait_dscnt 0x4
	;;#ASMSTART
	v_dot2_f32_f16 v0, v16, v22, v0
	;;#ASMEND
	;;#ASMSTART
	v_dot2_f32_f16 v0, v17, v23, v0
	;;#ASMEND
	;;#ASMSTART
	v_dot2_f32_f16 v0, v18, v24, v0
	;;#ASMEND
	;;#ASMSTART
	v_dot2_f32_f16 v0, v19, v25, v0
	;;#ASMEND
	s_wait_dscnt 0x3
	;;#ASMSTART
	v_dot2_f32_f16 v1, v16, v26, v1
	;;#ASMEND
	;;#ASMSTART
	v_dot2_f32_f16 v1, v17, v27, v1
	;;#ASMEND
	;;#ASMSTART
	v_dot2_f32_f16 v1, v18, v28, v1
	;;#ASMEND
	;;#ASMSTART
	v_dot2_f32_f16 v1, v19, v29, v1
	;;#ASMEND
	;; [unrolled: 13-line block ×5, first 2 shown]
	;;#ASMSTART
	v_dot2_f32_f16 v5, v56, v26, v5
	;;#ASMEND
	;;#ASMSTART
	v_dot2_f32_f16 v5, v57, v27, v5
	;;#ASMEND
	;; [unrolled: 3-line block ×12, first 2 shown]
	ds_load_b128 v[16:19], v105 offset:128
	ds_load_b128 v[22:25], v75 offset:17792
	;; [unrolled: 1-line block ×6, first 2 shown]
	s_wait_dscnt 0x4
	;;#ASMSTART
	v_dot2_f32_f16 v0, v16, v22, v0
	;;#ASMEND
	;;#ASMSTART
	v_dot2_f32_f16 v0, v17, v23, v0
	;;#ASMEND
	;;#ASMSTART
	v_dot2_f32_f16 v0, v18, v24, v0
	;;#ASMEND
	;;#ASMSTART
	v_dot2_f32_f16 v0, v19, v25, v0
	;;#ASMEND
	s_wait_dscnt 0x3
	;;#ASMSTART
	v_dot2_f32_f16 v1, v16, v26, v1
	;;#ASMEND
	;;#ASMSTART
	v_dot2_f32_f16 v1, v17, v27, v1
	;;#ASMEND
	;;#ASMSTART
	v_dot2_f32_f16 v1, v18, v28, v1
	;;#ASMEND
	;;#ASMSTART
	v_dot2_f32_f16 v1, v19, v29, v1
	;;#ASMEND
	s_wait_dscnt 0x2
	;;#ASMSTART
	v_dot2_f32_f16 v2, v16, v48, v2
	;;#ASMEND
	;;#ASMSTART
	v_dot2_f32_f16 v2, v17, v49, v2
	;;#ASMEND
	;;#ASMSTART
	v_dot2_f32_f16 v2, v18, v50, v2
	;;#ASMEND
	;;#ASMSTART
	v_dot2_f32_f16 v2, v19, v51, v2
	;;#ASMEND
	s_wait_dscnt 0x1
	;;#ASMSTART
	v_dot2_f32_f16 v3, v16, v52, v3
	;;#ASMEND
	;;#ASMSTART
	v_dot2_f32_f16 v3, v17, v53, v3
	;;#ASMEND
	;;#ASMSTART
	v_dot2_f32_f16 v3, v18, v54, v3
	;;#ASMEND
	;;#ASMSTART
	v_dot2_f32_f16 v3, v19, v55, v3
	;;#ASMEND
	s_wait_dscnt 0x0
	;;#ASMSTART
	v_dot2_f32_f16 v4, v56, v22, v4
	;;#ASMEND
	;;#ASMSTART
	v_dot2_f32_f16 v4, v57, v23, v4
	;;#ASMEND
	;;#ASMSTART
	v_dot2_f32_f16 v4, v58, v24, v4
	;;#ASMEND
	;;#ASMSTART
	v_dot2_f32_f16 v4, v59, v25, v4
	;;#ASMEND
	;;#ASMSTART
	v_dot2_f32_f16 v5, v56, v26, v5
	;;#ASMEND
	;;#ASMSTART
	v_dot2_f32_f16 v5, v57, v27, v5
	;;#ASMEND
	;; [unrolled: 3-line block ×12, first 2 shown]
	ds_load_b128 v[16:19], v105 offset:144
	ds_load_b128 v[22:25], v75 offset:17808
	;; [unrolled: 1-line block ×6, first 2 shown]
	s_wait_dscnt 0x4
	;;#ASMSTART
	v_dot2_f32_f16 v0, v16, v22, v0
	;;#ASMEND
	;;#ASMSTART
	v_dot2_f32_f16 v0, v17, v23, v0
	;;#ASMEND
	;;#ASMSTART
	v_dot2_f32_f16 v0, v18, v24, v0
	;;#ASMEND
	;;#ASMSTART
	v_dot2_f32_f16 v0, v19, v25, v0
	;;#ASMEND
	s_wait_dscnt 0x3
	;;#ASMSTART
	v_dot2_f32_f16 v1, v16, v26, v1
	;;#ASMEND
	;;#ASMSTART
	v_dot2_f32_f16 v1, v17, v27, v1
	;;#ASMEND
	;;#ASMSTART
	v_dot2_f32_f16 v1, v18, v28, v1
	;;#ASMEND
	;;#ASMSTART
	v_dot2_f32_f16 v1, v19, v29, v1
	;;#ASMEND
	;; [unrolled: 13-line block ×5, first 2 shown]
	;;#ASMSTART
	v_dot2_f32_f16 v5, v56, v26, v5
	;;#ASMEND
	;;#ASMSTART
	v_dot2_f32_f16 v5, v57, v27, v5
	;;#ASMEND
	;; [unrolled: 3-line block ×12, first 2 shown]
	ds_load_b128 v[16:19], v105 offset:160
	ds_load_b128 v[22:25], v75 offset:17824
	;; [unrolled: 1-line block ×6, first 2 shown]
	s_wait_dscnt 0x4
	;;#ASMSTART
	v_dot2_f32_f16 v0, v16, v22, v0
	;;#ASMEND
	;;#ASMSTART
	v_dot2_f32_f16 v0, v17, v23, v0
	;;#ASMEND
	;;#ASMSTART
	v_dot2_f32_f16 v0, v18, v24, v0
	;;#ASMEND
	;;#ASMSTART
	v_dot2_f32_f16 v0, v19, v25, v0
	;;#ASMEND
	s_wait_dscnt 0x3
	;;#ASMSTART
	v_dot2_f32_f16 v1, v16, v26, v1
	;;#ASMEND
	;;#ASMSTART
	v_dot2_f32_f16 v1, v17, v27, v1
	;;#ASMEND
	;;#ASMSTART
	v_dot2_f32_f16 v1, v18, v28, v1
	;;#ASMEND
	;;#ASMSTART
	v_dot2_f32_f16 v1, v19, v29, v1
	;;#ASMEND
	;; [unrolled: 13-line block ×5, first 2 shown]
	;;#ASMSTART
	v_dot2_f32_f16 v5, v56, v26, v5
	;;#ASMEND
	;;#ASMSTART
	v_dot2_f32_f16 v5, v57, v27, v5
	;;#ASMEND
	;; [unrolled: 3-line block ×12, first 2 shown]
	ds_load_b128 v[16:19], v105 offset:176
	ds_load_b128 v[22:25], v75 offset:17840
	;; [unrolled: 1-line block ×6, first 2 shown]
	s_wait_dscnt 0x4
	;;#ASMSTART
	v_dot2_f32_f16 v0, v16, v22, v0
	;;#ASMEND
	;;#ASMSTART
	v_dot2_f32_f16 v0, v17, v23, v0
	;;#ASMEND
	;;#ASMSTART
	v_dot2_f32_f16 v0, v18, v24, v0
	;;#ASMEND
	;;#ASMSTART
	v_dot2_f32_f16 v0, v19, v25, v0
	;;#ASMEND
	s_wait_dscnt 0x3
	;;#ASMSTART
	v_dot2_f32_f16 v1, v16, v26, v1
	;;#ASMEND
	;;#ASMSTART
	v_dot2_f32_f16 v1, v17, v27, v1
	;;#ASMEND
	;;#ASMSTART
	v_dot2_f32_f16 v1, v18, v28, v1
	;;#ASMEND
	;;#ASMSTART
	v_dot2_f32_f16 v1, v19, v29, v1
	;;#ASMEND
	;; [unrolled: 13-line block ×5, first 2 shown]
	;;#ASMSTART
	v_dot2_f32_f16 v5, v56, v26, v5
	;;#ASMEND
	;;#ASMSTART
	v_dot2_f32_f16 v5, v57, v27, v5
	;;#ASMEND
	;; [unrolled: 3-line block ×12, first 2 shown]
	ds_load_b128 v[16:19], v105 offset:192
	ds_load_b128 v[22:25], v75 offset:17856
	;; [unrolled: 1-line block ×6, first 2 shown]
	s_wait_dscnt 0x4
	;;#ASMSTART
	v_dot2_f32_f16 v0, v16, v22, v0
	;;#ASMEND
	;;#ASMSTART
	v_dot2_f32_f16 v0, v17, v23, v0
	;;#ASMEND
	;;#ASMSTART
	v_dot2_f32_f16 v0, v18, v24, v0
	;;#ASMEND
	;;#ASMSTART
	v_dot2_f32_f16 v0, v19, v25, v0
	;;#ASMEND
	s_wait_dscnt 0x3
	;;#ASMSTART
	v_dot2_f32_f16 v1, v16, v26, v1
	;;#ASMEND
	;;#ASMSTART
	v_dot2_f32_f16 v1, v17, v27, v1
	;;#ASMEND
	;;#ASMSTART
	v_dot2_f32_f16 v1, v18, v28, v1
	;;#ASMEND
	;;#ASMSTART
	v_dot2_f32_f16 v1, v19, v29, v1
	;;#ASMEND
	;; [unrolled: 13-line block ×5, first 2 shown]
	;;#ASMSTART
	v_dot2_f32_f16 v5, v56, v26, v5
	;;#ASMEND
	;;#ASMSTART
	v_dot2_f32_f16 v5, v57, v27, v5
	;;#ASMEND
	;; [unrolled: 3-line block ×12, first 2 shown]
	ds_load_b128 v[16:19], v105 offset:208
	ds_load_b128 v[22:25], v75 offset:17872
	;; [unrolled: 1-line block ×6, first 2 shown]
	s_wait_dscnt 0x4
	;;#ASMSTART
	v_dot2_f32_f16 v0, v16, v22, v0
	;;#ASMEND
	;;#ASMSTART
	v_dot2_f32_f16 v0, v17, v23, v0
	;;#ASMEND
	;;#ASMSTART
	v_dot2_f32_f16 v0, v18, v24, v0
	;;#ASMEND
	;;#ASMSTART
	v_dot2_f32_f16 v0, v19, v25, v0
	;;#ASMEND
	s_wait_dscnt 0x3
	;;#ASMSTART
	v_dot2_f32_f16 v1, v16, v26, v1
	;;#ASMEND
	;;#ASMSTART
	v_dot2_f32_f16 v1, v17, v27, v1
	;;#ASMEND
	;;#ASMSTART
	v_dot2_f32_f16 v1, v18, v28, v1
	;;#ASMEND
	;;#ASMSTART
	v_dot2_f32_f16 v1, v19, v29, v1
	;;#ASMEND
	;; [unrolled: 13-line block ×5, first 2 shown]
	;;#ASMSTART
	v_dot2_f32_f16 v5, v56, v26, v5
	;;#ASMEND
	;;#ASMSTART
	v_dot2_f32_f16 v5, v57, v27, v5
	;;#ASMEND
	;;#ASMSTART
	v_dot2_f32_f16 v5, v58, v28, v5
	;;#ASMEND
	;;#ASMSTART
	v_dot2_f32_f16 v5, v59, v29, v5
	;;#ASMEND
	;;#ASMSTART
	v_dot2_f32_f16 v6, v56, v48, v6
	;;#ASMEND
	;;#ASMSTART
	v_dot2_f32_f16 v6, v57, v49, v6
	;;#ASMEND
	;;#ASMSTART
	v_dot2_f32_f16 v6, v58, v50, v6
	;;#ASMEND
	;;#ASMSTART
	v_dot2_f32_f16 v6, v59, v51, v6
	;;#ASMEND
	;;#ASMSTART
	v_dot2_f32_f16 v7, v56, v52, v7
	;;#ASMEND
	;;#ASMSTART
	v_dot2_f32_f16 v7, v57, v53, v7
	;;#ASMEND
	;;#ASMSTART
	v_dot2_f32_f16 v7, v58, v54, v7
	;;#ASMEND
	;;#ASMSTART
	v_dot2_f32_f16 v7, v59, v55, v7
	;;#ASMEND
	ds_load_b128 v[16:19], v105 offset:224
	ds_load_b128 v[22:25], v75 offset:17888
	;; [unrolled: 1-line block ×6, first 2 shown]
	s_wait_dscnt 0x4
	;;#ASMSTART
	v_dot2_f32_f16 v0, v16, v22, v0
	;;#ASMEND
	;;#ASMSTART
	v_dot2_f32_f16 v0, v17, v23, v0
	;;#ASMEND
	;;#ASMSTART
	v_dot2_f32_f16 v0, v18, v24, v0
	;;#ASMEND
	;;#ASMSTART
	v_dot2_f32_f16 v0, v19, v25, v0
	;;#ASMEND
	s_wait_dscnt 0x3
	;;#ASMSTART
	v_dot2_f32_f16 v1, v16, v26, v1
	;;#ASMEND
	;;#ASMSTART
	v_dot2_f32_f16 v1, v17, v27, v1
	;;#ASMEND
	;;#ASMSTART
	v_dot2_f32_f16 v1, v18, v28, v1
	;;#ASMEND
	;;#ASMSTART
	v_dot2_f32_f16 v1, v19, v29, v1
	;;#ASMEND
	;; [unrolled: 13-line block ×5, first 2 shown]
	;;#ASMSTART
	v_dot2_f32_f16 v5, v56, v26, v5
	;;#ASMEND
	;;#ASMSTART
	v_dot2_f32_f16 v5, v57, v27, v5
	;;#ASMEND
	;; [unrolled: 3-line block ×12, first 2 shown]
	ds_load_b128 v[22:25], v105 offset:240
	ds_load_b128 v[28:31], v75 offset:17904
	;; [unrolled: 1-line block ×6, first 2 shown]
	s_wait_dscnt 0x4
	;;#ASMSTART
	v_dot2_f32_f16 v0, v22, v28, v0
	;;#ASMEND
	;;#ASMSTART
	v_dot2_f32_f16 v0, v23, v29, v0
	;;#ASMEND
	;;#ASMSTART
	v_dot2_f32_f16 v0, v24, v30, v0
	;;#ASMEND
	;;#ASMSTART
	v_dot2_f32_f16 v0, v25, v31, v0
	;;#ASMEND
	s_wait_dscnt 0x3
	;;#ASMSTART
	v_dot2_f32_f16 v1, v22, v48, v1
	;;#ASMEND
	;;#ASMSTART
	v_dot2_f32_f16 v1, v23, v49, v1
	;;#ASMEND
	;;#ASMSTART
	v_dot2_f32_f16 v1, v24, v50, v1
	;;#ASMEND
	;;#ASMSTART
	v_dot2_f32_f16 v1, v25, v51, v1
	;;#ASMEND
	;; [unrolled: 13-line block ×5, first 2 shown]
	;;#ASMSTART
	v_dot2_f32_f16 v5, v60, v48, v5
	;;#ASMEND
	v_mov_b64_e32 v[18:19], v[14:15]
	;;#ASMSTART
	v_dot2_f32_f16 v5, v61, v49, v5
	;;#ASMEND
	v_mov_b64_e32 v[16:17], v[12:13]
	;;#ASMSTART
	v_dot2_f32_f16 v5, v62, v50, v5
	;;#ASMEND
	;;#ASMSTART
	v_dot2_f32_f16 v5, v63, v51, v5
	;;#ASMEND
	;;#ASMSTART
	v_dot2_f32_f16 v6, v60, v52, v6
	;;#ASMEND
	v_cndmask_b32_e64 v26, 0, 1, s3
	;;#ASMSTART
	v_dot2_f32_f16 v6, v61, v53, v6
	;;#ASMEND
	;;#ASMSTART
	v_dot2_f32_f16 v6, v62, v54, v6
	;;#ASMEND
	;; [unrolled: 3-line block ×7, first 2 shown]
	s_and_saveexec_b32 s4, s2
	s_cbranch_execz .LBB42_36
; %bb.33:
	s_and_not1_b32 vcc_lo, exec_lo, s3
	s_cbranch_vccnz .LBB42_35
; %bb.34:
	v_add_nc_u32_e32 v16, v20, v136
	global_load_u16 v16, v16, s[36:37] scale_offset
	s_wait_loadcnt 0x0
	v_cvt_f32_f16_e32 v16, v16
	s_delay_alu instid0(VALU_DEP_1)
	v_mul_f32_e32 v21, v104, v16
.LBB42_35:
	v_max_num_f32_e32 v17, v12, v12
	s_delay_alu instid0(VALU_DEP_2) | instskip(NEXT) | instid1(VALU_DEP_1)
	v_add_f32_e32 v0, v0, v21
	v_add_f32_e32 v16, 0x40051340, v0
	s_delay_alu instid0(VALU_DEP_1) | instskip(SKIP_2) | instid1(VALU_DEP_3)
	v_max_num_f32_e32 v21, v17, v16
	v_mov_b64_e32 v[18:19], v[14:15]
	v_mov_b64_e32 v[16:17], v[12:13]
	v_mov_b32_e32 v16, v21
.LBB42_36:
	s_or_b32 exec_lo, exec_lo, s4
	v_add_nc_u32_e32 v22, 32, v136
	s_delay_alu instid0(VALU_DEP_1)
	v_cmp_gt_i32_e64 s3, s38, v22
	s_and_saveexec_b32 s4, s3
	s_cbranch_execz .LBB42_41
; %bb.37:
	v_cmp_ne_u32_e32 vcc_lo, 1, v26
	s_cbranch_vccnz .LBB42_39
; %bb.38:
	v_dual_ashrrev_i32 v21, 31, v20 :: v_dual_mov_b32 v137, 0
	s_delay_alu instid0(VALU_DEP_1) | instskip(NEXT) | instid1(VALU_DEP_1)
	v_add_nc_u64_e32 v[20:21], v[20:21], v[136:137]
	v_lshl_add_u64 v[20:21], v[20:21], 1, s[36:37]
	global_load_u16 v20, v[20:21], off offset:64
	s_wait_loadcnt 0x0
	v_cvt_f32_f16_e32 v20, v20
	s_delay_alu instid0(VALU_DEP_1)
	v_mul_f32_e32 v20, v104, v20
	s_branch .LBB42_40
.LBB42_39:
	v_mov_b32_e32 v20, 0
.LBB42_40:
	s_delay_alu instid0(VALU_DEP_1) | instskip(SKIP_1) | instid1(VALU_DEP_2)
	v_add_f32_e32 v4, v4, v20
	v_max_num_f32_e32 v16, v16, v16
	v_add_f32_e32 v20, 0x40051340, v4
	s_delay_alu instid0(VALU_DEP_1)
	v_max_num_f32_e32 v16, v16, v20
.LBB42_41:
	s_or_b32 exec_lo, exec_lo, s4
	v_xor_b32_e32 v161, 8, v156
	v_xor_b32_e32 v164, 16, v156
	;; [unrolled: 1-line block ×4, first 2 shown]
	v_dual_mov_b32 v77, 0 :: v_dual_bitop2_b32 v162, 1, v156 bitop3:0x14
	s_delay_alu instid0(VALU_DEP_4) | instskip(SKIP_4) | instid1(VALU_DEP_2)
	v_cmp_gt_i32_e32 vcc_lo, 32, v164
	v_dual_mov_b32 v163, 32 :: v_dual_cndmask_b32 v20, v156, v164
	v_cmp_gt_i32_e32 vcc_lo, 32, v161
	v_cndmask_b32_e32 v21, v156, v161, vcc_lo
	v_cmp_gt_i32_e32 vcc_lo, 32, v160
	v_dual_lshlrev_b32 v28, 2, v21 :: v_dual_lshlrev_b32 v27, 2, v20
	v_cndmask_b32_e32 v21, v156, v160, vcc_lo
	v_cmp_gt_i32_e32 vcc_lo, 32, v159
	ds_bpermute_b32 v20, v27, v16
	v_max_num_f32_e32 v16, v16, v16
	v_cndmask_b32_e32 v23, v156, v159, vcc_lo
	v_cmp_gt_i32_e32 vcc_lo, 32, v162
	s_delay_alu instid0(VALU_DEP_2) | instskip(NEXT) | instid1(VALU_DEP_1)
	v_dual_cndmask_b32 v23, v156, v162 :: v_dual_lshlrev_b32 v24, 2, v23
	v_dual_lshlrev_b32 v25, 2, v21 :: v_dual_lshlrev_b32 v23, 2, v23
	s_wait_dscnt 0x0
	v_max_num_f32_e32 v20, v20, v20
	s_delay_alu instid0(VALU_DEP_1) | instskip(SKIP_3) | instid1(VALU_DEP_1)
	v_max_num_f32_e32 v16, v16, v20
	ds_bpermute_b32 v20, v28, v16
	s_wait_dscnt 0x0
	v_max_num_f32_e32 v20, v20, v20
	v_max_num_f32_e32 v16, v16, v20
	ds_bpermute_b32 v20, v25, v16
	s_wait_dscnt 0x0
	v_max_num_f32_e32 v29, v20, v20
	v_mul_u64_e32 v[20:21], s[8:9], v[76:77]
	s_delay_alu instid0(VALU_DEP_2) | instskip(SKIP_4) | instid1(VALU_DEP_1)
	v_max_num_f32_e32 v16, v16, v29
	ds_bpermute_b32 v20, v24, v16
	s_wait_dscnt 0x0
	v_max_num_f32_e32 v20, v20, v20
	v_add_nc_u32_e32 v21, v76, v21
	v_dual_max_num_f32 v16, v16, v20 :: v_dual_lshrrev_b32 v20, s25, v21
	ds_bpermute_b32 v21, v23, v16
	v_mul_lo_u32 v20, v20, s26
	s_delay_alu instid0(VALU_DEP_1) | instskip(NEXT) | instid1(VALU_DEP_1)
	v_sub_nc_u32_e32 v20, v76, v20
	v_mad_u32 v20, v20, s24, s30
	s_wait_dscnt 0x0
	v_max_num_f32_e32 v21, v21, v21
	s_delay_alu instid0(VALU_DEP_1)
	v_max_num_f32_e32 v16, v16, v21
	s_and_saveexec_b32 s4, s2
	s_cbranch_execz .LBB42_45
; %bb.42:
	v_cmp_ne_u32_e32 vcc_lo, 1, v26
	s_cbranch_vccnz .LBB42_44
; %bb.43:
	s_delay_alu instid0(VALU_DEP_4) | instskip(SKIP_3) | instid1(VALU_DEP_1)
	v_add_nc_u32_e32 v21, v20, v136
	global_load_u16 v21, v21, s[36:37] scale_offset
	s_wait_loadcnt 0x0
	v_cvt_f32_f16_e32 v21, v21
	v_mul_f32_e32 v77, v104, v21
.LBB42_44:
	s_delay_alu instid0(VALU_DEP_1) | instskip(SKIP_1) | instid1(VALU_DEP_2)
	v_add_f32_e32 v1, v1, v77
	v_max_num_f32_e32 v17, v17, v17
	v_add_f32_e32 v21, 0x40051340, v1
	s_delay_alu instid0(VALU_DEP_1)
	v_max_num_f32_e32 v17, v17, v21
.LBB42_45:
	s_or_b32 exec_lo, exec_lo, s4
	s_and_saveexec_b32 s4, s3
	s_cbranch_execz .LBB42_50
; %bb.46:
	v_cmp_ne_u32_e32 vcc_lo, 1, v26
	s_cbranch_vccnz .LBB42_48
; %bb.47:
	v_dual_ashrrev_i32 v21, 31, v20 :: v_dual_mov_b32 v137, 0
	s_delay_alu instid0(VALU_DEP_1) | instskip(NEXT) | instid1(VALU_DEP_1)
	v_add_nc_u64_e32 v[20:21], v[20:21], v[136:137]
	v_lshl_add_u64 v[20:21], v[20:21], 1, s[36:37]
	global_load_u16 v20, v[20:21], off offset:64
	s_wait_loadcnt 0x0
	v_cvt_f32_f16_e32 v20, v20
	s_delay_alu instid0(VALU_DEP_1)
	v_mul_f32_e32 v20, v104, v20
	s_branch .LBB42_49
.LBB42_48:
	v_mov_b32_e32 v20, 0
.LBB42_49:
	s_delay_alu instid0(VALU_DEP_1) | instskip(SKIP_1) | instid1(VALU_DEP_2)
	v_add_f32_e32 v5, v5, v20
	v_max_num_f32_e32 v17, v17, v17
	v_add_f32_e32 v20, 0x40051340, v5
	s_delay_alu instid0(VALU_DEP_1)
	v_max_num_f32_e32 v17, v17, v20
.LBB42_50:
	s_or_b32 exec_lo, exec_lo, s4
	ds_bpermute_b32 v20, v27, v17
	v_dual_max_num_f32 v17, v17, v17 :: v_dual_mov_b32 v73, 0
	s_wait_dscnt 0x0
	v_max_num_f32_e32 v20, v20, v20
	s_delay_alu instid0(VALU_DEP_1) | instskip(SKIP_3) | instid1(VALU_DEP_1)
	v_max_num_f32_e32 v17, v17, v20
	ds_bpermute_b32 v20, v28, v17
	s_wait_dscnt 0x0
	v_max_num_f32_e32 v20, v20, v20
	v_max_num_f32_e32 v17, v17, v20
	ds_bpermute_b32 v20, v25, v17
	s_wait_dscnt 0x0
	v_max_num_f32_e32 v29, v20, v20
	v_mul_u64_e32 v[20:21], s[8:9], v[72:73]
	s_delay_alu instid0(VALU_DEP_2) | instskip(SKIP_3) | instid1(VALU_DEP_1)
	v_max_num_f32_e32 v17, v17, v29
	ds_bpermute_b32 v20, v24, v17
	s_wait_dscnt 0x0
	v_max_num_f32_e32 v20, v20, v20
	v_dual_add_nc_u32 v21, v72, v21 :: v_dual_max_num_f32 v17, v17, v20
	s_delay_alu instid0(VALU_DEP_1) | instskip(SKIP_4) | instid1(VALU_DEP_1)
	v_lshrrev_b32_e32 v20, s25, v21
	ds_bpermute_b32 v21, v23, v17
	s_wait_dscnt 0x0
	v_max_num_f32_e32 v21, v21, v21
	v_mul_lo_u32 v20, v20, s26
	v_dual_max_num_f32 v17, v17, v21 :: v_dual_sub_nc_u32 v20, v72, v20
	s_delay_alu instid0(VALU_DEP_1)
	v_mad_u32 v20, v20, s24, s30
	s_and_saveexec_b32 s4, s2
	s_cbranch_execz .LBB42_54
; %bb.51:
	v_cmp_ne_u32_e32 vcc_lo, 1, v26
	s_cbranch_vccnz .LBB42_53
; %bb.52:
	s_delay_alu instid0(VALU_DEP_2) | instskip(SKIP_3) | instid1(VALU_DEP_1)
	v_add_nc_u32_e32 v21, v20, v136
	global_load_u16 v21, v21, s[36:37] scale_offset
	s_wait_loadcnt 0x0
	v_cvt_f32_f16_e32 v21, v21
	v_mul_f32_e32 v73, v104, v21
.LBB42_53:
	s_delay_alu instid0(VALU_DEP_1) | instskip(SKIP_1) | instid1(VALU_DEP_2)
	v_add_f32_e32 v2, v2, v73
	v_max_num_f32_e32 v18, v18, v18
	v_add_f32_e32 v21, 0x40051340, v2
	s_delay_alu instid0(VALU_DEP_1)
	v_max_num_f32_e32 v18, v18, v21
.LBB42_54:
	s_or_b32 exec_lo, exec_lo, s4
	s_and_saveexec_b32 s4, s3
	s_cbranch_execz .LBB42_59
; %bb.55:
	v_cmp_ne_u32_e32 vcc_lo, 1, v26
	s_cbranch_vccnz .LBB42_57
; %bb.56:
	s_delay_alu instid0(VALU_DEP_2) | instskip(NEXT) | instid1(VALU_DEP_1)
	v_dual_ashrrev_i32 v21, 31, v20 :: v_dual_mov_b32 v137, 0
	v_add_nc_u64_e32 v[20:21], v[20:21], v[136:137]
	s_delay_alu instid0(VALU_DEP_1) | instskip(SKIP_3) | instid1(VALU_DEP_1)
	v_lshl_add_u64 v[20:21], v[20:21], 1, s[36:37]
	global_load_u16 v20, v[20:21], off offset:64
	s_wait_loadcnt 0x0
	v_cvt_f32_f16_e32 v20, v20
	v_mul_f32_e32 v20, v104, v20
	s_branch .LBB42_58
.LBB42_57:
	v_mov_b32_e32 v20, 0
.LBB42_58:
	s_delay_alu instid0(VALU_DEP_1) | instskip(SKIP_1) | instid1(VALU_DEP_2)
	v_add_f32_e32 v6, v6, v20
	v_max_num_f32_e32 v18, v18, v18
	v_add_f32_e32 v20, 0x40051340, v6
	s_delay_alu instid0(VALU_DEP_1)
	v_max_num_f32_e32 v18, v18, v20
.LBB42_59:
	s_or_b32 exec_lo, exec_lo, s4
	ds_bpermute_b32 v20, v27, v18
	v_dual_max_num_f32 v18, v18, v18 :: v_dual_mov_b32 v71, 0
	s_wait_dscnt 0x0
	v_max_num_f32_e32 v20, v20, v20
	s_delay_alu instid0(VALU_DEP_1) | instskip(SKIP_3) | instid1(VALU_DEP_1)
	v_max_num_f32_e32 v18, v18, v20
	ds_bpermute_b32 v20, v28, v18
	s_wait_dscnt 0x0
	v_max_num_f32_e32 v20, v20, v20
	v_max_num_f32_e32 v18, v18, v20
	ds_bpermute_b32 v20, v25, v18
	s_wait_dscnt 0x0
	v_max_num_f32_e32 v29, v20, v20
	v_mul_u64_e32 v[20:21], s[8:9], v[70:71]
	s_delay_alu instid0(VALU_DEP_2) | instskip(SKIP_3) | instid1(VALU_DEP_1)
	v_max_num_f32_e32 v18, v18, v29
	ds_bpermute_b32 v20, v24, v18
	s_wait_dscnt 0x0
	v_dual_max_num_f32 v20, v20, v20 :: v_dual_add_nc_u32 v21, v70, v21
	v_dual_max_num_f32 v18, v18, v20 :: v_dual_lshrrev_b32 v20, s25, v21
	ds_bpermute_b32 v21, v23, v18
	v_mul_lo_u32 v20, v20, s26
	s_delay_alu instid0(VALU_DEP_1) | instskip(NEXT) | instid1(VALU_DEP_1)
	v_sub_nc_u32_e32 v20, v70, v20
	v_mad_u32 v20, v20, s24, s30
	s_wait_dscnt 0x0
	v_max_num_f32_e32 v21, v21, v21
	s_delay_alu instid0(VALU_DEP_1)
	v_max_num_f32_e32 v18, v18, v21
	s_and_saveexec_b32 s4, s2
	s_cbranch_execz .LBB42_63
; %bb.60:
	v_cmp_ne_u32_e32 vcc_lo, 1, v26
	s_cbranch_vccnz .LBB42_62
; %bb.61:
	s_delay_alu instid0(VALU_DEP_4) | instskip(SKIP_3) | instid1(VALU_DEP_1)
	v_add_nc_u32_e32 v21, v20, v136
	global_load_u16 v21, v21, s[36:37] scale_offset
	s_wait_loadcnt 0x0
	v_cvt_f32_f16_e32 v21, v21
	v_mul_f32_e32 v71, v104, v21
.LBB42_62:
	s_delay_alu instid0(VALU_DEP_1) | instskip(SKIP_1) | instid1(VALU_DEP_2)
	v_add_f32_e32 v3, v3, v71
	v_max_num_f32_e32 v19, v19, v19
	v_add_f32_e32 v21, 0x40051340, v3
	s_delay_alu instid0(VALU_DEP_1)
	v_max_num_f32_e32 v19, v19, v21
.LBB42_63:
	s_or_b32 exec_lo, exec_lo, s4
	s_and_saveexec_b32 s2, s3
	s_cbranch_execz .LBB42_68
; %bb.64:
	v_cmp_ne_u32_e32 vcc_lo, 1, v26
	s_cbranch_vccnz .LBB42_66
; %bb.65:
	v_dual_ashrrev_i32 v21, 31, v20 :: v_dual_mov_b32 v137, 0
	s_delay_alu instid0(VALU_DEP_1) | instskip(NEXT) | instid1(VALU_DEP_1)
	v_add_nc_u64_e32 v[20:21], v[20:21], v[136:137]
	v_lshl_add_u64 v[20:21], v[20:21], 1, s[36:37]
	global_load_u16 v20, v[20:21], off offset:64
	s_wait_loadcnt 0x0
	v_cvt_f32_f16_e32 v20, v20
	s_delay_alu instid0(VALU_DEP_1)
	v_mul_f32_e32 v20, v104, v20
	s_branch .LBB42_67
.LBB42_66:
	v_mov_b32_e32 v20, 0
.LBB42_67:
	s_delay_alu instid0(VALU_DEP_1) | instskip(SKIP_1) | instid1(VALU_DEP_2)
	v_add_f32_e32 v7, v7, v20
	v_max_num_f32_e32 v19, v19, v19
	v_add_f32_e32 v20, 0x40051340, v7
	s_delay_alu instid0(VALU_DEP_1)
	v_max_num_f32_e32 v19, v19, v20
.LBB42_68:
	s_or_b32 exec_lo, exec_lo, s2
	ds_bpermute_b32 v20, v27, v19
	v_dual_max_num_f32 v19, v19, v19 :: v_dual_sub_f32 v26, v0, v16
	v_dual_sub_f32 v29, v5, v17 :: v_dual_sub_f32 v27, v4, v16
	v_sub_f32_e32 v2, v2, v18
	v_mbcnt_lo_u32_b32 v5, -1, 0
	s_mov_b32 s4, 0
	v_cmp_gt_u32_e64 s3, s38, v22
	s_mov_b32 s6, s4
	s_mov_b32 s5, s4
	s_delay_alu instid0(SALU_CYCLE_1)
	v_dual_mov_b32 v134, s6 :: v_dual_mov_b32 v133, s5
	v_mov_b32_e32 v132, s4
	v_cmp_ngt_f32_e64 s4, 0xc2ce8ed0, v26
	v_cmp_nlt_f32_e64 s10, 0x42b17218, v26
	v_dual_mul_f32 v48, 0x3fb8aa3b, v29 :: v_dual_mul_f32 v49, 0x3fb8aa3b, v2
	s_ashr_i32 s29, s28, 31
	v_cmp_ngt_f32_e64 s7, 0xc2ce8ed0, v29
	s_wait_dscnt 0x0
	v_max_num_f32_e32 v20, v20, v20
	v_fma_f32 v57, 0x3fb8aa3b, v29, -v48
	v_rndne_f32_e32 v58, v48
	v_fma_f32 v59, 0x3fb8aa3b, v2, -v49
	v_rndne_f32_e32 v60, v49
	v_max_num_f32_e32 v19, v19, v20
	s_mul_u64 s[8:9], s[30:31], s[28:29]
	v_cmp_nlt_f32_e64 s13, 0x42b17218, v29
	s_lshl_b64 s[24:25], s[8:9], 2
	v_cmp_ngt_f32_e64 s8, 0xc2ce8ed0, v2
	ds_bpermute_b32 v20, v28, v19
	v_sub_f32_e32 v28, v1, v17
	v_mul_f32_e32 v30, 0x3fb8aa3b, v27
	v_cmp_nlt_f32_e64 s14, 0x42b17218, v2
	v_fmac_f32_e32 v57, 0x32a5705f, v29
	v_cmp_ngt_f32_e64 s5, 0xc2ce8ed0, v27
	v_mul_f32_e32 v31, 0x3fb8aa3b, v28
	v_rndne_f32_e32 v54, v30
	v_fma_f32 v53, 0x3fb8aa3b, v27, -v30
	v_cmp_ngt_f32_e64 s6, 0xc2ce8ed0, v28
	v_cmp_nlt_f32_e64 s12, 0x42b17218, v28
	v_fma_f32 v55, 0x3fb8aa3b, v28, -v31
	v_rndne_f32_e32 v56, v31
	v_fmac_f32_e32 v53, 0x32a5705f, v27
	v_cmp_nlt_f32_e64 s11, 0x42b17218, v27
	v_cvt_i32_f32_e32 v27, v54
	v_dual_ashrrev_i32 v69, 31, v68 :: v_dual_mov_b32 v139, 0
	s_add_nc_u64 s[24:25], s[18:19], s[24:25]
	v_cmp_gt_i32_e32 vcc_lo, s38, v79
	s_wait_dscnt 0x0
	v_dual_max_num_f32 v0, v20, v20 :: v_dual_sub_f32 v6, v6, v18
	v_add_nc_u32_e32 v1, 0x8400, v157
	v_lshlrev_b64_e32 v[20:21], 2, v[68:69]
	v_cmp_gt_u32_e64 s2, s38, v136
	s_delay_alu instid0(VALU_DEP_4)
	v_max_num_f32_e32 v4, v19, v0
	v_mul_f32_e32 v50, 0x3fb8aa3b, v6
	v_lshl_add_u32 v52, v22, 3, v1
	v_cmp_ngt_f32_e64 s9, 0xc2ce8ed0, v6
	v_cmp_nlt_f32_e64 s15, 0x42b17218, v6
	ds_bpermute_b32 v19, v25, v4
	v_dual_add_nc_u32 v51, v1, v158 :: v_dual_lshlrev_b32 v1, 20, v5
	v_mul_f32_e32 v25, 0x3fb8aa3b, v26
	v_fma_f32 v61, 0x3fb8aa3b, v6, -v50
	v_rndne_f32_e32 v62, v50
	v_fmac_f32_e32 v55, 0x32a5705f, v28
	v_sub_f32_e32 v28, v31, v56
	v_fma_f32 v22, 0x3fb8aa3b, v26, -v25
	v_cvt_i32_f32_e32 v31, v58
	v_dual_mov_b32 v0, 0 :: v_dual_lshlrev_b32 v138, 2, v148
	s_wait_dscnt 0x0
	s_barrier_signal -1
	s_barrier_wait -1
	s_delay_alu instid0(VALU_DEP_1) | instskip(SKIP_4) | instid1(VALU_DEP_1)
	v_add_nc_u64_e32 v[0:1], src_flat_scratch_base_lo, v[0:1]
	s_clause 0x1
	scratch_store_b32 off, v139, off
	scratch_store_b96 off, v[132:134], off offset:4
	v_dual_sub_f32 v13, v13, v17 :: v_dual_max_num_f32 v5, v19, v19
	v_max_num_f32_e32 v19, v4, v5
	ds_bpermute_b32 v4, v24, v19
	v_rndne_f32_e32 v24, v25
	v_fmac_f32_e32 v22, 0x32a5705f, v26
	v_sub_f32_e32 v26, v30, v54
	v_sub_f32_e32 v29, v48, v58
	v_cvt_i32_f32_e32 v30, v56
	v_sub_f32_e32 v25, v25, v24
	v_cvt_i32_f32_e32 v24, v24
	v_cvt_i32_f32_e32 v48, v60
	s_delay_alu instid0(VALU_DEP_3)
	v_dual_add_f32 v22, v25, v22 :: v_dual_add_f32 v25, v26, v53
	v_fmac_f32_e32 v61, 0x32a5705f, v6
	v_sub_f32_e32 v6, v50, v62
	v_dual_fmac_f32 v59, 0x32a5705f, v2 :: v_dual_add_f32 v26, v28, v55
	v_sub_f32_e32 v2, v49, v60
	v_add_f32_e32 v28, v29, v57
	v_exp_f32_e32 v25, v25
	s_wait_dscnt 0x0
	v_max_num_f32_e32 v63, v4, v4
	v_exp_f32_e32 v26, v26
	v_add_f32_e32 v2, v2, v59
	v_exp_f32_e32 v22, v22
	v_exp_f32_e32 v28, v28
	v_max_num_f32_e32 v19, v19, v63
	v_cvt_i32_f32_e32 v49, v62
	v_add_nc_u64_e32 v[4:5], s[24:25], v[20:21]
	v_exp_f32_e32 v2, v2
	v_add_nc_u32_e32 v53, 24, v79
	ds_bpermute_b32 v23, v23, v19
	v_add_f32_e32 v6, v6, v61
	v_ldexp_f32 v22, v22, v24
	v_ldexp_f32 v24, v26, v30
	v_add_nc_u64_e32 v[4:5], v[4:5], v[138:139]
	v_ldexp_f32 v2, v2, v48
	v_dual_sub_f32 v50, v12, v16 :: v_dual_sub_f32 v12, v14, v18
	s_delay_alu instid0(VALU_DEP_4) | instskip(NEXT) | instid1(VALU_DEP_3)
	v_dual_cndmask_b32 v22, 0, v22, s4 :: v_dual_cndmask_b32 v24, 0, v24, s6
	v_cndmask_b32_e64 v2, 0, v2, s8
	s_delay_alu instid0(VALU_DEP_3) | instskip(SKIP_1) | instid1(VALU_DEP_4)
	v_mul_f32_e32 v14, 0x3fb8aa3b, v50
	v_lshl_add_u32 v174, v53, 9, v138
	v_cndmask_b32_e64 v22, 0x7f800000, v22, s10
	v_cndmask_b32_e64 v24, 0x7f800000, v24, s12
	;; [unrolled: 1-line block ×3, first 2 shown]
	v_cmp_nlt_f32_e64 s8, 0x42b17218, v50
	s_wait_dscnt 0x0
	s_delay_alu instid0(VALU_DEP_3) | instskip(SKIP_1) | instid1(VALU_DEP_1)
	v_dual_cndmask_b32 v48, 0, v24, s2 :: v_dual_max_num_f32 v23, v23, v23
	v_exp_f32_e32 v6, v6
	v_max_num_f32_e32 v19, v19, v23
	v_ldexp_f32 v23, v25, v27
	v_ldexp_f32 v25, v28, v31
	s_delay_alu instid0(TRANS32_DEP_1) | instskip(NEXT) | instid1(VALU_DEP_4)
	v_ldexp_f32 v6, v6, v49
	v_sub_f32_e32 v7, v7, v19
	s_delay_alu instid0(VALU_DEP_3) | instskip(NEXT) | instid1(VALU_DEP_3)
	v_dual_sub_f32 v3, v3, v19 :: v_dual_cndmask_b32 v25, 0, v25, s7
	v_dual_cndmask_b32 v6, 0, v6, s9 :: v_dual_cndmask_b32 v23, 0, v23, s5
	s_delay_alu instid0(VALU_DEP_3)
	v_mul_f32_e32 v27, 0x3fb8aa3b, v7
	v_cmp_ngt_f32_e64 s5, 0xc2ce8ed0, v7
	v_cmp_nlt_f32_e64 s7, 0x42b17218, v7
	v_cmp_ngt_f32_e64 s4, 0xc2ce8ed0, v3
	v_cndmask_b32_e64 v23, 0x7f800000, v23, s11
	v_fma_f32 v30, 0x3fb8aa3b, v7, -v27
	v_rndne_f32_e32 v31, v27
	v_cmp_nlt_f32_e64 s6, 0x42b17218, v3
	v_cndmask_b32_e64 v25, 0x7f800000, v25, s13
	v_cndmask_b32_e64 v6, 0x7f800000, v6, s15
	v_fmac_f32_e32 v30, 0x32a5705f, v7
	v_sub_f32_e32 v27, v27, v31
	v_mul_f32_e32 v26, 0x3fb8aa3b, v3
	v_cndmask_b32_e64 v49, 0, v25, s3
	v_cmp_nlt_f32_e64 s9, 0x42b17218, v13
	s_delay_alu instid0(VALU_DEP_4) | instskip(NEXT) | instid1(VALU_DEP_4)
	v_add_f32_e32 v27, v27, v30
	v_fma_f32 v28, 0x3fb8aa3b, v3, -v26
	v_rndne_f32_e32 v29, v26
	s_delay_alu instid0(VALU_DEP_3) | instskip(NEXT) | instid1(VALU_DEP_2)
	v_exp_f32_e32 v27, v27
	v_fmac_f32_e32 v28, 0x32a5705f, v3
	s_delay_alu instid0(VALU_DEP_2) | instskip(NEXT) | instid1(VALU_DEP_1)
	v_sub_f32_e32 v26, v26, v29
	v_add_f32_e32 v26, v26, v28
	v_cvt_i32_f32_e32 v28, v29
	v_cvt_i32_f32_e32 v29, v31
	v_cndmask_b32_e64 v31, 0, v23, s3
	s_delay_alu instid0(VALU_DEP_2) | instskip(SKIP_1) | instid1(VALU_DEP_2)
	v_ldexp_f32 v27, v27, v29
	v_dual_cndmask_b32 v29, 0, v2, s2 :: v_dual_cndmask_b32 v2, v0, v4, vcc_lo
	v_cndmask_b32_e64 v7, 0, v27, s5
	v_exp_f32_e32 v26, v26
	v_cmp_ngt_f32_e64 s5, 0xc2ce8ed0, v50
	s_delay_alu instid0(VALU_DEP_2) | instskip(SKIP_1) | instid1(TRANS32_DEP_1)
	v_cndmask_b32_e64 v7, 0x7f800000, v7, s7
	v_cmp_ngt_f32_e64 s7, 0xc2ce8ed0, v12
	v_ldexp_f32 v26, v26, v28
	s_delay_alu instid0(VALU_DEP_3) | instskip(SKIP_1) | instid1(VALU_DEP_3)
	v_dual_cndmask_b32 v28, 0, v22, s2 :: v_dual_cndmask_b32 v27, 0, v7, s3
	v_cvt_pk_f16_f32 v22, v31, v49
	v_cndmask_b32_e64 v3, 0, v26, s4
	s_sub_co_i32 s4, s38, 32
	s_delay_alu instid0(VALU_DEP_1) | instskip(SKIP_3) | instid1(VALU_DEP_4)
	v_cndmask_b32_e64 v3, 0x7f800000, v3, s6
	v_cndmask_b32_e64 v30, 0, v6, s3
	v_cvt_pk_f16_f32 v6, v28, v48
	v_cmp_ngt_f32_e64 s6, 0xc2ce8ed0, v13
	v_dual_cndmask_b32 v26, 0, v3, s2 :: v_dual_cndmask_b32 v3, v1, v5, vcc_lo
	s_delay_alu instid0(VALU_DEP_4) | instskip(SKIP_1) | instid1(VALU_DEP_2)
	v_cvt_pk_f16_f32 v23, v30, v27
	s_lshl_b32 s2, s28, 3
	v_cvt_pk_f16_f32 v7, v29, v26
	ds_store_b64 v51, v[6:7]
	ds_store_b64 v52, v[22:23]
	flat_load_b128 v[4:7], v[2:3]
	v_dual_add_nc_u32 v22, s2, v68 :: v_dual_add_nc_u32 v51, 8, v79
	s_clause 0x1
	scratch_store_b32 off, v139, off
	scratch_store_b96 off, v[132:134], off offset:4
	v_dual_add_nc_u32 v52, 16, v79 :: v_dual_ashrrev_i32 v23, 31, v22
	v_cmp_gt_i32_e32 vcc_lo, s38, v51
	v_lshl_add_u32 v173, v51, 9, v138
	s_delay_alu instid0(VALU_DEP_3) | instskip(SKIP_2) | instid1(VALU_DEP_1)
	v_lshl_add_u32 v171, v52, 9, v138
	s_wait_xcnt 0x2
	v_lshlrev_b64_e32 v[2:3], 2, v[22:23]
	v_add_nc_u64_e32 v[24:25], s[24:25], v[2:3]
	s_delay_alu instid0(VALU_DEP_1) | instskip(NEXT) | instid1(VALU_DEP_1)
	v_add_nc_u64_e32 v[24:25], v[24:25], v[138:139]
	v_dual_add_nc_u32 v172, v157, v138 :: v_dual_cndmask_b32 v24, v0, v24, vcc_lo
	s_delay_alu instid0(VALU_DEP_2)
	v_cndmask_b32_e32 v25, v1, v25, vcc_lo
	v_cmp_gt_i32_e32 vcc_lo, s38, v52
	s_wait_loadcnt_dscnt 0x0
	ds_store_b128 v172, v[4:7]
	flat_load_b128 v[4:7], v[24:25]
	s_wait_xcnt 0x0
	v_add_nc_u32_e32 v24, s2, v22
	s_clause 0x1
	scratch_store_b32 off, v139, off
	scratch_store_b96 off, v[132:134], off offset:4
	v_ashrrev_i32_e32 v25, 31, v24
	s_delay_alu instid0(VALU_DEP_1) | instskip(SKIP_2) | instid1(SALU_CYCLE_1)
	v_lshlrev_b64_e32 v[22:23], 2, v[24:25]
	v_add_nc_u32_e32 v24, s2, v24
	s_or_b32 s2, s30, 32
	s_ashr_i32 s3, s2, 31
	s_delay_alu instid0(SALU_CYCLE_1) | instskip(NEXT) | instid1(VALU_DEP_2)
	s_mul_u64 s[10:11], s[2:3], s[28:29]
	v_add_nc_u64_e32 v[54:55], s[24:25], v[22:23]
	s_lshl_b64 s[12:13], s[10:11], 2
	v_cmp_gt_i32_e64 s2, s4, v51
	s_add_nc_u64 s[12:13], s[18:19], s[12:13]
	v_cmp_gt_i32_e64 s3, s4, v52
	v_add_nc_u64_e32 v[20:21], s[12:13], v[20:21]
	v_cmp_nlt_f32_e64 s10, 0x42b17218, v12
	v_add_nc_u64_e32 v[54:55], v[54:55], v[138:139]
	v_add_nc_u64_e32 v[2:3], s[12:13], v[2:3]
	s_delay_alu instid0(VALU_DEP_2) | instskip(SKIP_2) | instid1(VALU_DEP_4)
	v_dual_cndmask_b32 v55, v1, v55 :: v_dual_cndmask_b32 v54, v0, v54
	v_cmp_gt_i32_e32 vcc_lo, s38, v53
	v_ashrrev_i32_e32 v25, 31, v24
	v_add_nc_u64_e32 v[2:3], v[2:3], v[138:139]
	s_delay_alu instid0(VALU_DEP_2) | instskip(NEXT) | instid1(VALU_DEP_2)
	v_lshlrev_b64_e32 v[24:25], 2, v[24:25]
	v_dual_cndmask_b32 v147, v1, v3, s2 :: v_dual_cndmask_b32 v146, v0, v2, s2
	s_wait_loadcnt_dscnt 0x0
	ds_store_b128 v173, v[4:7]
	flat_load_b128 v[4:7], v[54:55]
	s_wait_xcnt 0x0
	v_add_nc_u64_e32 v[54:55], s[24:25], v[24:25]
	s_clause 0x1
	scratch_store_b32 off, v139, off
	scratch_store_b96 off, v[132:134], off offset:4
	v_add_nc_u64_e32 v[54:55], v[54:55], v[138:139]
	s_delay_alu instid0(VALU_DEP_1)
	v_dual_cndmask_b32 v55, v1, v55 :: v_dual_cndmask_b32 v54, v0, v54
	v_cmp_gt_i32_e32 vcc_lo, s4, v79
	v_cmp_gt_i32_e64 s4, s4, v53
	s_wait_loadcnt_dscnt 0x0
	ds_store_b128 v171, v[4:7]
	flat_load_b128 v[4:7], v[54:55]
	s_wait_xcnt 0x0
	v_mul_f32_e32 v55, 0x3fb8aa3b, v12
	v_fma_f32 v51, 0x3fb8aa3b, v50, -v14
	v_rndne_f32_e32 v52, v14
	v_add_nc_u32_e32 v167, 0x1000, v158
	s_delay_alu instid0(VALU_DEP_4) | instskip(SKIP_3) | instid1(VALU_DEP_4)
	v_rndne_f32_e32 v58, v55
	v_mul_f32_e32 v54, 0x3fb8aa3b, v13
	v_fma_f32 v57, 0x3fb8aa3b, v12, -v55
	v_dual_fmac_f32 v51, 0x32a5705f, v50 :: v_dual_sub_f32 v14, v14, v52
	v_sub_f32_e32 v55, v55, v58
	s_delay_alu instid0(VALU_DEP_4)
	v_fma_f32 v53, 0x3fb8aa3b, v13, -v54
	v_rndne_f32_e32 v56, v54
	v_fmac_f32_e32 v57, 0x32a5705f, v12
	v_add_nc_u32_e32 v169, 0x2000, v158
	v_cvt_i32_f32_e32 v50, v52
	v_fmac_f32_e32 v53, 0x32a5705f, v13
	v_add_nc_u64_e32 v[12:13], v[20:21], v[138:139]
	v_dual_sub_f32 v52, v54, v56 :: v_dual_add_nc_u32 v165, 0x3000, v158
	v_dual_add_f32 v14, v14, v51 :: v_dual_add_nc_u32 v137, 0x3800, v158
	v_add_nc_u64_e32 v[20:21], s[12:13], v[22:23]
	s_delay_alu instid0(VALU_DEP_4)
	v_dual_cndmask_b32 v145, v1, v13 :: v_dual_add_nc_u32 v170, 0x1800, v158
	v_cndmask_b32_e32 v144, v0, v12, vcc_lo
	v_dual_add_f32 v51, v52, v53 :: v_dual_add_nc_u32 v166, 0x800, v158
	v_add_f32_e32 v52, v55, v57
	v_exp_f32_e32 v22, v14
	v_add_nc_u64_e32 v[12:13], s[12:13], v[24:25]
	v_cvt_i32_f32_e32 v54, v56
	v_exp_f32_e32 v23, v51
	v_exp_f32_e32 v51, v52
	v_nop
	v_sub_f32_e32 v52, v15, v19
	v_add_nc_u64_e32 v[14:15], v[20:21], v[138:139]
	v_ldexp_f32 v21, v22, v50
	v_cvt_i32_f32_e32 v56, v58
	v_add_nc_u64_e32 v[2:3], v[12:13], v[138:139]
	v_mul_f32_e32 v20, 0x3fb8aa3b, v52
	v_ldexp_f32 v22, v23, v54
	v_cndmask_b32_e64 v12, 0, v21, s5
	v_ldexp_f32 v23, v51, v56
	v_cndmask_b32_e64 v143, v1, v15, s3
	v_rndne_f32_e32 v25, v20
	v_add_nc_u32_e32 v168, 0x2800, v158
	v_fma_f32 v24, 0x3fb8aa3b, v52, -v20
	v_dual_cndmask_b32 v21, 0, v23, s7 :: v_dual_cndmask_b32 v142, v0, v14, s3
	s_delay_alu instid0(VALU_DEP_4) | instskip(SKIP_2) | instid1(VALU_DEP_4)
	v_dual_sub_f32 v13, v20, v25 :: v_dual_cndmask_b32 v20, 0, v22, s6
	v_cndmask_b32_e64 v12, 0x7f800000, v12, s8
	v_cndmask_b32_e64 v140, v0, v2, s4
	;; [unrolled: 1-line block ×3, first 2 shown]
	v_cmp_ngt_f32_e32 vcc_lo, 0xc2ce8ed0, v52
	v_cndmask_b32_e64 v14, 0x7f800000, v20, s9
	v_fmac_f32_e32 v24, 0x32a5705f, v52
	v_cvt_f16_f32_e32 v2, v12
	v_cndmask_b32_e64 v141, v1, v3, s4
	v_cvt_i32_f32_e32 v0, v25
	v_cvt_f16_f32_e32 v3, v14
	v_cmp_nlt_f32_e64 s2, 0x42b17218, v52
	v_and_b32_e32 v21, 0xffff, v2
	v_add_f32_e32 v2, v29, v30
	v_add_f32_e32 v13, v13, v24
	v_and_b32_e32 v3, 0xffff, v3
	s_delay_alu instid0(VALU_DEP_4) | instskip(NEXT) | instid1(VALU_DEP_4)
	v_mul_u32_u24_e32 v52, 0x10001, v21
	v_fmac_f32_e32 v2, v10, v15
	s_delay_alu instid0(VALU_DEP_4) | instskip(NEXT) | instid1(VALU_DEP_3)
	v_exp_f32_e32 v1, v13
	v_mul_u32_u24_e32 v53, 0x10001, v3
	v_cvt_f16_f32_e32 v13, v15
	v_pk_mul_f16 v59, v43, v52
	v_pk_mul_f16 v104, v42, v52
	v_pk_mul_f16 v47, v47, v52
	v_pk_mul_f16 v105, v41, v53
	v_ldexp_f32 v20, v1, v0
	v_add_f32_e32 v0, v28, v31
	v_add_f32_e32 v1, v48, v49
	v_and_b32_e32 v13, 0xffff, v13
	v_pk_mul_f16 v106, v40, v53
	v_cndmask_b32_e32 v20, 0, v20, vcc_lo
	s_delay_alu instid0(VALU_DEP_4) | instskip(NEXT) | instid1(VALU_DEP_4)
	v_dual_fmac_f32 v0, v8, v12 :: v_dual_fmac_f32 v1, v9, v14
	v_mul_u32_u24_e32 v58, 0x10001, v13
	v_pk_mul_f16 v39, v39, v53
	s_delay_alu instid0(VALU_DEP_4) | instskip(NEXT) | instid1(VALU_DEP_3)
	v_cndmask_b32_e64 v8, 0x7f800000, v20, s2
	v_pk_mul_f16 v38, v38, v58
	v_pk_mul_f16 v37, v37, v58
	s_delay_alu instid0(VALU_DEP_3) | instskip(SKIP_1) | instid1(VALU_DEP_2)
	v_cvt_f16_f32_e32 v3, v8
	v_pk_mul_f16 v36, v36, v58
	v_and_b32_e32 v9, 0xffff, v3
	v_add_f32_e32 v3, v26, v27
	s_delay_alu instid0(VALU_DEP_2) | instskip(NEXT) | instid1(VALU_DEP_2)
	v_mul_u32_u24_e32 v9, 0x10001, v9
	v_fmac_f32_e32 v3, v11, v8
	s_delay_alu instid0(VALU_DEP_2)
	v_pk_mul_f16 v35, v35, v9
	v_pk_mul_f16 v34, v34, v9
	;; [unrolled: 1-line block ×4, first 2 shown]
	s_wait_loadcnt_dscnt 0x0
	ds_store_b128 v174, v[4:7]
	s_wait_storecnt_dscnt 0x0
	s_barrier_signal -1
	s_barrier_wait -1
	ds_load_2addr_b64 v[24:27], v158 offset1:32
	ds_load_b128 v[20:23], v157 offset:33792
	ds_load_b128 v[48:51], v157 offset:33808
	;; [unrolled: 1-line block ×4, first 2 shown]
	ds_load_2addr_b64 v[100:103], v158 offset0:64 offset1:96
	ds_load_2addr_b64 v[176:179], v158 offset0:128 offset1:160
	;; [unrolled: 1-line block ×3, first 2 shown]
	ds_load_2addr_b64 v[184:187], v166 offset1:32
	ds_load_2addr_b64 v[128:131], v166 offset0:64 offset1:96
	ds_load_2addr_b64 v[124:127], v166 offset0:128 offset1:160
	;; [unrolled: 1-line block ×3, first 2 shown]
	ds_load_2addr_b64 v[116:119], v167 offset1:32
	ds_load_2addr_b64 v[112:115], v167 offset0:64 offset1:96
	ds_load_2addr_b64 v[108:111], v167 offset0:128 offset1:160
	ds_load_b128 v[84:87], v157 offset:33856
	ds_load_b128 v[60:63], v157 offset:33872
	ds_load_2addr_b64 v[96:99], v167 offset0:192 offset1:224
	ds_load_2addr_b64 v[92:95], v170 offset1:32
	ds_load_2addr_b64 v[80:83], v170 offset0:64 offset1:96
	ds_load_2addr_b64 v[12:15], v170 offset0:128 offset1:160
	ds_load_b128 v[64:67], v157 offset:33888
	ds_load_b128 v[68:71], v157 offset:33904
	ds_load_2addr_b64 v[40:43], v170 offset0:192 offset1:224
	ds_load_2addr_b64 v[28:31], v169 offset1:32
	ds_load_2addr_b64 v[8:11], v169 offset0:64 offset1:96
	ds_load_2addr_b64 v[4:7], v169 offset0:128 offset1:160
	ds_load_b128 v[72:75], v157 offset:33920
	ds_load_b128 v[88:91], v157 offset:33936
	s_wait_dscnt 0x1b
	v_lshrrev_b32_e32 v107, 16, v20
	v_and_b32_e32 v20, 0xffff, v20
	v_lshrrev_b32_e32 v138, 16, v21
	v_and_b32_e32 v175, 0xffff, v21
	v_dual_lshrrev_b32 v188, 16, v22 :: v_dual_lshrrev_b32 v189, 16, v23
	s_delay_alu instid0(VALU_DEP_4)
	v_mul_u32_u24_e32 v192, 0x10001, v20
	v_mul_u32_u24_e32 v107, 0x10001, v107
	v_and_b32_e32 v190, 0xffff, v22
	v_mul_u32_u24_e32 v175, 0x10001, v175
	v_mul_u32_u24_e32 v138, 0x10001, v138
	v_pk_fma_f16 v47, v25, v192, v47
	v_pk_fma_f16 v59, v26, v192, v59
	;; [unrolled: 1-line block ×3, first 2 shown]
	v_pk_mul_f16 v192, v24, v192
	v_pk_fma_f16 v105, v25, v107, v105
	v_pk_fma_f16 v106, v26, v107, v106
	;; [unrolled: 1-line block ×3, first 2 shown]
	v_pk_mul_f16 v107, v24, v107
	v_and_b32_e32 v191, 0xffff, v23
	v_pk_fma_f16 v194, v25, v175, v38
	v_pk_fma_f16 v195, v26, v175, v37
	;; [unrolled: 1-line block ×3, first 2 shown]
	v_pk_mul_f16 v175, v24, v175
	v_pk_fma_f16 v197, v24, v138, v35
	v_pk_fma_f16 v198, v25, v138, v34
	;; [unrolled: 1-line block ×5, first 2 shown]
	v_mul_u32_u24_e32 v52, 0x10001, v189
	v_pk_fma_f16 v45, v45, v53, v107
	v_mul_u32_u24_e32 v53, 0x10001, v190
	v_pk_fma_f16 v44, v44, v58, v175
	s_wait_dscnt 0x1a
	v_lshrrev_b32_e32 v107, 16, v49
	s_wait_dscnt 0x17
	v_pk_fma_f16 v58, v100, v52, v197
	v_pk_fma_f16 v175, v101, v52, v198
	;; [unrolled: 1-line block ×4, first 2 shown]
	v_mul_u32_u24_e32 v138, 0x10001, v188
	v_mul_u32_u24_e32 v188, 0x10001, v191
	v_pk_fma_f16 v47, v101, v53, v47
	v_pk_fma_f16 v59, v102, v53, v59
	;; [unrolled: 1-line block ×4, first 2 shown]
	v_and_b32_e32 v53, 0xffff, v48
	v_lshrrev_b32_e32 v48, 16, v48
	v_and_b32_e32 v49, 0xffff, v49
	v_mul_u32_u24_e32 v191, 0x10001, v107
	v_pk_fma_f16 v192, v101, v138, v105
	v_pk_fma_f16 v101, v101, v188, v194
	;; [unrolled: 1-line block ×8, first 2 shown]
	v_mul_u32_u24_e32 v53, 0x10001, v53
	v_lshrrev_b32_e32 v188, 16, v51
	v_mul_u32_u24_e32 v48, 0x10001, v48
	v_mul_u32_u24_e32 v49, 0x10001, v49
	s_wait_dscnt 0x16
	v_pk_fma_f16 v58, v176, v191, v58
	v_pk_fma_f16 v138, v177, v191, v175
	;; [unrolled: 1-line block ×16, first 2 shown]
	v_and_b32_e32 v176, 0xffff, v50
	v_lshrrev_b32_e32 v50, 16, v50
	v_mul_u32_u24_e32 v188, 0x10001, v188
	v_and_b32_e32 v51, 0xffff, v51
	s_wait_dscnt 0x7
	v_lshrrev_b32_e32 v194, 16, v64
	v_mul_u32_u24_e32 v176, 0x10001, v176
	v_mul_u32_u24_e32 v50, 0x10001, v50
	v_pk_fma_f16 v58, v180, v188, v58
	v_pk_fma_f16 v138, v181, v188, v138
	;; [unrolled: 1-line block ×4, first 2 shown]
	v_lshrrev_b32_e32 v188, 16, v55
	v_pk_fma_f16 v189, v181, v176, v189
	v_pk_fma_f16 v59, v182, v176, v59
	;; [unrolled: 1-line block ×4, first 2 shown]
	v_and_b32_e32 v176, 0xffff, v54
	v_mul_u32_u24_e32 v51, 0x10001, v51
	v_lshrrev_b32_e32 v54, 16, v54
	v_mul_u32_u24_e32 v188, 0x10001, v188
	v_and_b32_e32 v55, 0xffff, v55
	v_pk_fma_f16 v191, v181, v50, v191
	v_pk_fma_f16 v192, v182, v50, v192
	;; [unrolled: 1-line block ×8, first 2 shown]
	v_mul_u32_u24_e32 v176, 0x10001, v176
	v_pk_fma_f16 v183, v187, v188, v52
	v_mul_u32_u24_e32 v52, 0x10001, v54
	v_mul_u32_u24_e32 v54, 0x10001, v55
	v_pk_fma_f16 v182, v184, v188, v58
	v_pk_fma_f16 v138, v185, v188, v138
	;; [unrolled: 1-line block ×3, first 2 shown]
	v_lshrrev_b32_e32 v58, 16, v57
	v_pk_fma_f16 v188, v185, v176, v189
	v_pk_fma_f16 v189, v186, v176, v59
	;; [unrolled: 1-line block ×10, first 2 shown]
	v_and_b32_e32 v184, 0xffff, v56
	v_lshrrev_b32_e32 v186, 16, v56
	v_and_b32_e32 v187, 0xffff, v57
	v_pk_fma_f16 v191, v185, v52, v191
	v_pk_fma_f16 v177, v185, v54, v177
	v_mul_u32_u24_e32 v185, 0x10001, v58
	v_mul_u32_u24_e32 v184, 0x10001, v184
	;; [unrolled: 1-line block ×4, first 2 shown]
	ds_load_b128 v[104:107], v157 offset:33952
	ds_load_b128 v[100:103], v157 offset:33968
	v_pk_fma_f16 v182, v128, v185, v182
	v_pk_fma_f16 v138, v129, v185, v138
	;; [unrolled: 1-line block ×4, first 2 shown]
	v_lshrrev_b32_e32 v185, 16, v76
	v_pk_fma_f16 v188, v129, v184, v188
	v_pk_fma_f16 v189, v130, v184, v189
	;; [unrolled: 1-line block ×4, first 2 shown]
	v_lshrrev_b32_e32 v184, 16, v77
	v_pk_fma_f16 v191, v129, v186, v191
	v_pk_fma_f16 v192, v130, v186, v192
	;; [unrolled: 1-line block ×4, first 2 shown]
	v_and_b32_e32 v186, 0xffff, v76
	v_pk_fma_f16 v129, v129, v187, v177
	v_and_b32_e32 v177, 0xffff, v77
	v_pk_fma_f16 v130, v130, v187, v178
	v_pk_fma_f16 v131, v131, v187, v179
	;; [unrolled: 1-line block ×3, first 2 shown]
	v_dual_lshrrev_b32 v178, 16, v78 :: v_dual_lshrrev_b32 v179, 16, v79
	v_mul_u32_u24_e32 v180, 0x10001, v184
	v_and_b32_e32 v184, 0xffff, v78
	v_and_b32_e32 v187, 0xffff, v79
	v_mul_u32_u24_e32 v186, 0x10001, v186
	v_mul_u32_u24_e32 v185, 0x10001, v185
	;; [unrolled: 1-line block ×3, first 2 shown]
	v_pk_fma_f16 v182, v124, v180, v182
	v_pk_fma_f16 v138, v125, v180, v138
	;; [unrolled: 1-line block ×4, first 2 shown]
	v_lshrrev_b32_e32 v183, 16, v84
	v_pk_fma_f16 v188, v125, v186, v188
	v_pk_fma_f16 v189, v126, v186, v189
	;; [unrolled: 1-line block ×4, first 2 shown]
	v_lshrrev_b32_e32 v186, 16, v85
	v_pk_fma_f16 v193, v127, v185, v193
	v_pk_fma_f16 v127, v127, v177, v131
	v_mul_u32_u24_e32 v131, 0x10001, v179
	v_mul_u32_u24_e32 v184, 0x10001, v184
	;; [unrolled: 1-line block ×4, first 2 shown]
	v_pk_fma_f16 v191, v125, v185, v191
	v_pk_fma_f16 v192, v126, v185, v192
	;; [unrolled: 1-line block ×3, first 2 shown]
	v_and_b32_e32 v185, 0xffff, v84
	v_pk_fma_f16 v126, v126, v177, v130
	v_pk_fma_f16 v124, v124, v177, v128
	v_and_b32_e32 v128, 0xffff, v85
	v_pk_fma_f16 v182, v120, v131, v182
	v_pk_fma_f16 v138, v121, v131, v138
	;; [unrolled: 1-line block ×7, first 2 shown]
	v_mul_u32_u24_e32 v127, 0x10001, v186
	v_pk_fma_f16 v125, v125, v177, v129
	v_dual_lshrrev_b32 v129, 16, v86 :: v_dual_lshrrev_b32 v130, 16, v87
	v_and_b32_e32 v177, 0xffff, v86
	v_pk_fma_f16 v188, v121, v184, v188
	v_pk_fma_f16 v189, v122, v184, v189
	;; [unrolled: 1-line block ×8, first 2 shown]
	v_mul_u32_u24_e32 v185, 0x10001, v185
	v_pk_fma_f16 v182, v116, v127, v182
	v_pk_fma_f16 v138, v117, v127, v138
	;; [unrolled: 1-line block ×4, first 2 shown]
	v_mul_u32_u24_e32 v131, 0x10001, v183
	v_mul_u32_u24_e32 v128, 0x10001, v128
	v_and_b32_e32 v179, 0xffff, v87
	v_pk_fma_f16 v121, v121, v187, v125
	v_pk_fma_f16 v183, v117, v185, v188
	;; [unrolled: 1-line block ×11, first 2 shown]
	v_mul_u32_u24_e32 v120, 0x10001, v130
	v_mul_u32_u24_e32 v122, 0x10001, v177
	v_dual_lshrrev_b32 v180, 16, v60 :: v_dual_lshrrev_b32 v184, 16, v61
	v_and_b32_e32 v181, 0xffff, v60
	v_and_b32_e32 v124, 0xffff, v61
	v_pk_fma_f16 v117, v117, v128, v121
	v_pk_fma_f16 v119, v119, v128, v123
	;; [unrolled: 1-line block ×6, first 2 shown]
	v_mul_u32_u24_e32 v123, 0x10001, v129
	v_pk_fma_f16 v127, v113, v122, v183
	v_pk_fma_f16 v129, v114, v122, v188
	;; [unrolled: 1-line block ×4, first 2 shown]
	v_mul_u32_u24_e32 v176, 0x10001, v179
	v_dual_lshrrev_b32 v125, 16, v62 :: v_dual_lshrrev_b32 v126, 16, v63
	v_and_b32_e32 v186, 0xffff, v62
	v_pk_fma_f16 v179, v113, v123, v190
	v_pk_fma_f16 v182, v114, v123, v191
	;; [unrolled: 1-line block ×8, first 2 shown]
	v_mul_u32_u24_e32 v116, 0x10001, v184
	v_mul_u32_u24_e32 v117, 0x10001, v181
	;; [unrolled: 1-line block ×4, first 2 shown]
	v_and_b32_e32 v187, 0xffff, v63
	v_lshrrev_b32_e32 v185, 16, v65
	v_pk_fma_f16 v130, v108, v116, v130
	v_pk_fma_f16 v138, v109, v116, v138
	;; [unrolled: 1-line block ×15, first 2 shown]
	v_mul_u32_u24_e32 v124, 0x10001, v126
	v_mul_u32_u24_e32 v126, 0x10001, v186
	v_and_b32_e32 v178, 0xffff, v64
	v_and_b32_e32 v128, 0xffff, v65
	v_pk_fma_f16 v179, v109, v118, v179
	v_pk_fma_f16 v130, v96, v124, v130
	;; [unrolled: 1-line block ×5, first 2 shown]
	v_mul_u32_u24_e32 v124, 0x10001, v125
	v_pk_fma_f16 v127, v97, v126, v127
	v_pk_fma_f16 v129, v98, v126, v129
	;; [unrolled: 1-line block ×4, first 2 shown]
	v_mul_u32_u24_e32 v125, 0x10001, v187
	v_mul_u32_u24_e32 v126, 0x10001, v185
	v_dual_lshrrev_b32 v195, 16, v66 :: v_dual_lshrrev_b32 v193, 16, v67
	v_and_b32_e32 v196, 0xffff, v66
	v_pk_fma_f16 v179, v97, v124, v179
	v_pk_fma_f16 v183, v97, v125, v183
	v_mul_u32_u24_e32 v178, 0x10001, v178
	v_pk_fma_f16 v185, v92, v126, v130
	v_mul_u32_u24_e32 v130, 0x10001, v194
	v_mul_u32_u24_e32 v128, 0x10001, v128
	v_and_b32_e32 v197, 0xffff, v67
	v_pk_fma_f16 v180, v98, v124, v180
	v_pk_fma_f16 v181, v99, v124, v181
	;; [unrolled: 1-line block ×13, first 2 shown]
	v_mul_u32_u24_e32 v179, 0x10001, v193
	v_mul_u32_u24_e32 v183, 0x10001, v196
	s_wait_dscnt 0x8
	v_dual_lshrrev_b32 v121, 16, v68 :: v_dual_lshrrev_b32 v198, 16, v69
	v_and_b32_e32 v131, 0xffff, v68
	v_and_b32_e32 v123, 0xffff, v69
	v_pk_fma_f16 v138, v93, v126, v138
	v_pk_fma_f16 v186, v95, v126, v186
	;; [unrolled: 1-line block ×9, first 2 shown]
	v_mul_u32_u24_e32 v175, 0x10001, v195
	v_pk_fma_f16 v181, v83, v183, v177
	v_mul_u32_u24_e32 v177, 0x10001, v197
	s_wait_dscnt 0x1
	v_dual_lshrrev_b32 v126, 16, v104 :: v_dual_lshrrev_b32 v127, 16, v105
	v_and_b32_e32 v129, 0xffff, v105
	v_dual_lshrrev_b32 v128, 16, v106 :: v_dual_lshrrev_b32 v105, 16, v107
	v_and_b32_e32 v130, 0xffff, v106
	v_and_b32_e32 v106, 0xffff, v107
	v_pk_fma_f16 v190, v80, v179, v185
	v_pk_fma_f16 v191, v81, v179, v138
	;; [unrolled: 1-line block ×3, first 2 shown]
	s_wait_dscnt 0x0
	v_dual_lshrrev_b32 v107, 16, v100 :: v_dual_lshrrev_b32 v138, 16, v101
	v_pk_fma_f16 v179, v81, v183, v188
	v_pk_fma_f16 v180, v82, v183, v194
	;; [unrolled: 1-line block ×11, first 2 shown]
	v_and_b32_e32 v176, 0xffff, v101
	v_dual_lshrrev_b32 v175, 16, v102 :: v_dual_lshrrev_b32 v101, 16, v103
	v_and_b32_e32 v177, 0xffff, v102
	v_and_b32_e32 v102, 0xffff, v103
	v_mul_u32_u24_e32 v103, 0x10001, v198
	v_mul_u32_u24_e32 v131, 0x10001, v131
	;; [unrolled: 1-line block ×4, first 2 shown]
	ds_load_2addr_b64 v[20:23], v169 offset0:192 offset1:224
	ds_load_2addr_b64 v[36:39], v168 offset1:32
	ds_load_2addr_b64 v[32:35], v168 offset0:64 offset1:96
	ds_load_2addr_b64 v[24:27], v168 offset0:128 offset1:160
	;; [unrolled: 1-line block ×3, first 2 shown]
	ds_load_2addr_b64 v[48:51], v165 offset1:32
	ds_load_2addr_b64 v[52:55], v165 offset0:64 offset1:96
	ds_load_2addr_b64 v[56:59], v165 offset0:128 offset1:160
	ds_load_b128 v[76:79], v157 offset:33984
	ds_load_b128 v[84:87], v157 offset:34000
	ds_load_2addr_b64 v[60:63], v165 offset0:192 offset1:224
	ds_load_2addr_b64 v[64:67], v137 offset1:32
	v_dual_lshrrev_b32 v113, 16, v70 :: v_dual_lshrrev_b32 v112, 16, v71
	v_and_b32_e32 v115, 0xffff, v70
	v_and_b32_e32 v114, 0xffff, v71
	ds_load_2addr_b64 v[68:71], v137 offset0:64 offset1:96
	v_dual_lshrrev_b32 v116, 16, v72 :: v_dual_lshrrev_b32 v117, 16, v73
	v_and_b32_e32 v118, 0xffff, v72
	v_and_b32_e32 v110, 0xffff, v73
	v_dual_lshrrev_b32 v109, 16, v74 :: v_dual_lshrrev_b32 v108, 16, v75
	v_and_b32_e32 v111, 0xffff, v74
	v_and_b32_e32 v119, 0xffff, v75
	ds_load_2addr_b64 v[72:75], v137 offset0:128 offset1:160
	v_dual_lshrrev_b32 v120, 16, v88 :: v_dual_lshrrev_b32 v122, 16, v89
	v_and_b32_e32 v124, 0xffff, v88
	v_and_b32_e32 v98, 0xffff, v89
	v_dual_lshrrev_b32 v96, 16, v90 :: v_dual_lshrrev_b32 v97, 16, v91
	v_and_b32_e32 v125, 0xffff, v90
	v_and_b32_e32 v99, 0xffff, v91
	ds_load_b128 v[88:91], v157 offset:34016
	ds_load_b128 v[92:95], v157 offset:34032
	ds_load_2addr_b64 v[80:83], v137 offset0:192 offset1:224
	s_wait_dscnt 0x0
	s_barrier_signal -1
	s_barrier_wait -1
	s_clause 0x1
	scratch_store_b32 off, v139, off
	scratch_store_b96 off, v[132:134], off offset:4
	v_pk_fma_f16 v190, v12, v103, v190
	v_pk_fma_f16 v191, v13, v103, v191
	;; [unrolled: 1-line block ×16, first 2 shown]
	flat_load_b128 v[12:15], v[144:145]
	s_clause 0x1
	scratch_store_b32 off, v139, off
	scratch_store_b96 off, v[132:134], off offset:4
	v_dual_lshrrev_b32 v193, 16, v76 :: v_dual_lshrrev_b32 v178, 16, v77
	v_and_b32_e32 v182, 0xffff, v76
	v_and_b32_e32 v186, 0xffff, v77
	v_dual_lshrrev_b32 v194, 16, v78 :: v_dual_lshrrev_b32 v195, 16, v79
	v_and_b32_e32 v196, 0xffff, v78
	v_and_b32_e32 v197, 0xffff, v79
	v_mul_u32_u24_e32 v115, 0x10001, v115
	v_mul_u32_u24_e32 v113, 0x10001, v113
	;; [unrolled: 1-line block ×8, first 2 shown]
	v_pk_fma_f16 v179, v41, v115, v179
	v_pk_fma_f16 v183, v41, v113, v183
	;; [unrolled: 1-line block ×6, first 2 shown]
	v_mul_u32_u24_e32 v111, 0x10001, v111
	v_mul_u32_u24_e32 v109, 0x10001, v109
	;; [unrolled: 1-line block ×8, first 2 shown]
	v_and_b32_e32 v104, 0xffff, v104
	v_mul_u32_u24_e32 v125, 0x10001, v125
	v_mul_u32_u24_e32 v96, 0x10001, v96
	;; [unrolled: 1-line block ×5, first 2 shown]
	v_and_b32_e32 v100, 0xffff, v100
	v_mul_u32_u24_e32 v106, 0x10001, v106
	v_mul_u32_u24_e32 v105, 0x10001, v105
	v_mul_u32_u24_e32 v107, 0x10001, v107
	v_mul_u32_u24_e32 v102, 0x10001, v102
	v_mul_u32_u24_e32 v100, 0x10001, v100
	v_mul_u32_u24_e32 v101, 0x10001, v101
	s_wait_xcnt 0x2
	v_dual_lshrrev_b32 v144, 16, v84 :: v_dual_lshrrev_b32 v145, 16, v85
	v_and_b32_e32 v84, 0xffff, v84
	v_and_b32_e32 v85, 0xffff, v85
	v_lshrrev_b32_e32 v198, 16, v87
	v_and_b32_e32 v87, 0xffff, v87
	v_dual_lshrrev_b32 v200, 16, v92 :: v_dual_lshrrev_b32 v201, 16, v93
	v_mul_u32_u24_e32 v84, 0x10001, v84
	v_mul_u32_u24_e32 v85, 0x10001, v85
	s_delay_alu instid0(VALU_DEP_4)
	v_mul_u32_u24_e32 v87, 0x10001, v87
	v_and_b32_e32 v92, 0xffff, v92
	v_and_b32_e32 v93, 0xffff, v93
	v_dual_lshrrev_b32 v202, 16, v94 :: v_dual_lshrrev_b32 v203, 16, v95
	v_and_b32_e32 v94, 0xffff, v94
	v_and_b32_e32 v95, 0xffff, v95
	v_mul_u32_u24_e32 v92, 0x10001, v92
	v_mul_u32_u24_e32 v93, 0x10001, v93
	v_lshrrev_b32_e32 v199, 16, v91
	v_and_b32_e32 v91, 0xffff, v91
	v_mul_u32_u24_e32 v94, 0x10001, v94
	v_mul_u32_u24_e32 v95, 0x10001, v95
	s_delay_alu instid0(VALU_DEP_3)
	v_mul_u32_u24_e32 v91, 0x10001, v91
	s_wait_loadcnt_dscnt 0x0
	ds_store_b128 v172, v[12:15]
	flat_load_b128 v[12:15], v[146:147]
	v_lshrrev_b32_e32 v172, 16, v86
	v_and_b32_e32 v86, 0xffff, v86
	s_wait_xcnt 0x0
	v_dual_lshrrev_b32 v146, 16, v88 :: v_dual_lshrrev_b32 v147, 16, v89
	v_and_b32_e32 v88, 0xffff, v88
	v_and_b32_e32 v89, 0xffff, v89
	v_mul_u32_u24_e32 v86, 0x10001, v86
	s_delay_alu instid0(VALU_DEP_4)
	v_mul_u32_u24_e32 v146, 0x10001, v146
	v_mul_u32_u24_e32 v147, 0x10001, v147
	;; [unrolled: 1-line block ×4, first 2 shown]
	s_wait_loadcnt_dscnt 0x0
	ds_store_b128 v173, v[12:15]
	s_clause 0x1
	scratch_store_b32 off, v139, off
	scratch_store_b96 off, v[132:134], off offset:4
	flat_load_b128 v[76:79], v[142:143]
	s_clause 0x1
	scratch_store_b96 off, v[132:134], off offset:4
	scratch_store_b32 off, v139, off
	v_mov_b64_e32 v[12:13], v[16:17]
	v_mov_b64_e32 v[14:15], v[18:19]
	s_wait_xcnt 0x1
	v_mul_u32_u24_e32 v132, 0x10001, v182
	v_mul_u32_u24_e32 v134, 0x10001, v186
	v_pk_fma_f16 v182, v40, v112, v190
	v_pk_fma_f16 v186, v41, v114, v187
	;; [unrolled: 1-line block ×78, first 2 shown]
	v_mul_u32_u24_e32 v133, 0x10001, v193
	s_wait_xcnt 0x0
	v_mul_u32_u24_e32 v139, 0x10001, v196
	v_mul_u32_u24_e32 v142, 0x10001, v195
	;; [unrolled: 1-line block ×5, first 2 shown]
	v_lshrrev_b32_e32 v173, 16, v90
	v_and_b32_e32 v90, 0xffff, v90
	s_delay_alu instid0(VALU_DEP_2) | instskip(NEXT) | instid1(VALU_DEP_2)
	v_mul_u32_u24_e32 v172, 0x10001, v173
	v_mul_u32_u24_e32 v90, 0x10001, v90
	;; [unrolled: 1-line block ×3, first 2 shown]
	s_wait_loadcnt_dscnt 0x0
	ds_store_b128 v171, v[76:79]
	flat_load_b128 v[16:19], v[140:141]
	v_mul_u32_u24_e32 v76, 0x10001, v126
	v_mul_u32_u24_e32 v77, 0x10001, v129
	;; [unrolled: 1-line block ×5, first 2 shown]
	v_pk_fma_f16 v28, v37, v76, v40
	v_pk_fma_f16 v31, v37, v77, v43
	;; [unrolled: 1-line block ×12, first 2 shown]
	v_mul_u32_u24_e32 v127, 0x10001, v176
	v_mul_u32_u24_e32 v128, 0x10001, v138
	v_pk_fma_f16 v8, v32, v105, v8
	v_pk_fma_f16 v20, v33, v79, v20
	;; [unrolled: 1-line block ×16, first 2 shown]
	v_mul_u32_u24_e32 v129, 0x10001, v177
	v_mul_u32_u24_e32 v130, 0x10001, v175
	v_pk_fma_f16 v8, v24, v128, v8
	v_pk_fma_f16 v20, v25, v100, v20
	;; [unrolled: 1-line block ×16, first 2 shown]
	v_mul_u32_u24_e32 v138, 0x10001, v178
	v_pk_fma_f16 v8, v44, v101, v8
	v_pk_fma_f16 v20, v45, v129, v20
	;; [unrolled: 1-line block ×16, first 2 shown]
	s_wait_xcnt 0x0
	v_mul_u32_u24_e32 v140, 0x10001, v194
	v_mul_u32_u24_e32 v141, 0x10001, v197
	v_pk_fma_f16 v8, v48, v138, v8
	v_pk_fma_f16 v20, v49, v132, v20
	;; [unrolled: 1-line block ×32, first 2 shown]
	v_mul_u32_u24_e32 v171, 0x10001, v198
	v_pk_fma_f16 v8, v56, v144, v8
	v_pk_fma_f16 v20, v57, v84, v20
	;; [unrolled: 1-line block ×48, first 2 shown]
	v_mul_u32_u24_e32 v175, 0x10001, v200
	v_mul_u32_u24_e32 v176, 0x10001, v201
	v_pk_fma_f16 v8, v68, v173, v8
	v_pk_fma_f16 v20, v69, v90, v20
	;; [unrolled: 1-line block ×16, first 2 shown]
	v_mul_u32_u24_e32 v177, 0x10001, v202
	v_mul_u32_u24_e32 v178, 0x10001, v203
	v_pk_fma_f16 v8, v72, v176, v8
	v_pk_fma_f16 v20, v73, v92, v20
	;; [unrolled: 1-line block ×32, first 2 shown]
	s_wait_loadcnt_dscnt 0x0
	ds_store_b128 v174, v[16:19]
	s_wait_storecnt_dscnt 0x0
	s_barrier_signal -1
	s_barrier_wait -1
	ds_load_2addr_b64 v[36:39], v158 offset1:32
	ds_load_b128 v[28:31], v157 offset:34048
	ds_load_b128 v[32:35], v157 offset:34064
	;; [unrolled: 1-line block ×4, first 2 shown]
	ds_load_2addr_b64 v[48:51], v158 offset0:64 offset1:96
	ds_load_2addr_b64 v[116:119], v158 offset0:128 offset1:160
	;; [unrolled: 1-line block ×3, first 2 shown]
	ds_load_2addr_b64 v[56:59], v166 offset1:32
	ds_load_2addr_b64 v[88:91], v166 offset0:64 offset1:96
	ds_load_2addr_b64 v[84:87], v166 offset0:128 offset1:160
	;; [unrolled: 1-line block ×3, first 2 shown]
	ds_load_2addr_b64 v[76:79], v167 offset1:32
	ds_load_2addr_b64 v[68:71], v167 offset0:64 offset1:96
	ds_load_2addr_b64 v[72:75], v167 offset0:128 offset1:160
	ds_load_b128 v[100:103], v157 offset:34112
	ds_load_b128 v[104:107], v157 offset:34128
	ds_load_2addr_b64 v[64:67], v167 offset0:192 offset1:224
	ds_load_2addr_b64 v[60:63], v170 offset1:32
	ds_load_2addr_b64 v[24:27], v170 offset0:64 offset1:96
	ds_load_2addr_b64 v[20:23], v170 offset0:128 offset1:160
	ds_load_b128 v[108:111], v157 offset:34144
	ds_load_b128 v[124:127], v157 offset:34160
	ds_load_2addr_b64 v[16:19], v170 offset0:192 offset1:224
	ds_load_2addr_b64 v[8:11], v169 offset1:32
	ds_load_2addr_b64 v[4:7], v169 offset0:64 offset1:96
	ds_load_b128 v[96:99], v157 offset:34176
	ds_load_b128 v[92:95], v157 offset:34192
	s_wait_dscnt 0x1a
	v_dual_lshrrev_b32 v158, 16, v28 :: v_dual_lshrrev_b32 v166, 16, v29
	v_and_b32_e32 v28, 0xffff, v28
	v_and_b32_e32 v167, 0xffff, v29
	v_dual_lshrrev_b32 v174, 16, v30 :: v_dual_lshrrev_b32 v178, 16, v31
	s_wait_dscnt 0x19
	v_dual_lshrrev_b32 v181, 16, v32 :: v_dual_lshrrev_b32 v182, 16, v33
	v_and_b32_e32 v184, 0xffff, v33
	v_mul_u32_u24_e32 v33, 0x10001, v158
	v_and_b32_e32 v179, 0xffff, v30
	v_and_b32_e32 v180, 0xffff, v31
	;; [unrolled: 1-line block ×3, first 2 shown]
	s_wait_dscnt 0x18
	v_dual_lshrrev_b32 v189, 16, v40 :: v_dual_lshrrev_b32 v190, 16, v41
	v_and_b32_e32 v191, 0xffff, v40
	s_wait_dscnt 0x17
	v_dual_lshrrev_b32 v197, 16, v44 :: v_dual_lshrrev_b32 v198, 16, v45
	v_and_b32_e32 v199, 0xffff, v44
	;; [unrolled: 3-line block ×3, first 2 shown]
	v_and_b32_e32 v208, 0xffff, v101
	v_dual_lshrrev_b32 v171, 16, v102 :: v_dual_lshrrev_b32 v145, 16, v103
	v_and_b32_e32 v172, 0xffff, v102
	v_and_b32_e32 v170, 0xffff, v103
	s_wait_dscnt 0xb
	v_dual_lshrrev_b32 v140, 16, v104 :: v_dual_lshrrev_b32 v133, 16, v105
	v_and_b32_e32 v142, 0xffff, v104
	v_and_b32_e32 v138, 0xffff, v105
	v_dual_lshrrev_b32 v122, 16, v106 :: v_dual_lshrrev_b32 v121, 16, v107
	v_and_b32_e32 v131, 0xffff, v106
	v_and_b32_e32 v123, 0xffff, v107
	s_wait_dscnt 0x6
	v_dual_lshrrev_b32 v103, 16, v110 :: v_dual_lshrrev_b32 v100, 16, v111
	v_and_b32_e32 v106, 0xffff, v111
	s_wait_dscnt 0x5
	v_dual_lshrrev_b32 v104, 16, v124 :: v_dual_lshrrev_b32 v101, 16, v125
	v_and_b32_e32 v107, 0xffff, v125
	v_dual_lshrrev_b32 v105, 16, v126 :: v_dual_lshrrev_b32 v102, 16, v127
	v_mul_u32_u24_e32 v32, 0x10001, v28
	v_and_b32_e32 v111, 0xffff, v127
	v_mul_u32_u24_e32 v40, 0x10001, v167
	v_pk_fma_f16 v44, v37, v33, v129
	v_mul_u32_u24_e32 v125, 0x10001, v166
	v_mul_u32_u24_e32 v127, 0x10001, v174
	v_and_b32_e32 v192, 0xffff, v41
	v_dual_lshrrev_b32 v193, 16, v42 :: v_dual_lshrrev_b32 v194, 16, v43
	v_and_b32_e32 v195, 0xffff, v42
	v_and_b32_e32 v196, 0xffff, v43
	;; [unrolled: 1-line block ×3, first 2 shown]
	v_dual_lshrrev_b32 v201, 16, v46 :: v_dual_lshrrev_b32 v202, 16, v47
	v_and_b32_e32 v203, 0xffff, v46
	v_and_b32_e32 v204, 0xffff, v47
	v_dual_lshrrev_b32 v113, 16, v108 :: v_dual_lshrrev_b32 v112, 16, v109
	v_and_b32_e32 v115, 0xffff, v108
	v_and_b32_e32 v114, 0xffff, v109
	;; [unrolled: 1-line block ×5, first 2 shown]
	v_pk_fma_f16 v41, v36, v32, v175
	v_pk_fma_f16 v42, v36, v33, v176
	;; [unrolled: 1-line block ×7, first 2 shown]
	v_mul_u32_u24_e32 v126, 0x10001, v179
	v_pk_fma_f16 v128, v36, v40, v177
	v_pk_fma_f16 v129, v37, v40, v130
	;; [unrolled: 1-line block ×8, first 2 shown]
	v_mul_u32_u24_e32 v141, 0x10001, v180
	v_pk_fma_f16 v147, v49, v127, v44
	v_mul_u32_u24_e32 v44, 0x10001, v178
	v_dual_lshrrev_b32 v185, 16, v34 :: v_dual_lshrrev_b32 v186, 16, v35
	v_and_b32_e32 v187, 0xffff, v34
	v_pk_fma_f16 v143, v48, v126, v41
	v_pk_fma_f16 v144, v48, v127, v42
	;; [unrolled: 1-line block ×7, first 2 shown]
	v_mul_u32_u24_e32 v127, 0x10001, v183
	v_mul_u32_u24_e32 v167, 0x10001, v181
	v_pk_fma_f16 v128, v48, v141, v128
	v_pk_fma_f16 v134, v51, v141, v134
	;; [unrolled: 1-line block ×4, first 2 shown]
	v_mul_u32_u24_e32 v120, 0x10001, v184
	v_mul_u32_u24_e32 v125, 0x10001, v182
	v_and_b32_e32 v188, 0xffff, v35
	v_pk_fma_f16 v129, v49, v141, v129
	v_pk_fma_f16 v130, v50, v141, v130
	;; [unrolled: 1-line block ×10, first 2 shown]
	v_mul_u32_u24_e32 v127, 0x10001, v187
	v_pk_fma_f16 v128, v116, v120, v128
	v_pk_fma_f16 v147, v116, v125, v48
	v_mul_u32_u24_e32 v116, 0x10001, v185
	v_pk_fma_f16 v146, v118, v167, v166
	v_pk_fma_f16 v124, v119, v167, v124
	;; [unrolled: 1-line block ×12, first 2 shown]
	v_mul_u32_u24_e32 v127, 0x10001, v188
	v_pk_fma_f16 v134, v52, v116, v139
	v_pk_fma_f16 v139, v53, v116, v143
	v_mul_u32_u24_e32 v143, 0x10001, v186
	ds_load_b128 v[174:177], v157 offset:34208
	ds_load_b128 v[178:181], v157 offset:34224
	v_pk_fma_f16 v141, v54, v116, v146
	v_pk_fma_f16 v128, v52, v127, v128
	;; [unrolled: 1-line block ×3, first 2 shown]
	v_mul_u32_u24_e32 v52, 0x10001, v191
	v_pk_fma_f16 v124, v55, v116, v124
	s_wait_dscnt 0x3
	v_lshrrev_b32_e32 v116, 16, v96
	v_pk_fma_f16 v129, v53, v127, v129
	v_pk_fma_f16 v144, v54, v127, v117
	;; [unrolled: 1-line block ×3, first 2 shown]
	v_lshrrev_b32_e32 v117, 16, v97
	v_pk_fma_f16 v147, v53, v143, v158
	v_pk_fma_f16 v158, v54, v143, v118
	;; [unrolled: 1-line block ×3, first 2 shown]
	v_and_b32_e32 v119, 0xffff, v96
	v_and_b32_e32 v118, 0xffff, v97
	v_dual_lshrrev_b32 v96, 16, v98 :: v_dual_lshrrev_b32 v97, 16, v99
	v_and_b32_e32 v120, 0xffff, v98
	v_and_b32_e32 v98, 0xffff, v99
	v_mul_u32_u24_e32 v99, 0x10001, v189
	v_pk_fma_f16 v166, v56, v52, v125
	v_pk_fma_f16 v167, v59, v52, v126
	v_mul_u32_u24_e32 v125, 0x10001, v192
	v_mul_u32_u24_e32 v126, 0x10001, v190
	ds_load_2addr_b64 v[28:31], v169 offset0:128 offset1:160
	ds_load_2addr_b64 v[32:35], v169 offset0:192 offset1:224
	ds_load_2addr_b64 v[36:39], v168 offset1:32
	ds_load_2addr_b64 v[40:43], v168 offset0:64 offset1:96
	ds_load_2addr_b64 v[44:47], v168 offset0:128 offset1:160
	;; [unrolled: 1-line block ×3, first 2 shown]
	v_pk_fma_f16 v130, v57, v52, v130
	v_pk_fma_f16 v134, v56, v99, v134
	;; [unrolled: 1-line block ×5, first 2 shown]
	s_wait_dscnt 0x8
	v_dual_lshrrev_b32 v99, 16, v92 :: v_dual_lshrrev_b32 v124, 16, v93
	v_pk_fma_f16 v128, v56, v125, v128
	v_pk_fma_f16 v129, v57, v125, v129
	;; [unrolled: 1-line block ×8, first 2 shown]
	v_and_b32_e32 v126, 0xffff, v92
	v_and_b32_e32 v125, 0xffff, v93
	v_dual_lshrrev_b32 v92, 16, v94 :: v_dual_lshrrev_b32 v93, 16, v95
	v_mul_u32_u24_e32 v56, 0x10001, v195
	v_and_b32_e32 v127, 0xffff, v94
	v_and_b32_e32 v94, 0xffff, v95
	v_mul_u32_u24_e32 v95, 0x10001, v193
	v_pk_fma_f16 v132, v58, v52, v132
	v_pk_fma_f16 v173, v89, v56, v130
	v_mul_u32_u24_e32 v130, 0x10001, v196
	v_pk_fma_f16 v166, v88, v56, v166
	v_pk_fma_f16 v182, v91, v95, v168
	;; [unrolled: 3-line block ×3, first 2 shown]
	v_pk_fma_f16 v134, v88, v95, v134
	v_pk_fma_f16 v139, v89, v95, v139
	;; [unrolled: 1-line block ×3, first 2 shown]
	s_wait_dscnt 0x7
	v_lshrrev_b32_e32 v95, 16, v174
	v_pk_fma_f16 v185, v91, v130, v169
	v_pk_fma_f16 v146, v88, v168, v146
	;; [unrolled: 1-line block ×5, first 2 shown]
	v_and_b32_e32 v91, 0xffff, v174
	v_mul_u32_u24_e32 v168, 0x10001, v199
	v_mul_u32_u24_e32 v174, 0x10001, v197
	v_pk_fma_f16 v183, v88, v130, v128
	v_pk_fma_f16 v184, v89, v130, v129
	;; [unrolled: 1-line block ×3, first 2 shown]
	v_lshrrev_b32_e32 v128, 16, v175
	v_and_b32_e32 v90, 0xffff, v175
	v_dual_lshrrev_b32 v88, 16, v176 :: v_dual_lshrrev_b32 v89, 16, v177
	v_and_b32_e32 v130, 0xffff, v176
	v_and_b32_e32 v129, 0xffff, v177
	v_pk_fma_f16 v175, v84, v168, v166
	v_pk_fma_f16 v173, v85, v168, v173
	;; [unrolled: 1-line block ×4, first 2 shown]
	ds_load_b128 v[166:169], v157 offset:34240
	v_mul_u32_u24_e32 v186, 0x10001, v200
	v_pk_fma_f16 v188, v85, v174, v139
	v_mul_u32_u24_e32 v139, 0x10001, v198
	v_pk_fma_f16 v187, v84, v174, v134
	v_pk_fma_f16 v189, v86, v174, v141
	;; [unrolled: 1-line block ×3, first 2 shown]
	s_wait_dscnt 0x7
	v_dual_lshrrev_b32 v132, 16, v178 :: v_dual_lshrrev_b32 v134, 16, v179
	v_pk_fma_f16 v183, v84, v186, v183
	v_pk_fma_f16 v184, v85, v186, v184
	;; [unrolled: 1-line block ×5, first 2 shown]
	v_and_b32_e32 v87, 0xffff, v178
	v_mul_u32_u24_e32 v178, 0x10001, v201
	v_pk_fma_f16 v146, v84, v139, v146
	v_mul_u32_u24_e32 v143, 0x10001, v203
	v_mul_u32_u24_e32 v190, 0x10001, v204
	v_pk_fma_f16 v147, v85, v139, v147
	v_pk_fma_f16 v187, v80, v178, v187
	;; [unrolled: 1-line block ×5, first 2 shown]
	v_mul_u32_u24_e32 v182, 0x10001, v202
	v_pk_fma_f16 v158, v86, v139, v158
	v_and_b32_e32 v86, 0xffff, v179
	v_dual_lshrrev_b32 v84, 16, v180 :: v_dual_lshrrev_b32 v85, 16, v181
	v_and_b32_e32 v141, 0xffff, v180
	v_and_b32_e32 v139, 0xffff, v181
	v_pk_fma_f16 v179, v80, v143, v175
	v_pk_fma_f16 v173, v81, v143, v173
	;; [unrolled: 1-line block ×9, first 2 shown]
	v_mul_u32_u24_e32 v80, 0x10001, v207
	ds_load_b128 v[174:177], v157 offset:34256
	s_wait_dscnt 0x1
	v_dual_lshrrev_b32 v143, 16, v166 :: v_dual_lshrrev_b32 v144, 16, v167
	v_pk_fma_f16 v192, v81, v182, v147
	v_pk_fma_f16 v193, v82, v182, v158
	;; [unrolled: 1-line block ×3, first 2 shown]
	v_and_b32_e32 v158, 0xffff, v167
	v_dual_lshrrev_b32 v146, 16, v168 :: v_dual_lshrrev_b32 v147, 16, v169
	v_and_b32_e32 v167, 0xffff, v169
	v_mul_u32_u24_e32 v169, 0x10001, v205
	v_pk_fma_f16 v179, v76, v80, v179
	v_pk_fma_f16 v173, v77, v80, v173
	;; [unrolled: 1-line block ×4, first 2 shown]
	ds_load_b128 v[80:83], v157 offset:34272
	v_mul_u32_u24_e32 v186, 0x10001, v208
	v_mul_u32_u24_e32 v194, 0x10001, v206
	v_pk_fma_f16 v187, v76, v169, v187
	v_pk_fma_f16 v188, v77, v169, v188
	v_pk_fma_f16 v189, v78, v169, v189
	v_pk_fma_f16 v178, v79, v169, v178
	v_pk_fma_f16 v183, v76, v186, v183
	v_pk_fma_f16 v184, v77, v186, v184
	v_pk_fma_f16 v191, v78, v186, v191
	v_pk_fma_f16 v185, v79, v186, v185
	v_pk_fma_f16 v190, v76, v194, v190
	v_pk_fma_f16 v192, v77, v194, v192
	v_pk_fma_f16 v193, v78, v194, v193
	v_pk_fma_f16 v182, v79, v194, v182
	ds_load_b128 v[76:79], v157 offset:34288
	v_mul_u32_u24_e32 v172, 0x10001, v172
	v_mul_u32_u24_e32 v157, 0x10001, v171
	;; [unrolled: 1-line block ×5, first 2 shown]
	v_pk_fma_f16 v171, v68, v172, v179
	v_pk_fma_f16 v173, v69, v172, v173
	v_pk_fma_f16 v179, v70, v172, v180
	v_pk_fma_f16 v172, v71, v172, v181
	s_wait_dscnt 0x1
	v_lshrrev_b32_e32 v180, 16, v80
	v_pk_fma_f16 v181, v68, v157, v187
	v_pk_fma_f16 v187, v69, v157, v188
	;; [unrolled: 1-line block ×4, first 2 shown]
	v_lshrrev_b32_e32 v178, 16, v81
	v_pk_fma_f16 v183, v68, v170, v183
	v_pk_fma_f16 v184, v69, v170, v184
	;; [unrolled: 1-line block ×4, first 2 shown]
	v_and_b32_e32 v185, 0xffff, v80
	v_pk_fma_f16 v80, v68, v145, v190
	v_pk_fma_f16 v190, v69, v145, v192
	;; [unrolled: 1-line block ×4, first 2 shown]
	v_and_b32_e32 v182, 0xffff, v81
	v_dual_lshrrev_b32 v192, 16, v82 :: v_dual_lshrrev_b32 v193, 16, v83
	v_mul_u32_u24_e32 v81, 0x10001, v142
	v_and_b32_e32 v142, 0xffff, v82
	v_mul_u32_u24_e32 v82, 0x10001, v140
	v_mul_u32_u24_e32 v133, 0x10001, v133
	v_and_b32_e32 v196, 0xffff, v83
	v_pk_fma_f16 v83, v72, v81, v171
	v_pk_fma_f16 v140, v73, v81, v173
	;; [unrolled: 1-line block ×4, first 2 shown]
	s_wait_dscnt 0x0
	v_lshrrev_b32_e32 v172, 16, v76
	v_pk_fma_f16 v173, v72, v82, v181
	v_pk_fma_f16 v179, v73, v82, v187
	;; [unrolled: 1-line block ×4, first 2 shown]
	v_lshrrev_b32_e32 v157, 16, v77
	v_pk_fma_f16 v183, v72, v138, v183
	v_pk_fma_f16 v184, v73, v138, v184
	;; [unrolled: 1-line block ×4, first 2 shown]
	v_and_b32_e32 v170, 0xffff, v76
	v_pk_fma_f16 v80, v72, v133, v80
	v_pk_fma_f16 v188, v73, v133, v190
	;; [unrolled: 1-line block ×4, first 2 shown]
	v_and_b32_e32 v145, 0xffff, v77
	v_dual_lshrrev_b32 v190, 16, v78 :: v_dual_lshrrev_b32 v191, 16, v79
	v_and_b32_e32 v197, 0xffff, v78
	v_mul_u32_u24_e32 v76, 0x10001, v131
	v_mul_u32_u24_e32 v77, 0x10001, v122
	;; [unrolled: 1-line block ×4, first 2 shown]
	ds_load_2addr_b64 v[52:55], v165 offset1:32
	ds_load_2addr_b64 v[56:59], v165 offset0:64 offset1:96
	ds_load_2addr_b64 v[68:71], v165 offset0:128 offset1:160
	;; [unrolled: 1-line block ×3, first 2 shown]
	v_pk_fma_f16 v83, v64, v76, v83
	v_pk_fma_f16 v122, v65, v76, v140
	;; [unrolled: 1-line block ×11, first 2 shown]
	v_mul_u32_u24_e32 v115, 0x10001, v115
	v_mul_u32_u24_e32 v113, 0x10001, v113
	v_mul_u32_u24_e32 v114, 0x10001, v114
	v_pk_fma_f16 v181, v64, v121, v80
	v_pk_fma_f16 v183, v65, v121, v188
	;; [unrolled: 1-line block ×3, first 2 shown]
	v_mul_u32_u24_e32 v112, 0x10001, v112
	v_pk_fma_f16 v82, v67, v77, v82
	v_pk_fma_f16 v121, v67, v121, v133
	v_pk_fma_f16 v133, v60, v115, v83
	v_pk_fma_f16 v131, v60, v113, v131
	v_pk_fma_f16 v171, v60, v114, v171
	v_pk_fma_f16 v122, v61, v115, v122
	v_pk_fma_f16 v140, v61, v113, v140
	v_pk_fma_f16 v173, v61, v114, v173
	v_pk_fma_f16 v123, v62, v115, v123
	v_pk_fma_f16 v165, v62, v113, v165
	v_pk_fma_f16 v179, v62, v114, v179
	v_pk_fma_f16 v115, v63, v115, v81
	v_pk_fma_f16 v114, v63, v114, v138
	v_pk_fma_f16 v138, v60, v112, v181
	v_pk_fma_f16 v181, v61, v112, v183
	v_pk_fma_f16 v183, v62, v112, v184
	v_mul_u32_u24_e32 v108, 0x10001, v108
	v_mul_u32_u24_e32 v103, 0x10001, v103
	v_mul_u32_u24_e32 v106, 0x10001, v106
	v_mul_u32_u24_e32 v100, 0x10001, v100
	v_pk_fma_f16 v113, v63, v113, v82
	v_pk_fma_f16 v112, v63, v112, v121
	v_mul_u32_u24_e32 v109, 0x10001, v109
	v_mul_u32_u24_e32 v104, 0x10001, v104
	v_mul_u32_u24_e32 v107, 0x10001, v107
	v_mul_u32_u24_e32 v101, 0x10001, v101
	v_pk_fma_f16 v133, v24, v108, v133
	v_pk_fma_f16 v131, v24, v103, v131
	v_pk_fma_f16 v171, v24, v106, v171
	v_pk_fma_f16 v24, v24, v100, v138
	v_pk_fma_f16 v122, v25, v108, v122
	v_pk_fma_f16 v138, v25, v103, v140
	v_pk_fma_f16 v140, v25, v106, v173
	v_pk_fma_f16 v25, v25, v100, v181
	v_pk_fma_f16 v123, v26, v108, v123
	v_pk_fma_f16 v165, v26, v103, v165
	v_pk_fma_f16 v173, v26, v106, v179
	v_pk_fma_f16 v26, v26, v100, v183
	v_pk_fma_f16 v108, v27, v108, v115
	v_pk_fma_f16 v103, v27, v103, v113
	v_pk_fma_f16 v106, v27, v106, v114
	v_pk_fma_f16 v27, v27, v100, v112
	v_mul_u32_u24_e32 v110, 0x10001, v110
	v_mul_u32_u24_e32 v105, 0x10001, v105
	v_mul_u32_u24_e32 v111, 0x10001, v111
	v_mul_u32_u24_e32 v102, 0x10001, v102
	v_pk_fma_f16 v100, v20, v109, v133
	v_pk_fma_f16 v112, v20, v104, v131
	v_pk_fma_f16 v113, v20, v107, v171
	v_pk_fma_f16 v20, v20, v101, v24
	v_pk_fma_f16 v24, v21, v109, v122
	v_pk_fma_f16 v114, v21, v104, v138
	v_pk_fma_f16 v115, v21, v107, v140
	v_pk_fma_f16 v21, v21, v101, v25
	v_pk_fma_f16 v25, v22, v109, v123
	v_pk_fma_f16 v122, v22, v104, v165
	v_pk_fma_f16 v123, v22, v107, v173
	v_pk_fma_f16 v22, v22, v101, v26
	v_pk_fma_f16 v26, v23, v109, v108
	v_pk_fma_f16 v103, v23, v104, v103
	;; [unrolled: 20-line block ×4, first 2 shown]
	v_pk_fma_f16 v26, v11, v118, v103
	v_pk_fma_f16 v11, v11, v117, v19
	v_mul_u32_u24_e32 v121, 0x10001, v126
	v_pk_fma_f16 v19, v4, v120, v23
	v_pk_fma_f16 v23, v4, v96, v27
	;; [unrolled: 1-line block ×13, first 2 shown]
	v_mul_u32_u24_e32 v99, 0x10001, v99
	v_mul_u32_u24_e32 v125, 0x10001, v125
	;; [unrolled: 1-line block ×3, first 2 shown]
	v_pk_fma_f16 v18, v7, v96, v22
	v_pk_fma_f16 v22, v7, v98, v26
	v_pk_fma_f16 v7, v7, v97, v11
	v_mul_u32_u24_e32 v126, 0x10001, v127
	v_pk_fma_f16 v11, v28, v121, v19
	v_pk_fma_f16 v8, v29, v121, v8
	v_pk_fma_f16 v9, v30, v121, v9
	v_pk_fma_f16 v10, v31, v121, v10
	v_mul_u32_u24_e32 v92, 0x10001, v92
	v_mul_u32_u24_e32 v94, 0x10001, v94
	v_mul_u32_u24_e32 v93, 0x10001, v93
	v_pk_fma_f16 v19, v28, v99, v23
	v_pk_fma_f16 v23, v28, v125, v27
	v_pk_fma_f16 v4, v28, v124, v4
	v_pk_fma_f16 v16, v29, v99, v16
	v_pk_fma_f16 v20, v29, v125, v20
	v_pk_fma_f16 v5, v29, v124, v5
	v_pk_fma_f16 v17, v30, v99, v17
	v_pk_fma_f16 v21, v30, v125, v21
	v_pk_fma_f16 v6, v30, v124, v6
	v_pk_fma_f16 v18, v31, v99, v18
	v_pk_fma_f16 v22, v31, v125, v22
	v_pk_fma_f16 v7, v31, v124, v7
	v_mul_u32_u24_e32 v91, 0x10001, v91
	v_pk_fma_f16 v11, v32, v126, v11
	v_pk_fma_f16 v8, v33, v126, v8
	v_pk_fma_f16 v9, v34, v126, v9
	v_pk_fma_f16 v10, v35, v126, v10
	v_mul_u32_u24_e32 v95, 0x10001, v95
	v_mul_u32_u24_e32 v90, 0x10001, v90
	v_mul_u32_u24_e32 v127, 0x10001, v128
	v_pk_fma_f16 v19, v32, v92, v19
	v_pk_fma_f16 v23, v32, v94, v23
	v_pk_fma_f16 v4, v32, v93, v4
	v_pk_fma_f16 v16, v33, v92, v16
	v_pk_fma_f16 v20, v33, v94, v20
	v_pk_fma_f16 v5, v33, v93, v5
	v_pk_fma_f16 v17, v34, v92, v17
	v_pk_fma_f16 v21, v34, v94, v21
	v_pk_fma_f16 v6, v34, v93, v6
	;; [unrolled: 20-line block ×4, first 2 shown]
	v_pk_fma_f16 v18, v43, v88, v18
	v_pk_fma_f16 v22, v43, v129, v22
	;; [unrolled: 1-line block ×3, first 2 shown]
	v_and_b32_e32 v166, 0xffff, v166
	v_mul_u32_u24_e32 v134, 0x10001, v141
	v_pk_fma_f16 v11, v44, v87, v11
	v_pk_fma_f16 v8, v45, v87, v8
	;; [unrolled: 1-line block ×4, first 2 shown]
	v_and_b32_e32 v198, 0xffff, v79
	ds_load_2addr_b64 v[76:79], v137 offset1:32
	ds_load_2addr_b64 v[64:67], v137 offset0:64 offset1:96
	ds_load_2addr_b64 v[80:83], v137 offset0:128 offset1:160
	ds_load_2addr_b64 v[60:63], v137 offset0:192 offset1:224
	v_mul_u32_u24_e32 v84, 0x10001, v84
	v_mul_u32_u24_e32 v137, 0x10001, v139
	;; [unrolled: 1-line block ×3, first 2 shown]
	v_pk_fma_f16 v19, v44, v130, v19
	v_pk_fma_f16 v23, v44, v86, v23
	v_pk_fma_f16 v4, v44, v132, v4
	v_pk_fma_f16 v16, v45, v130, v16
	v_pk_fma_f16 v20, v45, v86, v20
	v_pk_fma_f16 v5, v45, v132, v5
	v_pk_fma_f16 v17, v46, v130, v17
	v_pk_fma_f16 v21, v46, v86, v21
	v_pk_fma_f16 v6, v46, v132, v6
	v_pk_fma_f16 v18, v47, v130, v18
	v_pk_fma_f16 v22, v47, v86, v22
	v_pk_fma_f16 v7, v47, v132, v7
	v_and_b32_e32 v168, 0xffff, v168
	v_mul_u32_u24_e32 v139, 0x10001, v166
	v_pk_fma_f16 v11, v48, v134, v11
	v_pk_fma_f16 v8, v49, v134, v8
	;; [unrolled: 1-line block ×4, first 2 shown]
	v_mul_u32_u24_e32 v141, 0x10001, v143
	v_mul_u32_u24_e32 v143, 0x10001, v158
	;; [unrolled: 1-line block ×3, first 2 shown]
	v_pk_fma_f16 v19, v48, v84, v19
	v_pk_fma_f16 v23, v48, v137, v23
	;; [unrolled: 1-line block ×12, first 2 shown]
	v_dual_lshrrev_b32 v169, 16, v174 :: v_dual_lshrrev_b32 v186, 16, v175
	v_and_b32_e32 v174, 0xffff, v174
	v_mul_u32_u24_e32 v158, 0x10001, v168
	s_wait_dscnt 0x7
	v_pk_fma_f16 v11, v52, v139, v11
	v_pk_fma_f16 v8, v53, v139, v8
	;; [unrolled: 1-line block ×4, first 2 shown]
	v_and_b32_e32 v175, 0xffff, v175
	v_mul_u32_u24_e32 v146, 0x10001, v146
	v_mul_u32_u24_e32 v166, 0x10001, v167
	;; [unrolled: 1-line block ×3, first 2 shown]
	v_pk_fma_f16 v19, v52, v141, v19
	v_pk_fma_f16 v23, v52, v143, v23
	;; [unrolled: 1-line block ×12, first 2 shown]
	v_dual_lshrrev_b32 v194, 16, v176 :: v_dual_lshrrev_b32 v195, 16, v177
	v_and_b32_e32 v176, 0xffff, v176
	v_mul_u32_u24_e32 v167, 0x10001, v174
	s_wait_dscnt 0x6
	v_pk_fma_f16 v11, v56, v158, v11
	v_pk_fma_f16 v8, v57, v158, v8
	;; [unrolled: 1-line block ×4, first 2 shown]
	v_and_b32_e32 v177, 0xffff, v177
	v_mul_u32_u24_e32 v168, 0x10001, v169
	v_mul_u32_u24_e32 v169, 0x10001, v175
	v_mul_u32_u24_e32 v174, 0x10001, v186
	v_pk_fma_f16 v19, v56, v146, v19
	v_pk_fma_f16 v23, v56, v166, v23
	v_pk_fma_f16 v4, v56, v147, v4
	v_pk_fma_f16 v16, v57, v146, v16
	v_pk_fma_f16 v20, v57, v166, v20
	v_pk_fma_f16 v5, v57, v147, v5
	v_pk_fma_f16 v17, v58, v146, v17
	v_pk_fma_f16 v21, v58, v166, v21
	v_pk_fma_f16 v6, v58, v147, v6
	v_pk_fma_f16 v18, v59, v146, v18
	v_pk_fma_f16 v22, v59, v166, v22
	v_pk_fma_f16 v7, v59, v147, v7
	v_mul_u32_u24_e32 v175, 0x10001, v176
	s_wait_dscnt 0x5
	v_pk_fma_f16 v11, v68, v167, v11
	v_pk_fma_f16 v8, v69, v167, v8
	v_pk_fma_f16 v9, v70, v167, v9
	v_pk_fma_f16 v10, v71, v167, v10
	v_mul_u32_u24_e32 v176, 0x10001, v194
	v_mul_u32_u24_e32 v177, 0x10001, v177
	v_mul_u32_u24_e32 v184, 0x10001, v195
	v_pk_fma_f16 v19, v68, v168, v19
	v_pk_fma_f16 v23, v68, v169, v23
	v_pk_fma_f16 v4, v68, v174, v4
	v_pk_fma_f16 v16, v69, v168, v16
	v_pk_fma_f16 v20, v69, v169, v20
	v_pk_fma_f16 v5, v69, v174, v5
	v_pk_fma_f16 v17, v70, v168, v17
	v_pk_fma_f16 v21, v70, v169, v21
	v_pk_fma_f16 v6, v70, v174, v6
	v_pk_fma_f16 v18, v71, v168, v18
	v_pk_fma_f16 v22, v71, v169, v22
	v_pk_fma_f16 v7, v71, v174, v7
	v_mul_u32_u24_e32 v185, 0x10001, v185
	s_wait_dscnt 0x4
	v_pk_fma_f16 v11, v72, v175, v11
	v_pk_fma_f16 v8, v73, v175, v8
	v_pk_fma_f16 v9, v74, v175, v9
	v_pk_fma_f16 v10, v75, v175, v10
	v_mul_u32_u24_e32 v180, 0x10001, v180
	v_mul_u32_u24_e32 v182, 0x10001, v182
	v_mul_u32_u24_e32 v178, 0x10001, v178
	v_pk_fma_f16 v19, v72, v176, v19
	v_pk_fma_f16 v23, v72, v177, v23
	v_pk_fma_f16 v4, v72, v184, v4
	v_pk_fma_f16 v16, v73, v176, v16
	v_pk_fma_f16 v20, v73, v177, v20
	v_pk_fma_f16 v5, v73, v184, v5
	v_pk_fma_f16 v17, v74, v176, v17
	v_pk_fma_f16 v21, v74, v177, v21
	v_pk_fma_f16 v6, v74, v184, v6
	v_pk_fma_f16 v18, v75, v176, v18
	v_pk_fma_f16 v22, v75, v177, v22
	v_pk_fma_f16 v7, v75, v184, v7
	v_mul_u32_u24_e32 v142, 0x10001, v142
	s_wait_dscnt 0x3
	v_pk_fma_f16 v11, v76, v185, v11
	v_pk_fma_f16 v8, v77, v185, v8
	v_pk_fma_f16 v9, v78, v185, v9
	v_pk_fma_f16 v10, v79, v185, v10
	v_mul_u32_u24_e32 v186, 0x10001, v192
	v_mul_u32_u24_e32 v187, 0x10001, v196
	v_mul_u32_u24_e32 v188, 0x10001, v193
	v_pk_fma_f16 v19, v76, v180, v19
	v_pk_fma_f16 v23, v76, v182, v23
	v_pk_fma_f16 v4, v76, v178, v4
	v_pk_fma_f16 v16, v77, v180, v16
	v_pk_fma_f16 v20, v77, v182, v20
	v_pk_fma_f16 v5, v77, v178, v5
	v_pk_fma_f16 v17, v78, v180, v17
	v_pk_fma_f16 v21, v78, v182, v21
	v_pk_fma_f16 v6, v78, v178, v6
	v_pk_fma_f16 v18, v79, v180, v18
	v_pk_fma_f16 v22, v79, v182, v22
	v_pk_fma_f16 v7, v79, v178, v7
	v_mul_u32_u24_e32 v170, 0x10001, v170
	s_wait_dscnt 0x2
	v_pk_fma_f16 v11, v64, v142, v11
	v_pk_fma_f16 v8, v65, v142, v8
	v_pk_fma_f16 v9, v66, v142, v9
	v_pk_fma_f16 v10, v67, v142, v10
	v_mul_u32_u24_e32 v172, 0x10001, v172
	v_mul_u32_u24_e32 v145, 0x10001, v145
	v_mul_u32_u24_e32 v157, 0x10001, v157
	v_pk_fma_f16 v19, v64, v186, v19
	v_pk_fma_f16 v23, v64, v187, v23
	v_pk_fma_f16 v4, v64, v188, v4
	v_pk_fma_f16 v16, v65, v186, v16
	v_pk_fma_f16 v20, v65, v187, v20
	v_pk_fma_f16 v5, v65, v188, v5
	v_pk_fma_f16 v17, v66, v186, v17
	v_pk_fma_f16 v21, v66, v187, v21
	v_pk_fma_f16 v6, v66, v188, v6
	v_pk_fma_f16 v18, v67, v186, v18
	v_pk_fma_f16 v22, v67, v187, v22
	v_pk_fma_f16 v7, v67, v188, v7
	v_mul_u32_u24_e32 v189, 0x10001, v197
	s_wait_dscnt 0x1
	v_pk_fma_f16 v11, v80, v170, v11
	v_pk_fma_f16 v8, v81, v170, v8
	v_pk_fma_f16 v9, v82, v170, v9
	v_pk_fma_f16 v10, v83, v170, v10
	v_mul_u32_u24_e32 v190, 0x10001, v190
	v_mul_u32_u24_e32 v192, 0x10001, v198
	;; [unrolled: 1-line block ×3, first 2 shown]
	v_pk_fma_f16 v19, v80, v172, v19
	v_pk_fma_f16 v23, v80, v145, v23
	;; [unrolled: 1-line block ×12, first 2 shown]
	s_wait_dscnt 0x0
	v_pk_fma_f16 v46, v60, v189, v11
	v_pk_fma_f16 v47, v61, v189, v8
	;; [unrolled: 1-line block ×4, first 2 shown]
	v_mov_b64_e32 v[10:11], v[2:3]
	v_mov_b64_e32 v[8:9], v[0:1]
	v_pk_fma_f16 v45, v60, v190, v19
	v_pk_fma_f16 v44, v60, v192, v23
	;; [unrolled: 1-line block ×12, first 2 shown]
	s_barrier_signal -1
	s_barrier_wait -1
.LBB42_69:
	v_cmp_lt_i32_e32 vcc_lo, v164, v163
	s_cmp_eq_u64 s[16:17], 0
	s_cselect_b32 s2, -1, 0
	s_cmp_lg_u32 s35, 0
	v_cndmask_b32_e32 v0, v156, v164, vcc_lo
	v_cmp_lt_i32_e32 vcc_lo, v161, v163
	s_cselect_b32 s3, -1, 0
	s_delay_alu instid0(SALU_CYCLE_1) | instskip(NEXT) | instid1(VALU_DEP_2)
	s_or_b32 s2, s3, s2
	v_dual_cndmask_b32 v4, v156, v161 :: v_dual_lshlrev_b32 v3, 2, v0
	v_cmp_lt_i32_e32 vcc_lo, v160, v163
	s_delay_alu instid0(VALU_DEP_2)
	v_lshlrev_b32_e32 v7, 2, v4
	ds_bpermute_b32 v0, v3, v8
	ds_bpermute_b32 v1, v3, v9
	;; [unrolled: 1-line block ×4, first 2 shown]
	s_wait_dscnt 0x2
	v_pk_add_f32 v[0:1], v[8:9], v[0:1]
	v_cndmask_b32_e32 v8, v156, v160, vcc_lo
	s_wait_dscnt 0x0
	v_pk_add_f32 v[2:3], v[10:11], v[2:3]
	v_cmp_lt_i32_e32 vcc_lo, v159, v163
	ds_bpermute_b32 v4, v7, v0
	ds_bpermute_b32 v5, v7, v1
	;; [unrolled: 1-line block ×4, first 2 shown]
	v_lshlrev_b32_e32 v8, 2, v8
	s_wait_dscnt 0x2
	v_pk_add_f32 v[0:1], v[0:1], v[4:5]
	s_wait_dscnt 0x0
	v_pk_add_f32 v[2:3], v[2:3], v[6:7]
	ds_bpermute_b32 v4, v8, v0
	ds_bpermute_b32 v5, v8, v1
	;; [unrolled: 1-line block ×4, first 2 shown]
	v_cndmask_b32_e32 v8, v156, v159, vcc_lo
	v_cmp_lt_i32_e32 vcc_lo, v162, v163
	s_delay_alu instid0(VALU_DEP_2)
	v_lshlrev_b32_e32 v8, 2, v8
	s_wait_dscnt 0x2
	v_pk_add_f32 v[0:1], v[0:1], v[4:5]
	s_wait_dscnt 0x0
	v_pk_add_f32 v[2:3], v[2:3], v[6:7]
	ds_bpermute_b32 v4, v8, v0
	ds_bpermute_b32 v5, v8, v1
	;; [unrolled: 1-line block ×4, first 2 shown]
	v_cndmask_b32_e32 v8, v156, v162, vcc_lo
	s_and_b32 vcc_lo, exec_lo, s2
	s_delay_alu instid0(VALU_DEP_1)
	v_lshlrev_b32_e32 v8, 2, v8
	s_wait_dscnt 0x2
	v_pk_add_f32 v[0:1], v[0:1], v[4:5]
	s_wait_dscnt 0x0
	v_pk_add_f32 v[4:5], v[2:3], v[6:7]
	ds_bpermute_b32 v2, v8, v0
	ds_bpermute_b32 v3, v8, v1
	;; [unrolled: 1-line block ×4, first 2 shown]
	s_wait_dscnt 0x2
	v_pk_add_f32 v[2:3], v[0:1], v[2:3]
	s_wait_dscnt 0x0
	v_pk_add_f32 v[0:1], v[4:5], v[6:7]
	s_cbranch_vccnz .LBB42_71
; %bb.70:
	v_dual_mov_b32 v4, s33 :: v_dual_max_num_f32 v6, v14, v14
	v_dual_max_num_f32 v9, v15, v15 :: v_dual_max_num_f32 v5, v13, v13
	global_load_b32 v8, v4, s[16:17] scale_offset
	s_wait_xcnt 0x0
	v_max_num_f32_e32 v4, v12, v12
	s_wait_loadcnt 0x0
	v_max_num_f32_e32 v7, v8, v8
	s_delay_alu instid0(VALU_DEP_1) | instskip(SKIP_1) | instid1(VALU_DEP_2)
	v_dual_max_num_f32 v4, v4, v7 :: v_dual_max_num_f32 v5, v5, v7
	v_dual_max_num_f32 v6, v6, v7 :: v_dual_max_num_f32 v7, v9, v7
	v_dual_sub_f32 v9, v12, v4 :: v_dual_sub_f32 v11, v13, v5
	v_dual_sub_f32 v10, v8, v4 :: v_dual_sub_f32 v12, v8, v5
	s_delay_alu instid0(VALU_DEP_3) | instskip(NEXT) | instid1(VALU_DEP_4)
	v_dual_sub_f32 v13, v14, v6 :: v_dual_sub_f32 v14, v8, v6
	v_dual_sub_f32 v15, v15, v7 :: v_dual_sub_f32 v16, v8, v7
	s_delay_alu instid0(VALU_DEP_3) | instskip(NEXT) | instid1(VALU_DEP_4)
	v_dual_mul_f32 v8, 0x3fb8aa3b, v9 :: v_dual_mul_f32 v17, 0x3fb8aa3b, v10
	v_dual_mul_f32 v18, 0x3fb8aa3b, v11 :: v_dual_mul_f32 v19, 0x3fb8aa3b, v12
	s_delay_alu instid0(VALU_DEP_3) | instskip(NEXT) | instid1(VALU_DEP_3)
	v_dual_mul_f32 v22, 0x3fb8aa3b, v15 :: v_dual_mul_f32 v23, 0x3fb8aa3b, v16
	v_fma_f32 v24, 0x3fb8aa3b, v9, -v8
	v_rndne_f32_e32 v25, v8
	v_dual_mul_f32 v20, 0x3fb8aa3b, v13 :: v_dual_mul_f32 v21, 0x3fb8aa3b, v14
	v_fma_f32 v26, 0x3fb8aa3b, v10, -v17
	v_rndne_f32_e32 v27, v17
	v_rndne_f32_e32 v31, v19
	;; [unrolled: 1-line block ×3, first 2 shown]
	v_fmac_f32_e32 v24, 0x32a5705f, v9
	v_sub_f32_e32 v8, v8, v25
	v_fma_f32 v28, 0x3fb8aa3b, v11, -v18
	v_fma_f32 v30, 0x3fb8aa3b, v12, -v19
	v_rndne_f32_e32 v51, v21
	v_fma_f32 v52, 0x3fb8aa3b, v15, -v22
	v_dual_fmac_f32 v26, 0x32a5705f, v10 :: v_dual_sub_f32 v17, v17, v27
	v_dual_sub_f32 v19, v19, v31 :: v_dual_sub_f32 v22, v22, v53
	v_add_f32_e32 v8, v8, v24
	v_fma_f32 v50, 0x3fb8aa3b, v14, -v21
	v_sub_f32_e32 v21, v21, v51
	v_dual_fmac_f32 v28, 0x32a5705f, v11 :: v_dual_add_f32 v17, v17, v26
	s_delay_alu instid0(VALU_DEP_4)
	v_exp_f32_e32 v8, v8
	v_cvt_i32_f32_e32 v25, v25
	v_rndne_f32_e32 v29, v18
	v_cvt_i32_f32_e32 v27, v27
	v_exp_f32_e32 v17, v17
	v_cmp_ngt_f32_e32 vcc_lo, 0xc2ce8ed0, v9
	v_rndne_f32_e32 v49, v20
	v_ldexp_f32 v8, v8, v25
	v_rndne_f32_e32 v55, v23
	v_sub_f32_e32 v18, v18, v29
	v_fma_f32 v48, 0x3fb8aa3b, v13, -v20
	v_ldexp_f32 v17, v17, v27
	v_cndmask_b32_e32 v8, 0, v8, vcc_lo
	v_cmp_ngt_f32_e32 vcc_lo, 0xc2ce8ed0, v10
	v_fma_f32 v54, 0x3fb8aa3b, v16, -v23
	v_dual_fmac_f32 v50, 0x32a5705f, v14 :: v_dual_sub_f32 v23, v23, v55
	v_dual_sub_f32 v20, v20, v49 :: v_dual_add_f32 v18, v18, v28
	v_dual_cndmask_b32 v17, 0, v17 :: v_dual_fmac_f32 v30, 0x32a5705f, v12
	s_delay_alu instid0(VALU_DEP_3) | instskip(NEXT) | instid1(VALU_DEP_3)
	v_dual_add_f32 v21, v21, v50 :: v_dual_fmac_f32 v48, 0x32a5705f, v13
	v_exp_f32_e32 v18, v18
	v_cvt_i32_f32_e32 v29, v29
	s_delay_alu instid0(VALU_DEP_3)
	v_add_f32_e32 v19, v19, v30
	v_cvt_i32_f32_e32 v31, v31
	v_cmp_ngt_f32_e32 vcc_lo, 0xc2ce8ed0, v11
	v_cvt_i32_f32_e32 v49, v49
	v_exp_f32_e32 v21, v21
	v_exp_f32_e32 v19, v19
	v_ldexp_f32 v18, v18, v29
	v_add_f32_e32 v20, v20, v48
	v_cvt_i32_f32_e32 v51, v51
	v_cvt_i32_f32_e32 v55, v55
	;; [unrolled: 1-line block ×3, first 2 shown]
	v_cndmask_b32_e32 v18, 0, v18, vcc_lo
	v_ldexp_f32 v19, v19, v31
	v_cmp_ngt_f32_e32 vcc_lo, 0xc2ce8ed0, v12
	v_fmac_f32_e32 v54, 0x32a5705f, v16
	v_exp_f32_e32 v20, v20
	v_ldexp_f32 v21, v21, v51
	v_cndmask_b32_e32 v19, 0, v19, vcc_lo
	s_delay_alu instid0(VALU_DEP_3) | instskip(SKIP_1) | instid1(TRANS32_DEP_1)
	v_dual_fmac_f32 v52, 0x32a5705f, v15 :: v_dual_add_f32 v23, v23, v54
	v_cmp_ngt_f32_e32 vcc_lo, 0xc2ce8ed0, v13
	v_ldexp_f32 v20, v20, v49
	s_delay_alu instid0(VALU_DEP_3) | instskip(SKIP_1) | instid1(TRANS32_DEP_1)
	v_exp_f32_e32 v23, v23
	v_nop
	v_ldexp_f32 v23, v23, v55
	s_delay_alu instid0(VALU_DEP_3) | instskip(SKIP_2) | instid1(VALU_DEP_1)
	v_cndmask_b32_e32 v20, 0, v20, vcc_lo
	v_cmp_ngt_f32_e32 vcc_lo, 0xc2ce8ed0, v14
	v_dual_add_f32 v22, v22, v52 :: v_dual_cndmask_b32 v21, 0, v21
	v_exp_f32_e32 v22, v22
	v_cmp_ngt_f32_e32 vcc_lo, 0xc2ce8ed0, v15
	s_delay_alu instid0(TRANS32_DEP_1) | instskip(NEXT) | instid1(VALU_DEP_1)
	v_ldexp_f32 v22, v22, v53
	v_cndmask_b32_e32 v22, 0, v22, vcc_lo
	v_cmp_ngt_f32_e32 vcc_lo, 0xc2ce8ed0, v16
	v_cndmask_b32_e32 v23, 0, v23, vcc_lo
	v_cmp_nlt_f32_e32 vcc_lo, 0x42b17218, v9
	v_cndmask_b32_e32 v8, 0x7f800000, v8, vcc_lo
	v_cmp_nlt_f32_e32 vcc_lo, 0x42b17218, v10
	;; [unrolled: 2-line block ×3, first 2 shown]
	s_delay_alu instid0(VALU_DEP_4) | instskip(SKIP_2) | instid1(VALU_DEP_3)
	v_cvt_f16_f32_e32 v17, v8
	v_cndmask_b32_e32 v9, 0x7f800000, v18, vcc_lo
	v_cmp_nlt_f32_e32 vcc_lo, 0x42b17218, v12
	v_and_b32_e32 v17, 0xffff, v17
	v_cndmask_b32_e32 v11, 0x7f800000, v19, vcc_lo
	v_cmp_nlt_f32_e32 vcc_lo, 0x42b17218, v13
	s_delay_alu instid0(VALU_DEP_2) | instskip(SKIP_3) | instid1(VALU_DEP_3)
	v_pk_fma_f32 v[2:3], v[2:3], v[8:9], v[10:11]
	v_cndmask_b32_e32 v12, 0x7f800000, v20, vcc_lo
	v_cmp_nlt_f32_e32 vcc_lo, 0x42b17218, v14
	v_mul_u32_u24_e32 v11, 0x10001, v17
	v_cvt_f16_f32_e32 v18, v12
	v_cndmask_b32_e32 v14, 0x7f800000, v21, vcc_lo
	v_cmp_nlt_f32_e32 vcc_lo, 0x42b17218, v15
	s_delay_alu instid0(VALU_DEP_4)
	v_pk_mul_f16 v46, v46, v11
	v_pk_mul_f16 v47, v47, v11
	;; [unrolled: 1-line block ×4, first 2 shown]
	v_cndmask_b32_e32 v13, 0x7f800000, v22, vcc_lo
	v_cmp_nlt_f32_e32 vcc_lo, 0x42b17218, v16
	v_cvt_f16_f32_e32 v16, v9
	v_and_b32_e32 v9, 0xffff, v18
	s_delay_alu instid0(VALU_DEP_4) | instskip(SKIP_1) | instid1(VALU_DEP_4)
	v_cvt_f16_f32_e32 v19, v13
	v_cndmask_b32_e32 v15, 0x7f800000, v23, vcc_lo
	v_and_b32_e32 v8, 0xffff, v16
	s_delay_alu instid0(VALU_DEP_4) | instskip(NEXT) | instid1(VALU_DEP_4)
	v_mul_u32_u24_e32 v9, 0x10001, v9
	v_and_b32_e32 v10, 0xffff, v19
	s_delay_alu instid0(VALU_DEP_4) | instskip(NEXT) | instid1(VALU_DEP_4)
	v_pk_fma_f32 v[0:1], v[0:1], v[12:13], v[14:15]
	v_mul_u32_u24_e32 v8, 0x10001, v8
	v_mov_b64_e32 v[14:15], v[6:7]
	v_mov_b64_e32 v[12:13], v[4:5]
	v_mul_u32_u24_e32 v10, 0x10001, v10
	v_pk_mul_f16 v44, v44, v9
	v_pk_mul_f16 v45, v45, v8
	;; [unrolled: 1-line block ×12, first 2 shown]
.LBB42_71:
	s_mov_b32 s2, exec_lo
	v_cmpx_gt_i32_e64 s26, v155
	s_cbranch_execz .LBB42_91
; %bb.72:
	s_load_b32 s0, s[0:1], 0xd4
	v_mov_b32_e32 v4, 1.0
	s_wait_kmcnt 0x0
	s_cmp_lg_u32 s0, 1
	s_cselect_b32 s2, -1, 0
	s_cmp_eq_u32 s0, 1
	s_cselect_b32 s3, -1, 0
	s_and_b32 vcc_lo, exec_lo, s2
	s_cbranch_vccnz .LBB42_74
; %bb.73:
	v_div_scale_f32 v4, null, v2, v2, 1.0
	s_delay_alu instid0(VALU_DEP_1) | instskip(SKIP_1) | instid1(TRANS32_DEP_1)
	v_rcp_f32_e32 v5, v4
	v_nop
	v_fma_f32 v6, -v4, v5, 1.0
	s_delay_alu instid0(VALU_DEP_1) | instskip(SKIP_1) | instid1(VALU_DEP_1)
	v_fmac_f32_e32 v5, v6, v5
	v_div_scale_f32 v6, vcc_lo, 1.0, v2, 1.0
	v_mul_f32_e32 v7, v6, v5
	s_delay_alu instid0(VALU_DEP_1) | instskip(NEXT) | instid1(VALU_DEP_1)
	v_fma_f32 v8, -v4, v7, v6
	v_fmac_f32_e32 v7, v8, v5
	s_delay_alu instid0(VALU_DEP_1) | instskip(NEXT) | instid1(VALU_DEP_1)
	v_fma_f32 v4, -v4, v7, v6
	v_div_fmas_f32 v4, v4, v5, v7
	s_delay_alu instid0(VALU_DEP_1)
	v_div_fixup_f32 v4, v4, v2, 1.0
.LBB42_74:
	s_mul_i32 s1, s34, s26
	v_dual_lshrrev_b32 v7, 16, v46 :: v_dual_lshrrev_b32 v9, 16, v47
	s_add_co_i32 s1, s1, s42
	s_delay_alu instid0(SALU_CYCLE_1) | instskip(SKIP_3) | instid1(VALU_DEP_4)
	v_dual_mov_b32 v11, 0 :: v_dual_add_nc_u32 v5, s1, v154
	v_dual_lshrrev_b32 v17, 16, v43 :: v_dual_lshrrev_b32 v19, 16, v42
	v_cvt_f32_f16_e32 v6, v46
	v_cvt_f32_f16_e32 v8, v47
	v_mad_u32 v5, v5, s27, s33
	v_cvt_f32_f16_e32 v7, v7
	v_cvt_f32_f16_e32 v9, v9
	;; [unrolled: 1-line block ×6, first 2 shown]
	v_cmp_eq_u32_e32 vcc_lo, 0, v136
	v_mad_u32 v5, s0, v5, s35
	s_and_b32 s2, vcc_lo, s2
	s_delay_alu instid0(VALU_DEP_1)
	v_lshl_add_u32 v10, v5, 8, v148
	v_pk_mul_f32 v[6:7], v[4:5], v[6:7] op_sel_hi:[0,1]
	v_pk_mul_f32 v[8:9], v[4:5], v[8:9] op_sel_hi:[0,1]
	;; [unrolled: 1-line block ×4, first 2 shown]
	v_lshl_add_u64 v[20:21], v[10:11], 2, s[20:21]
	v_add_nc_u32_e32 v10, 0x80, v10
	s_delay_alu instid0(VALU_DEP_1)
	v_lshl_add_u64 v[10:11], v[10:11], 2, s[20:21]
	s_clause 0x1
	global_store_b128 v[20:21], v[6:9], off
	global_store_b128 v[10:11], v[16:19], off
	s_wait_xcnt 0x0
	s_and_saveexec_b32 s4, s2
	s_cbranch_execz .LBB42_76
; %bb.75:
	v_dual_mov_b32 v6, v12 :: v_dual_mov_b32 v7, v2
	global_store_b64 v5, v[6:7], s[22:23] scale_offset
.LBB42_76:
	s_wait_xcnt 0x0
	s_or_b32 exec_lo, exec_lo, s4
	v_cmp_gt_i32_e32 vcc_lo, s26, v153
	s_and_b32 exec_lo, exec_lo, vcc_lo
	s_cbranch_execz .LBB42_91
; %bb.77:
	v_cndmask_b32_e64 v4, 0, 1, s3
	v_mov_b32_e32 v2, 1.0
	s_and_not1_b32 vcc_lo, exec_lo, s3
	s_cbranch_vccnz .LBB42_79
; %bb.78:
	v_div_scale_f32 v2, null, v3, v3, 1.0
	s_delay_alu instid0(VALU_DEP_1) | instskip(SKIP_1) | instid1(TRANS32_DEP_1)
	v_rcp_f32_e32 v5, v2
	v_nop
	v_fma_f32 v6, -v2, v5, 1.0
	s_delay_alu instid0(VALU_DEP_1) | instskip(SKIP_1) | instid1(VALU_DEP_1)
	v_fmac_f32_e32 v5, v6, v5
	v_div_scale_f32 v6, vcc_lo, 1.0, v3, 1.0
	v_mul_f32_e32 v7, v6, v5
	s_delay_alu instid0(VALU_DEP_1) | instskip(NEXT) | instid1(VALU_DEP_1)
	v_fma_f32 v8, -v2, v7, v6
	v_fmac_f32_e32 v7, v8, v5
	s_delay_alu instid0(VALU_DEP_1) | instskip(NEXT) | instid1(VALU_DEP_1)
	v_fma_f32 v2, -v2, v7, v6
	v_div_fmas_f32 v2, v2, v5, v7
	s_delay_alu instid0(VALU_DEP_1)
	v_div_fixup_f32 v2, v2, v3, 1.0
.LBB42_79:
	v_dual_add_nc_u32 v5, s1, v152 :: v_dual_mov_b32 v11, 0
	v_dual_lshrrev_b32 v7, 16, v45 :: v_dual_lshrrev_b32 v12, 16, v40
	v_dual_lshrrev_b32 v9, 16, v41 :: v_dual_lshrrev_b32 v19, 16, v39
	s_delay_alu instid0(VALU_DEP_3)
	v_mad_u32 v5, v5, s27, s33
	v_cvt_f32_f16_e32 v6, v45
	v_cvt_f32_f16_e32 v8, v41
	;; [unrolled: 1-line block ×8, first 2 shown]
	v_pk_mul_f32 v[6:7], v[2:3], v[6:7] op_sel_hi:[0,1]
	v_pk_mul_f32 v[8:9], v[2:3], v[8:9] op_sel_hi:[0,1]
	v_mad_u32 v5, s0, v5, s35
	v_pk_mul_f32 v[16:17], v[2:3], v[16:17] op_sel_hi:[0,1]
	v_pk_mul_f32 v[18:19], v[2:3], v[18:19] op_sel_hi:[0,1]
	s_delay_alu instid0(VALU_DEP_3) | instskip(NEXT) | instid1(VALU_DEP_1)
	v_lshl_add_u32 v10, v5, 8, v148
	v_lshl_add_u64 v[20:21], v[10:11], 2, s[20:21]
	v_add_nc_u32_e32 v10, 0x80, v10
	s_delay_alu instid0(VALU_DEP_1)
	v_lshl_add_u64 v[10:11], v[10:11], 2, s[20:21]
	s_clause 0x1
	global_store_b128 v[20:21], v[6:9], off
	global_store_b128 v[10:11], v[16:19], off
	s_wait_xcnt 0x0
	s_and_saveexec_b32 s3, s2
	s_cbranch_execz .LBB42_81
; %bb.80:
	v_mov_b32_e32 v2, v13
	global_store_b64 v5, v[2:3], s[22:23] scale_offset
.LBB42_81:
	s_wait_xcnt 0x0
	s_or_b32 exec_lo, exec_lo, s3
	v_cmp_gt_i32_e32 vcc_lo, s26, v151
	s_and_b32 exec_lo, exec_lo, vcc_lo
	s_cbranch_execz .LBB42_91
; %bb.82:
	v_cmp_ne_u32_e32 vcc_lo, 1, v4
	v_mov_b32_e32 v2, 1.0
	s_cbranch_vccnz .LBB42_84
; %bb.83:
	v_div_scale_f32 v2, null, v0, v0, 1.0
	s_delay_alu instid0(VALU_DEP_1) | instskip(SKIP_1) | instid1(TRANS32_DEP_1)
	v_rcp_f32_e32 v3, v2
	v_nop
	v_fma_f32 v5, -v2, v3, 1.0
	s_delay_alu instid0(VALU_DEP_1) | instskip(SKIP_1) | instid1(VALU_DEP_1)
	v_fmac_f32_e32 v3, v5, v3
	v_div_scale_f32 v5, vcc_lo, 1.0, v0, 1.0
	v_mul_f32_e32 v6, v5, v3
	s_delay_alu instid0(VALU_DEP_1) | instskip(NEXT) | instid1(VALU_DEP_1)
	v_fma_f32 v7, -v2, v6, v5
	v_fmac_f32_e32 v6, v7, v3
	s_delay_alu instid0(VALU_DEP_1) | instskip(NEXT) | instid1(VALU_DEP_1)
	v_fma_f32 v2, -v2, v6, v5
	v_div_fmas_f32 v2, v2, v3, v6
	s_delay_alu instid0(VALU_DEP_1)
	v_div_fixup_f32 v2, v2, v0, 1.0
.LBB42_84:
	v_dual_add_nc_u32 v3, s1, v150 :: v_dual_mov_b32 v13, 0
	v_dual_lshrrev_b32 v5, 16, v44 :: v_dual_lshrrev_b32 v9, 16, v38
	v_dual_lshrrev_b32 v11, 16, v37 :: v_dual_lshrrev_b32 v17, 16, v36
	s_delay_alu instid0(VALU_DEP_3)
	v_mad_u32 v3, v3, s27, s33
	v_cvt_f32_f16_e32 v6, v44
	v_cvt_f32_f16_e32 v8, v38
	;; [unrolled: 1-line block ×8, first 2 shown]
	v_mad_u32 v3, s0, v3, s35
	s_delay_alu instid0(VALU_DEP_1) | instskip(SKIP_3) | instid1(VALU_DEP_4)
	v_lshl_add_u32 v12, v3, 8, v148
	v_pk_mul_f32 v[6:7], v[2:3], v[6:7] op_sel_hi:[0,1]
	v_pk_mul_f32 v[8:9], v[2:3], v[8:9] op_sel_hi:[0,1]
	;; [unrolled: 1-line block ×3, first 2 shown]
	v_lshl_add_u64 v[18:19], v[12:13], 2, s[20:21]
	v_add_nc_u32_e32 v12, 0x80, v12
	s_delay_alu instid0(VALU_DEP_1)
	v_lshl_add_u64 v[20:21], v[12:13], 2, s[20:21]
	v_pk_mul_f32 v[12:13], v[2:3], v[16:17] op_sel_hi:[0,1]
	s_clause 0x1
	global_store_b128 v[18:19], v[6:9], off
	global_store_b128 v[20:21], v[10:13], off
	s_wait_xcnt 0x0
	s_and_saveexec_b32 s3, s2
	s_cbranch_execz .LBB42_86
; %bb.85:
	v_dual_mov_b32 v6, v14 :: v_dual_mov_b32 v7, v0
	global_store_b64 v3, v[6:7], s[22:23] scale_offset
.LBB42_86:
	s_wait_xcnt 0x0
	s_or_b32 exec_lo, exec_lo, s3
	v_cmp_gt_i32_e32 vcc_lo, s26, v149
	s_and_b32 exec_lo, exec_lo, vcc_lo
	s_cbranch_execz .LBB42_91
; %bb.87:
	v_cmp_ne_u32_e32 vcc_lo, 1, v4
	v_mov_b32_e32 v0, 1.0
	s_cbranch_vccnz .LBB42_89
; %bb.88:
	v_div_scale_f32 v0, null, v1, v1, 1.0
	s_delay_alu instid0(VALU_DEP_1) | instskip(SKIP_1) | instid1(TRANS32_DEP_1)
	v_rcp_f32_e32 v2, v0
	v_nop
	v_fma_f32 v3, -v0, v2, 1.0
	s_delay_alu instid0(VALU_DEP_1) | instskip(SKIP_1) | instid1(VALU_DEP_1)
	v_fmac_f32_e32 v2, v3, v2
	v_div_scale_f32 v3, vcc_lo, 1.0, v1, 1.0
	v_mul_f32_e32 v4, v3, v2
	s_delay_alu instid0(VALU_DEP_1) | instskip(NEXT) | instid1(VALU_DEP_1)
	v_fma_f32 v5, -v0, v4, v3
	v_fmac_f32_e32 v4, v5, v2
	s_delay_alu instid0(VALU_DEP_1) | instskip(NEXT) | instid1(VALU_DEP_1)
	v_fma_f32 v0, -v0, v4, v3
	v_div_fmas_f32 v0, v0, v2, v4
	s_delay_alu instid0(VALU_DEP_1)
	v_div_fixup_f32 v0, v0, v1, 1.0
.LBB42_89:
	v_dual_mov_b32 v11, 0 :: v_dual_add_nc_u32 v2, s1, v135
	v_dual_lshrrev_b32 v3, 16, v35 :: v_dual_lshrrev_b32 v7, 16, v34
	v_dual_lshrrev_b32 v9, 16, v32 :: v_dual_lshrrev_b32 v13, 16, v33
	s_delay_alu instid0(VALU_DEP_3)
	v_mad_u32 v2, v2, s27, s33
	v_cvt_f32_f16_e32 v4, v35
	v_cvt_f32_f16_e32 v6, v34
	;; [unrolled: 1-line block ×8, first 2 shown]
	v_pk_mul_f32 v[4:5], v[0:1], v[4:5] op_sel_hi:[0,1]
	v_pk_mul_f32 v[6:7], v[0:1], v[6:7] op_sel_hi:[0,1]
	v_mad_u32 v2, s0, v2, s35
	v_pk_mul_f32 v[8:9], v[0:1], v[8:9] op_sel_hi:[0,1]
	s_delay_alu instid0(VALU_DEP_2) | instskip(NEXT) | instid1(VALU_DEP_1)
	v_lshl_add_u32 v10, v2, 8, v148
	v_lshl_add_u64 v[16:17], v[10:11], 2, s[20:21]
	v_add_nc_u32_e32 v10, 0x80, v10
	s_delay_alu instid0(VALU_DEP_1)
	v_lshl_add_u64 v[18:19], v[10:11], 2, s[20:21]
	v_pk_mul_f32 v[10:11], v[0:1], v[12:13] op_sel_hi:[0,1]
	s_clause 0x1
	global_store_b128 v[16:17], v[4:7], off
	global_store_b128 v[18:19], v[8:11], off
	s_wait_xcnt 0x0
	s_and_b32 exec_lo, exec_lo, s2
	s_cbranch_execz .LBB42_91
; %bb.90:
	v_mov_b32_e32 v0, v15
	global_store_b64 v2, v[0:1], s[22:23] scale_offset
.LBB42_91:
	s_sendmsg sendmsg(MSG_DEALLOC_VGPRS)
	s_endpgm
	.section	.rodata,"a",@progbits
	.p2align	6, 0x0
	.amdhsa_kernel _ZL15flash_attn_tileILi256ELi256ELi32ELi1ELb0EEvPKcS1_S1_S1_S1_PKiPfP15HIP_vector_typeIfLj2EEffffjfiS5_IjLj3EEiiiiiiiiiiiliiliiiiil
		.amdhsa_group_segment_fixed_size 37888
		.amdhsa_private_segment_fixed_size 32
		.amdhsa_kernarg_size 464
		.amdhsa_user_sgpr_count 2
		.amdhsa_user_sgpr_dispatch_ptr 0
		.amdhsa_user_sgpr_queue_ptr 0
		.amdhsa_user_sgpr_kernarg_segment_ptr 1
		.amdhsa_user_sgpr_dispatch_id 0
		.amdhsa_user_sgpr_kernarg_preload_length 0
		.amdhsa_user_sgpr_kernarg_preload_offset 0
		.amdhsa_user_sgpr_private_segment_size 0
		.amdhsa_wavefront_size32 1
		.amdhsa_uses_dynamic_stack 0
		.amdhsa_enable_private_segment 1
		.amdhsa_system_sgpr_workgroup_id_x 1
		.amdhsa_system_sgpr_workgroup_id_y 1
		.amdhsa_system_sgpr_workgroup_id_z 1
		.amdhsa_system_sgpr_workgroup_info 0
		.amdhsa_system_vgpr_workitem_id 1
		.amdhsa_next_free_vgpr 209
		.amdhsa_next_free_sgpr 47
		.amdhsa_named_barrier_count 0
		.amdhsa_reserve_vcc 1
		.amdhsa_float_round_mode_32 0
		.amdhsa_float_round_mode_16_64 0
		.amdhsa_float_denorm_mode_32 3
		.amdhsa_float_denorm_mode_16_64 3
		.amdhsa_fp16_overflow 0
		.amdhsa_memory_ordered 1
		.amdhsa_forward_progress 1
		.amdhsa_inst_pref_size 255
		.amdhsa_round_robin_scheduling 0
		.amdhsa_exception_fp_ieee_invalid_op 0
		.amdhsa_exception_fp_denorm_src 0
		.amdhsa_exception_fp_ieee_div_zero 0
		.amdhsa_exception_fp_ieee_overflow 0
		.amdhsa_exception_fp_ieee_underflow 0
		.amdhsa_exception_fp_ieee_inexact 0
		.amdhsa_exception_int_div_zero 0
	.end_amdhsa_kernel
	.section	.text._ZL15flash_attn_tileILi256ELi256ELi32ELi1ELb0EEvPKcS1_S1_S1_S1_PKiPfP15HIP_vector_typeIfLj2EEffffjfiS5_IjLj3EEiiiiiiiiiiiliiliiiiil,"axG",@progbits,_ZL15flash_attn_tileILi256ELi256ELi32ELi1ELb0EEvPKcS1_S1_S1_S1_PKiPfP15HIP_vector_typeIfLj2EEffffjfiS5_IjLj3EEiiiiiiiiiiiliiliiiiil,comdat
.Lfunc_end42:
	.size	_ZL15flash_attn_tileILi256ELi256ELi32ELi1ELb0EEvPKcS1_S1_S1_S1_PKiPfP15HIP_vector_typeIfLj2EEffffjfiS5_IjLj3EEiiiiiiiiiiiliiliiiiil, .Lfunc_end42-_ZL15flash_attn_tileILi256ELi256ELi32ELi1ELb0EEvPKcS1_S1_S1_S1_PKiPfP15HIP_vector_typeIfLj2EEffffjfiS5_IjLj3EEiiiiiiiiiiiliiliiiiil
                                        ; -- End function
	.set _ZL15flash_attn_tileILi256ELi256ELi32ELi1ELb0EEvPKcS1_S1_S1_S1_PKiPfP15HIP_vector_typeIfLj2EEffffjfiS5_IjLj3EEiiiiiiiiiiiliiliiiiil.num_vgpr, 209
	.set _ZL15flash_attn_tileILi256ELi256ELi32ELi1ELb0EEvPKcS1_S1_S1_S1_PKiPfP15HIP_vector_typeIfLj2EEffffjfiS5_IjLj3EEiiiiiiiiiiiliiliiiiil.num_agpr, 0
	.set _ZL15flash_attn_tileILi256ELi256ELi32ELi1ELb0EEvPKcS1_S1_S1_S1_PKiPfP15HIP_vector_typeIfLj2EEffffjfiS5_IjLj3EEiiiiiiiiiiiliiliiiiil.numbered_sgpr, 47
	.set _ZL15flash_attn_tileILi256ELi256ELi32ELi1ELb0EEvPKcS1_S1_S1_S1_PKiPfP15HIP_vector_typeIfLj2EEffffjfiS5_IjLj3EEiiiiiiiiiiiliiliiiiil.num_named_barrier, 0
	.set _ZL15flash_attn_tileILi256ELi256ELi32ELi1ELb0EEvPKcS1_S1_S1_S1_PKiPfP15HIP_vector_typeIfLj2EEffffjfiS5_IjLj3EEiiiiiiiiiiiliiliiiiil.private_seg_size, 32
	.set _ZL15flash_attn_tileILi256ELi256ELi32ELi1ELb0EEvPKcS1_S1_S1_S1_PKiPfP15HIP_vector_typeIfLj2EEffffjfiS5_IjLj3EEiiiiiiiiiiiliiliiiiil.uses_vcc, 1
	.set _ZL15flash_attn_tileILi256ELi256ELi32ELi1ELb0EEvPKcS1_S1_S1_S1_PKiPfP15HIP_vector_typeIfLj2EEffffjfiS5_IjLj3EEiiiiiiiiiiiliiliiiiil.uses_flat_scratch, 1
	.set _ZL15flash_attn_tileILi256ELi256ELi32ELi1ELb0EEvPKcS1_S1_S1_S1_PKiPfP15HIP_vector_typeIfLj2EEffffjfiS5_IjLj3EEiiiiiiiiiiiliiliiiiil.has_dyn_sized_stack, 0
	.set _ZL15flash_attn_tileILi256ELi256ELi32ELi1ELb0EEvPKcS1_S1_S1_S1_PKiPfP15HIP_vector_typeIfLj2EEffffjfiS5_IjLj3EEiiiiiiiiiiiliiliiiiil.has_recursion, 0
	.set _ZL15flash_attn_tileILi256ELi256ELi32ELi1ELb0EEvPKcS1_S1_S1_S1_PKiPfP15HIP_vector_typeIfLj2EEffffjfiS5_IjLj3EEiiiiiiiiiiiliiliiiiil.has_indirect_call, 0
	.section	.AMDGPU.csdata,"",@progbits
; Kernel info:
; codeLenInByte = 45848
; TotalNumSgprs: 49
; NumVgprs: 209
; ScratchSize: 32
; MemoryBound: 0
; FloatMode: 240
; IeeeMode: 1
; LDSByteSize: 37888 bytes/workgroup (compile time only)
; SGPRBlocks: 0
; VGPRBlocks: 13
; NumSGPRsForWavesPerEU: 49
; NumVGPRsForWavesPerEU: 209
; NamedBarCnt: 0
; Occupancy: 4
; WaveLimiterHint : 1
; COMPUTE_PGM_RSRC2:SCRATCH_EN: 1
; COMPUTE_PGM_RSRC2:USER_SGPR: 2
; COMPUTE_PGM_RSRC2:TRAP_HANDLER: 0
; COMPUTE_PGM_RSRC2:TGID_X_EN: 1
; COMPUTE_PGM_RSRC2:TGID_Y_EN: 1
; COMPUTE_PGM_RSRC2:TGID_Z_EN: 1
; COMPUTE_PGM_RSRC2:TIDIG_COMP_CNT: 1
	.section	.text._ZL25flash_attn_mask_to_KV_maxILi32EEvPK7__half2Piiii,"axG",@progbits,_ZL25flash_attn_mask_to_KV_maxILi32EEvPK7__half2Piiii,comdat
	.globl	_ZL25flash_attn_mask_to_KV_maxILi32EEvPK7__half2Piiii ; -- Begin function _ZL25flash_attn_mask_to_KV_maxILi32EEvPK7__half2Piiii
	.p2align	8
	.type	_ZL25flash_attn_mask_to_KV_maxILi32EEvPK7__half2Piiii,@function
_ZL25flash_attn_mask_to_KV_maxILi32EEvPK7__half2Piiii: ; @_ZL25flash_attn_mask_to_KV_maxILi32EEvPK7__half2Piiii
; %bb.0:
	s_load_b128 s[4:7], s[0:1], 0x0
	s_mov_b32 s2, exec_lo
	v_cmpx_gt_u32_e32 32, v0
; %bb.1:
	v_dual_mov_b32 v2, 1 :: v_dual_lshlrev_b32 v1, 2, v0
	ds_store_b32 v1, v2
; %bb.2:
	s_or_b32 exec_lo, exec_lo, s2
	s_clause 0x1
	s_load_b96 s[8:10], s[0:1], 0x10
	s_load_b32 s11, s[0:1], 0x20
	s_wait_xcnt 0x0
	s_bfe_u32 s1, ttmp6, 0x4000c
	s_bfe_u32 s2, ttmp6, 0x40010
	s_add_co_i32 s1, s1, 1
	s_add_co_i32 s2, s2, 1
	s_and_b32 s0, ttmp6, 15
	s_bfe_u32 s3, ttmp6, 0x40004
	s_mul_i32 s1, ttmp9, s1
	s_mul_i32 s2, ttmp7, s2
	s_getreg_b32 s12, hwreg(HW_REG_IB_STS2, 6, 4)
	s_add_co_i32 s0, s0, s1
	s_add_co_i32 s3, s3, s2
	s_cmp_eq_u32 s12, 0
	v_dual_lshrrev_b32 v1, 3, v0 :: v_dual_bitop2_b32 v2, 31, v0 bitop3:0x40
	s_cselect_b32 s1, ttmp9, s0
	s_cselect_b32 s12, ttmp7, s3
	s_wait_dscnt 0x0
	s_barrier_signal -1
	s_wait_kmcnt 0x0
	s_mul_i32 s0, s1, s9
	s_mul_i32 s2, s10, s12
	s_lshl_b32 s0, s0, 5
	s_barrier_wait -1
	s_add_co_i32 s2, s2, s0
	v_cmp_eq_u32_e64 s0, 0, v2
	s_ashr_i32 s3, s2, 31
	v_lshlrev_b32_e32 v2, 2, v2
	s_lshl_b64 s[2:3], s[2:3], 2
	s_delay_alu instid0(SALU_CYCLE_1)
	s_add_nc_u64 s[2:3], s[4:5], s[2:3]
	s_lshl_b32 s5, s8, 8
	s_branch .LBB43_4
.LBB43_3:                               ;   in Loop: Header=BB43_4 Depth=1
	s_or_b32 exec_lo, exec_lo, s8
	s_wait_dscnt 0x0
	s_barrier_signal -1
	s_barrier_wait -1
	ds_load_b32 v3, v2
	s_wait_dscnt 0x0
	s_barrier_signal -1
	s_barrier_wait -1
	v_cmp_ne_u32_e32 vcc_lo, 0, v3
	s_cmp_lg_u32 vcc_lo, exec_lo
	s_cselect_b32 s8, -1, 0
	s_delay_alu instid0(SALU_CYCLE_1)
	s_and_b32 vcc_lo, exec_lo, s8
	s_cbranch_vccnz .LBB43_132
.LBB43_4:                               ; =>This Inner Loop Header: Depth=1
	s_mov_b32 s4, s5
	s_addk_co_i32 s5, 0xff00
	s_delay_alu instid0(SALU_CYCLE_1)
	s_cmp_lt_i32 s5, 0
	s_cbranch_scc1 .LBB43_131
; %bb.5:                                ;   in Loop: Header=BB43_4 Depth=1
	s_lshr_b32 s8, s5, 1
	s_delay_alu instid0(SALU_CYCLE_1) | instskip(SKIP_4) | instid1(VALU_DEP_2)
	v_add_nc_u32_e32 v3, s8, v0
	global_load_b32 v4, v3, s[2:3] scale_offset
	s_wait_loadcnt 0x0
	v_lshrrev_b32_e32 v5, 16, v4
	v_cmp_class_f16_e64 s8, v4, 0x204
	v_cmp_class_f16_e64 s10, v5, 0x204
	s_and_b32 s13, s8, s10
	s_mov_b32 s10, 0
	s_and_saveexec_b32 s8, s13
	s_cbranch_execz .LBB43_129
; %bb.6:                                ;   in Loop: Header=BB43_4 Depth=1
	v_add_nc_u32_e32 v3, s9, v3
	s_mov_b32 s13, 0
	global_load_b32 v4, v3, s[2:3] scale_offset
	s_wait_loadcnt 0x0
	v_cmp_class_f16_e64 s14, v4, 0x204
	s_and_saveexec_b32 s10, s14
	s_cbranch_execz .LBB43_128
; %bb.7:                                ;   in Loop: Header=BB43_4 Depth=1
	v_lshrrev_b32_e32 v4, 16, v4
	s_mov_b32 s14, 0
	s_delay_alu instid0(VALU_DEP_1)
	v_cmp_class_f16_e64 s15, v4, 0x204
	s_and_saveexec_b32 s13, s15
	s_cbranch_execz .LBB43_127
; %bb.8:                                ;   in Loop: Header=BB43_4 Depth=1
	v_add_nc_u32_e32 v3, s9, v3
	s_mov_b32 s15, 0
	global_load_b32 v4, v3, s[2:3] scale_offset
	s_wait_loadcnt 0x0
	v_cmp_class_f16_e64 s16, v4, 0x204
	s_and_saveexec_b32 s14, s16
	s_cbranch_execz .LBB43_126
; %bb.9:                                ;   in Loop: Header=BB43_4 Depth=1
	v_lshrrev_b32_e32 v4, 16, v4
	s_mov_b32 s16, 0
	s_delay_alu instid0(VALU_DEP_1)
	v_cmp_class_f16_e64 s17, v4, 0x204
	s_and_saveexec_b32 s15, s17
	s_cbranch_execz .LBB43_125
; %bb.10:                               ;   in Loop: Header=BB43_4 Depth=1
	v_add_nc_u32_e32 v3, s9, v3
	s_mov_b32 s17, 0
	global_load_b32 v4, v3, s[2:3] scale_offset
	s_wait_loadcnt 0x0
	v_cmp_class_f16_e64 s18, v4, 0x204
	s_and_saveexec_b32 s16, s18
	s_cbranch_execz .LBB43_124
; %bb.11:                               ;   in Loop: Header=BB43_4 Depth=1
	v_lshrrev_b32_e32 v4, 16, v4
	s_mov_b32 s18, 0
	s_delay_alu instid0(VALU_DEP_1)
	v_cmp_class_f16_e64 s19, v4, 0x204
	s_and_saveexec_b32 s17, s19
	s_cbranch_execz .LBB43_123
; %bb.12:                               ;   in Loop: Header=BB43_4 Depth=1
	v_add_nc_u32_e32 v3, s9, v3
	s_mov_b32 s19, 0
	global_load_b32 v4, v3, s[2:3] scale_offset
	s_wait_loadcnt 0x0
	v_cmp_class_f16_e64 s20, v4, 0x204
	s_and_saveexec_b32 s18, s20
	s_cbranch_execz .LBB43_122
; %bb.13:                               ;   in Loop: Header=BB43_4 Depth=1
	;; [unrolled: 15-line block ×28, first 2 shown]
	v_lshrrev_b32_e32 v4, 16, v4
	s_mov_b32 s73, 0
	s_delay_alu instid0(VALU_DEP_1)
	v_cmp_class_f16_e64 s74, v4, 0x204
	s_and_saveexec_b32 s72, s74
	s_cbranch_execz .LBB43_69
; %bb.66:                               ;   in Loop: Header=BB43_4 Depth=1
	v_add_nc_u32_e32 v3, s9, v3
	global_load_b32 v3, v3, s[2:3] scale_offset
	s_wait_loadcnt 0x0
	v_cmp_class_f16_e64 s75, v3, 0x204
	s_and_saveexec_b32 s74, s75
; %bb.67:                               ;   in Loop: Header=BB43_4 Depth=1
	v_lshrrev_b32_e32 v3, 16, v3
	s_delay_alu instid0(VALU_DEP_1)
	v_cmp_class_f16_e64 s73, v3, 0x204
	s_and_b32 s73, s73, exec_lo
; %bb.68:                               ;   in Loop: Header=BB43_4 Depth=1
	s_or_b32 exec_lo, exec_lo, s74
	s_delay_alu instid0(SALU_CYCLE_1)
	s_and_b32 s73, s73, exec_lo
.LBB43_69:                              ;   in Loop: Header=BB43_4 Depth=1
	s_or_b32 exec_lo, exec_lo, s72
	s_delay_alu instid0(SALU_CYCLE_1)
	s_and_b32 s72, s73, exec_lo
.LBB43_70:                              ;   in Loop: Header=BB43_4 Depth=1
	s_or_b32 exec_lo, exec_lo, s71
	s_delay_alu instid0(SALU_CYCLE_1)
	s_and_b32 s71, s72, exec_lo
.LBB43_71:                              ;   in Loop: Header=BB43_4 Depth=1
	s_or_b32 exec_lo, exec_lo, s70
	s_delay_alu instid0(SALU_CYCLE_1)
	s_and_b32 s70, s71, exec_lo
.LBB43_72:                              ;   in Loop: Header=BB43_4 Depth=1
	s_or_b32 exec_lo, exec_lo, s69
	s_delay_alu instid0(SALU_CYCLE_1)
	s_and_b32 s69, s70, exec_lo
.LBB43_73:                              ;   in Loop: Header=BB43_4 Depth=1
	s_or_b32 exec_lo, exec_lo, s68
	s_delay_alu instid0(SALU_CYCLE_1)
	s_and_b32 s68, s69, exec_lo
.LBB43_74:                              ;   in Loop: Header=BB43_4 Depth=1
	s_or_b32 exec_lo, exec_lo, s67
	s_delay_alu instid0(SALU_CYCLE_1)
	s_and_b32 s67, s68, exec_lo
.LBB43_75:                              ;   in Loop: Header=BB43_4 Depth=1
	s_or_b32 exec_lo, exec_lo, s66
	s_delay_alu instid0(SALU_CYCLE_1)
	s_and_b32 s66, s67, exec_lo
.LBB43_76:                              ;   in Loop: Header=BB43_4 Depth=1
	s_or_b32 exec_lo, exec_lo, s65
	s_delay_alu instid0(SALU_CYCLE_1)
	s_and_b32 s65, s66, exec_lo
.LBB43_77:                              ;   in Loop: Header=BB43_4 Depth=1
	s_or_b32 exec_lo, exec_lo, s64
	s_delay_alu instid0(SALU_CYCLE_1)
	s_and_b32 s64, s65, exec_lo
.LBB43_78:                              ;   in Loop: Header=BB43_4 Depth=1
	s_or_b32 exec_lo, exec_lo, s63
	s_delay_alu instid0(SALU_CYCLE_1)
	s_and_b32 s63, s64, exec_lo
.LBB43_79:                              ;   in Loop: Header=BB43_4 Depth=1
	s_or_b32 exec_lo, exec_lo, s62
	s_delay_alu instid0(SALU_CYCLE_1)
	s_and_b32 s62, s63, exec_lo
.LBB43_80:                              ;   in Loop: Header=BB43_4 Depth=1
	s_or_b32 exec_lo, exec_lo, s61
	s_delay_alu instid0(SALU_CYCLE_1)
	s_and_b32 s61, s62, exec_lo
.LBB43_81:                              ;   in Loop: Header=BB43_4 Depth=1
	s_or_b32 exec_lo, exec_lo, s60
	s_delay_alu instid0(SALU_CYCLE_1)
	s_and_b32 s60, s61, exec_lo
.LBB43_82:                              ;   in Loop: Header=BB43_4 Depth=1
	s_or_b32 exec_lo, exec_lo, s59
	s_delay_alu instid0(SALU_CYCLE_1)
	s_and_b32 s59, s60, exec_lo
.LBB43_83:                              ;   in Loop: Header=BB43_4 Depth=1
	s_or_b32 exec_lo, exec_lo, s58
	s_delay_alu instid0(SALU_CYCLE_1)
	s_and_b32 s58, s59, exec_lo
.LBB43_84:                              ;   in Loop: Header=BB43_4 Depth=1
	s_or_b32 exec_lo, exec_lo, s57
	s_delay_alu instid0(SALU_CYCLE_1)
	s_and_b32 s57, s58, exec_lo
.LBB43_85:                              ;   in Loop: Header=BB43_4 Depth=1
	s_or_b32 exec_lo, exec_lo, s56
	s_delay_alu instid0(SALU_CYCLE_1)
	s_and_b32 s56, s57, exec_lo
.LBB43_86:                              ;   in Loop: Header=BB43_4 Depth=1
	s_or_b32 exec_lo, exec_lo, s55
	s_delay_alu instid0(SALU_CYCLE_1)
	s_and_b32 s55, s56, exec_lo
.LBB43_87:                              ;   in Loop: Header=BB43_4 Depth=1
	s_or_b32 exec_lo, exec_lo, s54
	s_delay_alu instid0(SALU_CYCLE_1)
	s_and_b32 s54, s55, exec_lo
.LBB43_88:                              ;   in Loop: Header=BB43_4 Depth=1
	s_or_b32 exec_lo, exec_lo, s53
	s_delay_alu instid0(SALU_CYCLE_1)
	s_and_b32 s53, s54, exec_lo
.LBB43_89:                              ;   in Loop: Header=BB43_4 Depth=1
	s_or_b32 exec_lo, exec_lo, s52
	s_delay_alu instid0(SALU_CYCLE_1)
	s_and_b32 s52, s53, exec_lo
.LBB43_90:                              ;   in Loop: Header=BB43_4 Depth=1
	s_or_b32 exec_lo, exec_lo, s51
	s_delay_alu instid0(SALU_CYCLE_1)
	s_and_b32 s51, s52, exec_lo
.LBB43_91:                              ;   in Loop: Header=BB43_4 Depth=1
	s_or_b32 exec_lo, exec_lo, s50
	s_delay_alu instid0(SALU_CYCLE_1)
	s_and_b32 s50, s51, exec_lo
.LBB43_92:                              ;   in Loop: Header=BB43_4 Depth=1
	s_or_b32 exec_lo, exec_lo, s49
	s_delay_alu instid0(SALU_CYCLE_1)
	s_and_b32 s49, s50, exec_lo
.LBB43_93:                              ;   in Loop: Header=BB43_4 Depth=1
	s_or_b32 exec_lo, exec_lo, s48
	s_delay_alu instid0(SALU_CYCLE_1)
	s_and_b32 s48, s49, exec_lo
.LBB43_94:                              ;   in Loop: Header=BB43_4 Depth=1
	s_or_b32 exec_lo, exec_lo, s47
	s_delay_alu instid0(SALU_CYCLE_1)
	s_and_b32 s47, s48, exec_lo
.LBB43_95:                              ;   in Loop: Header=BB43_4 Depth=1
	s_or_b32 exec_lo, exec_lo, s46
	s_delay_alu instid0(SALU_CYCLE_1)
	s_and_b32 s46, s47, exec_lo
.LBB43_96:                              ;   in Loop: Header=BB43_4 Depth=1
	s_or_b32 exec_lo, exec_lo, s45
	s_delay_alu instid0(SALU_CYCLE_1)
	s_and_b32 s45, s46, exec_lo
.LBB43_97:                              ;   in Loop: Header=BB43_4 Depth=1
	s_or_b32 exec_lo, exec_lo, s44
	s_delay_alu instid0(SALU_CYCLE_1)
	s_and_b32 s44, s45, exec_lo
.LBB43_98:                              ;   in Loop: Header=BB43_4 Depth=1
	s_or_b32 exec_lo, exec_lo, s43
	s_delay_alu instid0(SALU_CYCLE_1)
	s_and_b32 s43, s44, exec_lo
.LBB43_99:                              ;   in Loop: Header=BB43_4 Depth=1
	s_or_b32 exec_lo, exec_lo, s42
	s_delay_alu instid0(SALU_CYCLE_1)
	s_and_b32 s42, s43, exec_lo
.LBB43_100:                             ;   in Loop: Header=BB43_4 Depth=1
	s_or_b32 exec_lo, exec_lo, s41
	s_delay_alu instid0(SALU_CYCLE_1)
	s_and_b32 s41, s42, exec_lo
.LBB43_101:                             ;   in Loop: Header=BB43_4 Depth=1
	s_or_b32 exec_lo, exec_lo, s40
	s_delay_alu instid0(SALU_CYCLE_1)
	s_and_b32 s40, s41, exec_lo
.LBB43_102:                             ;   in Loop: Header=BB43_4 Depth=1
	s_or_b32 exec_lo, exec_lo, s39
	s_delay_alu instid0(SALU_CYCLE_1)
	s_and_b32 s39, s40, exec_lo
.LBB43_103:                             ;   in Loop: Header=BB43_4 Depth=1
	s_or_b32 exec_lo, exec_lo, s38
	s_delay_alu instid0(SALU_CYCLE_1)
	s_and_b32 s38, s39, exec_lo
.LBB43_104:                             ;   in Loop: Header=BB43_4 Depth=1
	s_or_b32 exec_lo, exec_lo, s37
	s_delay_alu instid0(SALU_CYCLE_1)
	s_and_b32 s37, s38, exec_lo
.LBB43_105:                             ;   in Loop: Header=BB43_4 Depth=1
	s_or_b32 exec_lo, exec_lo, s36
	s_delay_alu instid0(SALU_CYCLE_1)
	s_and_b32 s36, s37, exec_lo
.LBB43_106:                             ;   in Loop: Header=BB43_4 Depth=1
	s_or_b32 exec_lo, exec_lo, s35
	s_delay_alu instid0(SALU_CYCLE_1)
	s_and_b32 s35, s36, exec_lo
.LBB43_107:                             ;   in Loop: Header=BB43_4 Depth=1
	s_or_b32 exec_lo, exec_lo, s34
	s_delay_alu instid0(SALU_CYCLE_1)
	s_and_b32 s34, s35, exec_lo
.LBB43_108:                             ;   in Loop: Header=BB43_4 Depth=1
	s_or_b32 exec_lo, exec_lo, s33
	s_delay_alu instid0(SALU_CYCLE_1)
	s_and_b32 s33, s34, exec_lo
.LBB43_109:                             ;   in Loop: Header=BB43_4 Depth=1
	s_or_b32 exec_lo, exec_lo, s31
	s_delay_alu instid0(SALU_CYCLE_1)
	s_and_b32 s31, s33, exec_lo
.LBB43_110:                             ;   in Loop: Header=BB43_4 Depth=1
	s_or_b32 exec_lo, exec_lo, s30
	s_delay_alu instid0(SALU_CYCLE_1)
	s_and_b32 s30, s31, exec_lo
.LBB43_111:                             ;   in Loop: Header=BB43_4 Depth=1
	s_or_b32 exec_lo, exec_lo, s29
	s_delay_alu instid0(SALU_CYCLE_1)
	s_and_b32 s29, s30, exec_lo
.LBB43_112:                             ;   in Loop: Header=BB43_4 Depth=1
	s_or_b32 exec_lo, exec_lo, s28
	s_delay_alu instid0(SALU_CYCLE_1)
	s_and_b32 s28, s29, exec_lo
.LBB43_113:                             ;   in Loop: Header=BB43_4 Depth=1
	s_or_b32 exec_lo, exec_lo, s27
	s_delay_alu instid0(SALU_CYCLE_1)
	s_and_b32 s27, s28, exec_lo
.LBB43_114:                             ;   in Loop: Header=BB43_4 Depth=1
	s_or_b32 exec_lo, exec_lo, s26
	s_delay_alu instid0(SALU_CYCLE_1)
	s_and_b32 s26, s27, exec_lo
.LBB43_115:                             ;   in Loop: Header=BB43_4 Depth=1
	s_or_b32 exec_lo, exec_lo, s25
	s_delay_alu instid0(SALU_CYCLE_1)
	s_and_b32 s25, s26, exec_lo
.LBB43_116:                             ;   in Loop: Header=BB43_4 Depth=1
	s_or_b32 exec_lo, exec_lo, s24
	s_delay_alu instid0(SALU_CYCLE_1)
	s_and_b32 s24, s25, exec_lo
.LBB43_117:                             ;   in Loop: Header=BB43_4 Depth=1
	s_or_b32 exec_lo, exec_lo, s23
	s_delay_alu instid0(SALU_CYCLE_1)
	s_and_b32 s23, s24, exec_lo
.LBB43_118:                             ;   in Loop: Header=BB43_4 Depth=1
	s_or_b32 exec_lo, exec_lo, s22
	s_delay_alu instid0(SALU_CYCLE_1)
	s_and_b32 s22, s23, exec_lo
.LBB43_119:                             ;   in Loop: Header=BB43_4 Depth=1
	s_or_b32 exec_lo, exec_lo, s21
	s_delay_alu instid0(SALU_CYCLE_1)
	s_and_b32 s21, s22, exec_lo
.LBB43_120:                             ;   in Loop: Header=BB43_4 Depth=1
	s_or_b32 exec_lo, exec_lo, s20
	s_delay_alu instid0(SALU_CYCLE_1)
	s_and_b32 s20, s21, exec_lo
.LBB43_121:                             ;   in Loop: Header=BB43_4 Depth=1
	s_or_b32 exec_lo, exec_lo, s19
	s_delay_alu instid0(SALU_CYCLE_1)
	s_and_b32 s19, s20, exec_lo
.LBB43_122:                             ;   in Loop: Header=BB43_4 Depth=1
	s_or_b32 exec_lo, exec_lo, s18
	s_delay_alu instid0(SALU_CYCLE_1)
	s_and_b32 s18, s19, exec_lo
.LBB43_123:                             ;   in Loop: Header=BB43_4 Depth=1
	s_or_b32 exec_lo, exec_lo, s17
	s_delay_alu instid0(SALU_CYCLE_1)
	s_and_b32 s17, s18, exec_lo
.LBB43_124:                             ;   in Loop: Header=BB43_4 Depth=1
	s_or_b32 exec_lo, exec_lo, s16
	s_delay_alu instid0(SALU_CYCLE_1)
	s_and_b32 s16, s17, exec_lo
.LBB43_125:                             ;   in Loop: Header=BB43_4 Depth=1
	s_or_b32 exec_lo, exec_lo, s15
	s_delay_alu instid0(SALU_CYCLE_1)
	s_and_b32 s15, s16, exec_lo
.LBB43_126:                             ;   in Loop: Header=BB43_4 Depth=1
	s_or_b32 exec_lo, exec_lo, s14
	s_delay_alu instid0(SALU_CYCLE_1)
	s_and_b32 s14, s15, exec_lo
.LBB43_127:                             ;   in Loop: Header=BB43_4 Depth=1
	s_or_b32 exec_lo, exec_lo, s13
	s_delay_alu instid0(SALU_CYCLE_1)
	s_and_b32 s13, s14, exec_lo
.LBB43_128:                             ;   in Loop: Header=BB43_4 Depth=1
	s_or_b32 exec_lo, exec_lo, s10
	s_delay_alu instid0(SALU_CYCLE_1)
	s_and_b32 s10, s13, exec_lo
.LBB43_129:                             ;   in Loop: Header=BB43_4 Depth=1
	s_or_b32 exec_lo, exec_lo, s8
	v_cndmask_b32_e64 v3, 0, 1, s10
	s_mov_b32 s13, exec_lo
	s_delay_alu instid0(VALU_DEP_1)
	v_cmp_ne_u32_e32 vcc_lo, 0, v3
	s_and_saveexec_b32 s8, s0
	s_cbranch_execz .LBB43_3
; %bb.130:                              ;   in Loop: Header=BB43_4 Depth=1
	s_cmp_eq_u32 vcc_lo, s13
	s_cselect_b32 s10, -1, 0
	s_delay_alu instid0(SALU_CYCLE_1)
	v_cndmask_b32_e64 v3, 0, 1, s10
	ds_store_b32 v1, v3
	s_branch .LBB43_3
.LBB43_131:                             ;   in Loop: Header=BB43_4 Depth=1
	s_cbranch_execz .LBB43_4
.LBB43_132:
	s_mov_b32 s0, exec_lo
	v_cmpx_eq_u32_e32 0, v0
	s_cbranch_execz .LBB43_134
; %bb.133:
	s_mul_i32 s0, s11, s12
	v_mov_b32_e32 v1, s4
	s_add_co_i32 s0, s0, s1
	s_delay_alu instid0(SALU_CYCLE_1)
	v_mov_b32_e32 v0, s0
	global_store_b32 v0, v1, s[6:7] scale_offset
.LBB43_134:
	s_endpgm
	.section	.rodata,"a",@progbits
	.p2align	6, 0x0
	.amdhsa_kernel _ZL25flash_attn_mask_to_KV_maxILi32EEvPK7__half2Piiii
		.amdhsa_group_segment_fixed_size 128
		.amdhsa_private_segment_fixed_size 0
		.amdhsa_kernarg_size 288
		.amdhsa_user_sgpr_count 2
		.amdhsa_user_sgpr_dispatch_ptr 0
		.amdhsa_user_sgpr_queue_ptr 0
		.amdhsa_user_sgpr_kernarg_segment_ptr 1
		.amdhsa_user_sgpr_dispatch_id 0
		.amdhsa_user_sgpr_kernarg_preload_length 0
		.amdhsa_user_sgpr_kernarg_preload_offset 0
		.amdhsa_user_sgpr_private_segment_size 0
		.amdhsa_wavefront_size32 1
		.amdhsa_uses_dynamic_stack 0
		.amdhsa_enable_private_segment 0
		.amdhsa_system_sgpr_workgroup_id_x 1
		.amdhsa_system_sgpr_workgroup_id_y 1
		.amdhsa_system_sgpr_workgroup_id_z 0
		.amdhsa_system_sgpr_workgroup_info 0
		.amdhsa_system_vgpr_workitem_id 0
		.amdhsa_next_free_vgpr 6
		.amdhsa_next_free_sgpr 76
		.amdhsa_named_barrier_count 0
		.amdhsa_reserve_vcc 1
		.amdhsa_float_round_mode_32 0
		.amdhsa_float_round_mode_16_64 0
		.amdhsa_float_denorm_mode_32 3
		.amdhsa_float_denorm_mode_16_64 3
		.amdhsa_fp16_overflow 0
		.amdhsa_memory_ordered 1
		.amdhsa_forward_progress 1
		.amdhsa_inst_pref_size 28
		.amdhsa_round_robin_scheduling 0
		.amdhsa_exception_fp_ieee_invalid_op 0
		.amdhsa_exception_fp_denorm_src 0
		.amdhsa_exception_fp_ieee_div_zero 0
		.amdhsa_exception_fp_ieee_overflow 0
		.amdhsa_exception_fp_ieee_underflow 0
		.amdhsa_exception_fp_ieee_inexact 0
		.amdhsa_exception_int_div_zero 0
	.end_amdhsa_kernel
	.section	.text._ZL25flash_attn_mask_to_KV_maxILi32EEvPK7__half2Piiii,"axG",@progbits,_ZL25flash_attn_mask_to_KV_maxILi32EEvPK7__half2Piiii,comdat
.Lfunc_end43:
	.size	_ZL25flash_attn_mask_to_KV_maxILi32EEvPK7__half2Piiii, .Lfunc_end43-_ZL25flash_attn_mask_to_KV_maxILi32EEvPK7__half2Piiii
                                        ; -- End function
	.set _ZL25flash_attn_mask_to_KV_maxILi32EEvPK7__half2Piiii.num_vgpr, 6
	.set _ZL25flash_attn_mask_to_KV_maxILi32EEvPK7__half2Piiii.num_agpr, 0
	.set _ZL25flash_attn_mask_to_KV_maxILi32EEvPK7__half2Piiii.numbered_sgpr, 76
	.set _ZL25flash_attn_mask_to_KV_maxILi32EEvPK7__half2Piiii.num_named_barrier, 0
	.set _ZL25flash_attn_mask_to_KV_maxILi32EEvPK7__half2Piiii.private_seg_size, 0
	.set _ZL25flash_attn_mask_to_KV_maxILi32EEvPK7__half2Piiii.uses_vcc, 1
	.set _ZL25flash_attn_mask_to_KV_maxILi32EEvPK7__half2Piiii.uses_flat_scratch, 0
	.set _ZL25flash_attn_mask_to_KV_maxILi32EEvPK7__half2Piiii.has_dyn_sized_stack, 0
	.set _ZL25flash_attn_mask_to_KV_maxILi32EEvPK7__half2Piiii.has_recursion, 0
	.set _ZL25flash_attn_mask_to_KV_maxILi32EEvPK7__half2Piiii.has_indirect_call, 0
	.section	.AMDGPU.csdata,"",@progbits
; Kernel info:
; codeLenInByte = 3548
; TotalNumSgprs: 78
; NumVgprs: 6
; ScratchSize: 0
; MemoryBound: 0
; FloatMode: 240
; IeeeMode: 1
; LDSByteSize: 128 bytes/workgroup (compile time only)
; SGPRBlocks: 0
; VGPRBlocks: 0
; NumSGPRsForWavesPerEU: 78
; NumVGPRsForWavesPerEU: 6
; NamedBarCnt: 0
; Occupancy: 16
; WaveLimiterHint : 0
; COMPUTE_PGM_RSRC2:SCRATCH_EN: 0
; COMPUTE_PGM_RSRC2:USER_SGPR: 2
; COMPUTE_PGM_RSRC2:TRAP_HANDLER: 0
; COMPUTE_PGM_RSRC2:TGID_X_EN: 1
; COMPUTE_PGM_RSRC2:TGID_Y_EN: 1
; COMPUTE_PGM_RSRC2:TGID_Z_EN: 0
; COMPUTE_PGM_RSRC2:TIDIG_COMP_CNT: 0
	.section	.text._ZL33flash_attn_stream_k_fixup_uniformILi256ELi32ELi1EEvPfPK15HIP_vector_typeIfLj2EEiiiiiiS1_IjLj3EES5_S5_,"axG",@progbits,_ZL33flash_attn_stream_k_fixup_uniformILi256ELi32ELi1EEvPfPK15HIP_vector_typeIfLj2EEiiiiiiS1_IjLj3EES5_S5_,comdat
	.globl	_ZL33flash_attn_stream_k_fixup_uniformILi256ELi32ELi1EEvPfPK15HIP_vector_typeIfLj2EEiiiiiiS1_IjLj3EES5_S5_ ; -- Begin function _ZL33flash_attn_stream_k_fixup_uniformILi256ELi32ELi1EEvPfPK15HIP_vector_typeIfLj2EEiiiiiiS1_IjLj3EES5_S5_
	.p2align	8
	.type	_ZL33flash_attn_stream_k_fixup_uniformILi256ELi32ELi1EEvPfPK15HIP_vector_typeIfLj2EEiiiiiiS1_IjLj3EES5_S5_,@function
_ZL33flash_attn_stream_k_fixup_uniformILi256ELi32ELi1EEvPfPK15HIP_vector_typeIfLj2EEiiiiiiS1_IjLj3EES5_S5_: ; @_ZL33flash_attn_stream_k_fixup_uniformILi256ELi32ELi1EEvPfPK15HIP_vector_typeIfLj2EEiiiiiiS1_IjLj3EES5_S5_
; %bb.0:
	s_load_b256 s[4:11], s[0:1], 0x1c
	s_bfe_u32 s2, ttmp6, 0x40014
	s_lshr_b32 s3, ttmp7, 16
	s_add_co_i32 s2, s2, 1
	s_bfe_u32 s13, ttmp6, 0x40010
	s_mul_i32 s2, s3, s2
	s_bfe_u32 s12, ttmp6, 0x40008
	s_and_b32 s14, ttmp7, 0xffff
	s_add_co_i32 s13, s13, 1
	s_bfe_u32 s15, ttmp6, 0x4000c
	s_add_co_i32 s2, s12, s2
	s_mul_i32 s12, s14, s13
	s_bfe_u32 s13, ttmp6, 0x40004
	s_add_co_i32 s15, s15, 1
	s_add_co_i32 s13, s13, s12
	s_and_b32 s12, ttmp6, 15
	s_mul_i32 s15, ttmp9, s15
	s_getreg_b32 s20, hwreg(HW_REG_IB_STS2, 6, 4)
	s_add_co_i32 s12, s12, s15
	s_load_b128 s[16:19], s[0:1], 0x3c
	s_cmp_eq_u32 s20, 0
	s_cselect_b32 s12, ttmp9, s12
	s_cselect_b32 s13, s14, s13
	s_wait_kmcnt 0x0
	s_mul_hi_u32 s7, s7, s12
	s_cselect_b32 s14, s3, s2
	s_add_co_i32 s2, s12, s7
	s_delay_alu instid0(SALU_CYCLE_1) | instskip(NEXT) | instid1(SALU_CYCLE_1)
	s_lshr_b32 s7, s2, s8
	s_mul_i32 s2, s7, s9
	s_delay_alu instid0(SALU_CYCLE_1) | instskip(NEXT) | instid1(SALU_CYCLE_1)
	s_sub_co_i32 s8, s12, s2
	s_mul_hi_u32 s2, s8, s10
	s_delay_alu instid0(SALU_CYCLE_1) | instskip(SKIP_2) | instid1(SALU_CYCLE_1)
	s_add_co_i32 s9, s8, s2
	s_load_b64 s[2:3], s[0:1], 0x10
	s_lshr_b32 s15, s9, s11
	s_mul_i32 s9, s15, s16
	s_delay_alu instid0(SALU_CYCLE_1) | instskip(NEXT) | instid1(SALU_CYCLE_1)
	s_sub_co_i32 s8, s8, s9
	s_mul_hi_u32 s9, s8, s17
	s_delay_alu instid0(SALU_CYCLE_1) | instskip(NEXT) | instid1(SALU_CYCLE_1)
	s_add_co_i32 s9, s8, s9
	s_lshr_b32 s16, s9, s18
	s_delay_alu instid0(SALU_CYCLE_1) | instskip(NEXT) | instid1(SALU_CYCLE_1)
	s_mul_i32 s9, s16, s19
	s_sub_co_i32 s17, s8, s9
	s_delay_alu instid0(SALU_CYCLE_1) | instskip(NEXT) | instid1(SALU_CYCLE_1)
	s_lshl_b32 s8, s17, 5
	s_add_co_i32 s8, s8, s13
	s_wait_kmcnt 0x0
	s_cmp_lt_i32 s8, s2
	s_cselect_b32 s8, -1, 0
	s_add_co_i32 s9, s16, s14
	s_delay_alu instid0(SALU_CYCLE_1) | instskip(SKIP_1) | instid1(SALU_CYCLE_1)
	s_cmp_lt_i32 s9, s5
	s_cselect_b32 s9, -1, 0
	s_and_b32 s8, s8, s9
	s_delay_alu instid0(SALU_CYCLE_1)
	s_and_not1_b32 vcc_lo, exec_lo, s8
	s_cbranch_vccnz .LBB44_6
; %bb.1:
	s_mul_i32 s2, s7, s2
	s_load_b128 s[8:11], s[0:1], 0x0
	s_wait_xcnt 0x0
	s_add_co_i32 s0, s2, s13
	s_mul_i32 s15, s15, s5
	s_mul_i32 s0, s0, s3
	;; [unrolled: 1-line block ×3, first 2 shown]
	s_add_co_i32 s0, s0, s14
	s_lshl_b32 s1, s1, 13
	s_add_co_i32 s0, s0, s15
	s_mul_i32 s7, s6, s12
	s_add_co_i32 s0, s0, s16
	s_add_co_i32 s5, s7, s6
	s_lshl_b32 s0, s0, 8
	s_add_co_i32 s13, s13, s14
	s_add_co_i32 s1, s1, s0
	s_lshl_b32 s0, s5, 5
	v_or_b32_e32 v4, s1, v0
	s_add_co_i32 s0, s13, s0
	s_add_co_i32 s2, s5, -2
	s_sub_co_i32 s0, s0, 32
	s_delay_alu instid0(SALU_CYCLE_1)
	s_ashr_i32 s1, s0, 31
	s_wait_kmcnt 0x0
	global_load_b32 v3, v4, s[8:9] scale_offset
	s_lshl_b64 s[0:1], s[0:1], 3
	v_ashrrev_i32_e32 v5, 31, v4
	s_add_nc_u64 s[0:1], s[10:11], s[0:1]
	s_cmp_lt_i32 s2, s7
	s_load_b32 s14, s[0:1], 0x4
	s_cbranch_scc1 .LBB44_4
; %bb.2:
	s_wait_xcnt 0x0
	s_load_b32 s0, s[0:1], 0x0
	s_add_co_i32 s12, s12, 1
	s_lshl_b32 s3, s13, 8
	s_wait_xcnt 0x0
	s_mul_i32 s1, s6, s12
	s_lshl_b32 s2, s4, 7
	s_lshl_b32 s6, s1, 13
	;; [unrolled: 1-line block ×3, first 2 shown]
	s_add_co_i32 s6, s3, s6
	s_ashr_i32 s3, s2, 31
	s_wait_kmcnt 0x0
	v_dual_mov_b32 v2, s14 :: v_dual_bitop2_b32 v0, s6, v0 bitop3:0x54
	s_add_co_i32 s1, s13, s1
	s_lshl_b32 s4, s4, 5
	s_lshl_b64 s[2:3], s[2:3], 2
	s_delay_alu instid0(VALU_DEP_1)
	v_add_nc_u32_e32 v0, 0xffffc000, v0
	s_add_co_i32 s4, s1, s4
	s_add_nc_u64 s[2:3], s[10:11], s[2:3]
	s_add_co_i32 s1, s5, -1
	s_sub_co_i32 s4, s4, 64
.LBB44_3:                               ; =>This Inner Loop Header: Depth=1
	global_load_b32 v7, v0, s[2:3] scale_offset
	s_ashr_i32 s5, s4, 31
	v_max_num_f32_e64 v1, s0, s0
	s_lshl_b64 s[12:13], s[4:5], 3
	s_delay_alu instid0(SALU_CYCLE_1) | instskip(SKIP_1) | instid1(VALU_DEP_1)
	s_add_nc_u64 s[12:13], s[10:11], s[12:13]
	s_load_b64 s[12:13], s[12:13], 0x0
	v_readfirstlane_b32 s5, v1
	v_add_nc_u32_e32 v0, 0xffffe000, v0
	s_wait_kmcnt 0x0
	v_max_num_f32_e64 v1, s12, s12
	s_delay_alu instid0(VALU_DEP_1) | instskip(SKIP_1) | instid1(SALU_CYCLE_3)
	v_readfirstlane_b32 s6, v1
	s_max_num_f32 s5, s5, s6
	s_sub_f32 s0, s0, s5
	s_sub_f32 s6, s12, s5
	s_delay_alu instid0(SALU_CYCLE_2) | instskip(NEXT) | instid1(SALU_CYCLE_2)
	s_mul_f32 s12, s0, 0x3fb8aa3b
	s_mul_f32 s14, s6, 0x3fb8aa3b
	s_delay_alu instid0(SALU_CYCLE_2)
	s_xor_b32 s15, s12, 0x80000000
	s_rndne_f32 s16, s12
	s_fmamk_f32 s15, s0, 0x3fb8aa3b, s15
	s_cmp_nlt_f32 s0, 0xc2ce8ed0
	s_rndne_f32 s17, s14
	s_sub_f32 s12, s12, s16
	s_fmamk_f32 s15, s0, 0x32a5705f, s15
	s_cselect_b32 vcc_lo, -1, 0
	s_cmp_ngt_f32 s0, 0x42b17218
	s_delay_alu instid0(SALU_CYCLE_1) | instskip(SKIP_2) | instid1(SALU_CYCLE_1)
	s_add_f32 s12, s12, s15
	s_cvt_i32_f32 s15, s16
	s_sub_f32 s16, s14, s17
	v_s_exp_f32 s12, s12
	v_nop
	s_delay_alu instid0(TRANS32_DEP_1) | instskip(SKIP_1) | instid1(VALU_DEP_1)
	v_ldexp_f32 v1, s12, s15
	s_cvt_i32_f32 s12, s17
	v_cndmask_b32_e32 v1, 0, v1, vcc_lo
	s_cselect_b32 vcc_lo, -1, 0
	s_cmp_ge_f32 s0, 0xc1a00000
	s_delay_alu instid0(VALU_DEP_1)
	v_cndmask_b32_e32 v1, 0x7f800000, v1, vcc_lo
	s_cselect_b32 vcc_lo, -1, 0
	s_xor_b32 s0, s14, 0x80000000
	s_cmp_nlt_f32 s6, 0xc2ce8ed0
	s_fmamk_f32 s0, s6, 0x3fb8aa3b, s0
	v_cndmask_b32_e32 v10, 0, v1, vcc_lo
	s_delay_alu instid0(SALU_CYCLE_2) | instskip(NEXT) | instid1(SALU_CYCLE_3)
	s_fmamk_f32 s0, s6, 0x32a5705f, s0
	s_add_f32 s0, s16, s0
	s_delay_alu instid0(SALU_CYCLE_3) | instskip(SKIP_1) | instid1(TRANS32_DEP_1)
	v_s_exp_f32 s0, s0
	v_nop
	v_ldexp_f32 v6, s0, s12
	s_cselect_b32 s0, -1, 0
	s_cmp_ngt_f32 s6, 0x42b17218
	s_delay_alu instid0(VALU_DEP_1) | instskip(SKIP_2) | instid1(VALU_DEP_1)
	v_cndmask_b32_e64 v6, 0, v6, s0
	s_cselect_b32 s0, -1, 0
	s_cmp_ge_f32 s6, 0xc1a00000
	v_cndmask_b32_e64 v8, 0x7f800000, v6, s0
	s_cselect_b32 s0, -1, 0
	v_mov_b32_e32 v6, s13
	s_add_co_i32 s1, s1, -1
	s_sub_co_i32 s4, s4, 32
	v_cndmask_b32_e64 v8, 0, v8, s0
	s_cmp_le_i32 s1, s7
	s_mov_b32 s0, s5
	s_wait_loadcnt 0x0
	s_delay_alu instid0(VALU_DEP_1) | instskip(NEXT) | instid1(VALU_DEP_1)
	v_pk_mul_f32 v[6:7], v[6:7], v[8:9] op_sel_hi:[1,0]
	v_pk_fma_f32 v[2:3], v[2:3], v[10:11], v[6:7] op_sel_hi:[1,0,1]
	s_cbranch_scc0 .LBB44_3
	s_branch .LBB44_5
.LBB44_4:
	s_wait_kmcnt 0x0
	v_mov_b32_e32 v2, s14
.LBB44_5:
	v_lshl_add_u64 v[0:1], v[4:5], 2, s[8:9]
	s_wait_loadcnt 0x0
	s_delay_alu instid0(VALU_DEP_2) | instskip(NEXT) | instid1(VALU_DEP_1)
	v_div_scale_f32 v4, null, v2, v2, v3
	v_rcp_f32_e32 v5, v4
	v_nop
	s_delay_alu instid0(TRANS32_DEP_1) | instskip(NEXT) | instid1(VALU_DEP_1)
	v_fma_f32 v6, -v4, v5, 1.0
	v_fmac_f32_e32 v5, v6, v5
	v_div_scale_f32 v6, vcc_lo, v3, v2, v3
	s_delay_alu instid0(VALU_DEP_1) | instskip(NEXT) | instid1(VALU_DEP_1)
	v_mul_f32_e32 v7, v6, v5
	v_fma_f32 v8, -v4, v7, v6
	s_delay_alu instid0(VALU_DEP_1) | instskip(NEXT) | instid1(VALU_DEP_1)
	v_fmac_f32_e32 v7, v8, v5
	v_fma_f32 v4, -v4, v7, v6
	s_delay_alu instid0(VALU_DEP_1) | instskip(NEXT) | instid1(VALU_DEP_1)
	v_div_fmas_f32 v4, v4, v5, v7
	v_div_fixup_f32 v2, v4, v2, v3
	global_store_b32 v[0:1], v2, off
.LBB44_6:
	s_endpgm
	.section	.rodata,"a",@progbits
	.p2align	6, 0x0
	.amdhsa_kernel _ZL33flash_attn_stream_k_fixup_uniformILi256ELi32ELi1EEvPfPK15HIP_vector_typeIfLj2EEiiiiiiS1_IjLj3EES5_S5_
		.amdhsa_group_segment_fixed_size 0
		.amdhsa_private_segment_fixed_size 0
		.amdhsa_kernarg_size 76
		.amdhsa_user_sgpr_count 2
		.amdhsa_user_sgpr_dispatch_ptr 0
		.amdhsa_user_sgpr_queue_ptr 0
		.amdhsa_user_sgpr_kernarg_segment_ptr 1
		.amdhsa_user_sgpr_dispatch_id 0
		.amdhsa_user_sgpr_kernarg_preload_length 0
		.amdhsa_user_sgpr_kernarg_preload_offset 0
		.amdhsa_user_sgpr_private_segment_size 0
		.amdhsa_wavefront_size32 1
		.amdhsa_uses_dynamic_stack 0
		.amdhsa_enable_private_segment 0
		.amdhsa_system_sgpr_workgroup_id_x 1
		.amdhsa_system_sgpr_workgroup_id_y 1
		.amdhsa_system_sgpr_workgroup_id_z 1
		.amdhsa_system_sgpr_workgroup_info 0
		.amdhsa_system_vgpr_workitem_id 0
		.amdhsa_next_free_vgpr 12
		.amdhsa_next_free_sgpr 21
		.amdhsa_named_barrier_count 0
		.amdhsa_reserve_vcc 1
		.amdhsa_float_round_mode_32 0
		.amdhsa_float_round_mode_16_64 0
		.amdhsa_float_denorm_mode_32 3
		.amdhsa_float_denorm_mode_16_64 3
		.amdhsa_fp16_overflow 0
		.amdhsa_memory_ordered 1
		.amdhsa_forward_progress 1
		.amdhsa_inst_pref_size 9
		.amdhsa_round_robin_scheduling 0
		.amdhsa_exception_fp_ieee_invalid_op 0
		.amdhsa_exception_fp_denorm_src 0
		.amdhsa_exception_fp_ieee_div_zero 0
		.amdhsa_exception_fp_ieee_overflow 0
		.amdhsa_exception_fp_ieee_underflow 0
		.amdhsa_exception_fp_ieee_inexact 0
		.amdhsa_exception_int_div_zero 0
	.end_amdhsa_kernel
	.section	.text._ZL33flash_attn_stream_k_fixup_uniformILi256ELi32ELi1EEvPfPK15HIP_vector_typeIfLj2EEiiiiiiS1_IjLj3EES5_S5_,"axG",@progbits,_ZL33flash_attn_stream_k_fixup_uniformILi256ELi32ELi1EEvPfPK15HIP_vector_typeIfLj2EEiiiiiiS1_IjLj3EES5_S5_,comdat
.Lfunc_end44:
	.size	_ZL33flash_attn_stream_k_fixup_uniformILi256ELi32ELi1EEvPfPK15HIP_vector_typeIfLj2EEiiiiiiS1_IjLj3EES5_S5_, .Lfunc_end44-_ZL33flash_attn_stream_k_fixup_uniformILi256ELi32ELi1EEvPfPK15HIP_vector_typeIfLj2EEiiiiiiS1_IjLj3EES5_S5_
                                        ; -- End function
	.set _ZL33flash_attn_stream_k_fixup_uniformILi256ELi32ELi1EEvPfPK15HIP_vector_typeIfLj2EEiiiiiiS1_IjLj3EES5_S5_.num_vgpr, 12
	.set _ZL33flash_attn_stream_k_fixup_uniformILi256ELi32ELi1EEvPfPK15HIP_vector_typeIfLj2EEiiiiiiS1_IjLj3EES5_S5_.num_agpr, 0
	.set _ZL33flash_attn_stream_k_fixup_uniformILi256ELi32ELi1EEvPfPK15HIP_vector_typeIfLj2EEiiiiiiS1_IjLj3EES5_S5_.numbered_sgpr, 21
	.set _ZL33flash_attn_stream_k_fixup_uniformILi256ELi32ELi1EEvPfPK15HIP_vector_typeIfLj2EEiiiiiiS1_IjLj3EES5_S5_.num_named_barrier, 0
	.set _ZL33flash_attn_stream_k_fixup_uniformILi256ELi32ELi1EEvPfPK15HIP_vector_typeIfLj2EEiiiiiiS1_IjLj3EES5_S5_.private_seg_size, 0
	.set _ZL33flash_attn_stream_k_fixup_uniformILi256ELi32ELi1EEvPfPK15HIP_vector_typeIfLj2EEiiiiiiS1_IjLj3EES5_S5_.uses_vcc, 1
	.set _ZL33flash_attn_stream_k_fixup_uniformILi256ELi32ELi1EEvPfPK15HIP_vector_typeIfLj2EEiiiiiiS1_IjLj3EES5_S5_.uses_flat_scratch, 0
	.set _ZL33flash_attn_stream_k_fixup_uniformILi256ELi32ELi1EEvPfPK15HIP_vector_typeIfLj2EEiiiiiiS1_IjLj3EES5_S5_.has_dyn_sized_stack, 0
	.set _ZL33flash_attn_stream_k_fixup_uniformILi256ELi32ELi1EEvPfPK15HIP_vector_typeIfLj2EEiiiiiiS1_IjLj3EES5_S5_.has_recursion, 0
	.set _ZL33flash_attn_stream_k_fixup_uniformILi256ELi32ELi1EEvPfPK15HIP_vector_typeIfLj2EEiiiiiiS1_IjLj3EES5_S5_.has_indirect_call, 0
	.section	.AMDGPU.csdata,"",@progbits
; Kernel info:
; codeLenInByte = 1080
; TotalNumSgprs: 23
; NumVgprs: 12
; ScratchSize: 0
; MemoryBound: 0
; FloatMode: 240
; IeeeMode: 1
; LDSByteSize: 0 bytes/workgroup (compile time only)
; SGPRBlocks: 0
; VGPRBlocks: 0
; NumSGPRsForWavesPerEU: 23
; NumVGPRsForWavesPerEU: 12
; NamedBarCnt: 0
; Occupancy: 16
; WaveLimiterHint : 0
; COMPUTE_PGM_RSRC2:SCRATCH_EN: 0
; COMPUTE_PGM_RSRC2:USER_SGPR: 2
; COMPUTE_PGM_RSRC2:TRAP_HANDLER: 0
; COMPUTE_PGM_RSRC2:TGID_X_EN: 1
; COMPUTE_PGM_RSRC2:TGID_Y_EN: 1
; COMPUTE_PGM_RSRC2:TGID_Z_EN: 1
; COMPUTE_PGM_RSRC2:TIDIG_COMP_CNT: 0
	.section	.text._ZL33flash_attn_stream_k_fixup_generalILi256ELi32ELi1EEvPfPK15HIP_vector_typeIfLj2EEiiiiS1_IjLj3EES5_S5_S5_,"axG",@progbits,_ZL33flash_attn_stream_k_fixup_generalILi256ELi32ELi1EEvPfPK15HIP_vector_typeIfLj2EEiiiiS1_IjLj3EES5_S5_S5_,comdat
	.globl	_ZL33flash_attn_stream_k_fixup_generalILi256ELi32ELi1EEvPfPK15HIP_vector_typeIfLj2EEiiiiS1_IjLj3EES5_S5_S5_ ; -- Begin function _ZL33flash_attn_stream_k_fixup_generalILi256ELi32ELi1EEvPfPK15HIP_vector_typeIfLj2EEiiiiS1_IjLj3EES5_S5_S5_
	.p2align	8
	.type	_ZL33flash_attn_stream_k_fixup_generalILi256ELi32ELi1EEvPfPK15HIP_vector_typeIfLj2EEiiiiS1_IjLj3EES5_S5_S5_,@function
_ZL33flash_attn_stream_k_fixup_generalILi256ELi32ELi1EEvPfPK15HIP_vector_typeIfLj2EEiiiiS1_IjLj3EES5_S5_S5_: ; @_ZL33flash_attn_stream_k_fixup_generalILi256ELi32ELi1EEvPfPK15HIP_vector_typeIfLj2EEiiiiS1_IjLj3EES5_S5_S5_
; %bb.0:
	s_clause 0x1
	s_load_b128 s[4:7], s[0:1], 0x10
	s_load_b32 s16, s[0:1], 0x50
	s_bfe_u32 s2, ttmp6, 0x4000c
	s_and_b32 s3, ttmp6, 15
	s_add_co_i32 s2, s2, 1
	s_getreg_b32 s15, hwreg(HW_REG_IB_STS2, 6, 4)
	s_mul_i32 s2, ttmp9, s2
	s_mov_b32 s17, 0
	s_add_co_i32 s3, s3, s2
	s_cmp_eq_u32 s15, 0
	s_cselect_b32 s2, ttmp9, s3
	s_delay_alu instid0(SALU_CYCLE_1) | instskip(SKIP_3) | instid1(SALU_CYCLE_1)
	s_ashr_i32 s3, s2, 31
	s_wait_kmcnt 0x0
	s_ashr_i32 s19, s7, 31
	s_mov_b32 s18, s7
	s_mul_u64 s[8:9], s[18:19], s[2:3]
	s_delay_alu instid0(SALU_CYCLE_1) | instskip(NEXT) | instid1(SALU_CYCLE_1)
	s_and_b64 s[10:11], s[8:9], 0xffffffff00000000
	s_cmp_lg_u64 s[10:11], 0
	s_cbranch_scc0 .LBB45_21
; %bb.1:
	s_add_nc_u64 s[10:11], s[16:17], 0
	s_mov_b32 s23, s17
	s_xor_b64 s[10:11], s[10:11], 0
	s_mov_b32 s27, s17
	s_cvt_f32_u32 s3, s10
	s_cvt_f32_u32 s7, s11
	s_sub_nc_u64 s[20:21], 0, s[10:11]
	s_delay_alu instid0(SALU_CYCLE_2) | instskip(NEXT) | instid1(SALU_CYCLE_3)
	s_fmamk_f32 s3, s7, 0x4f800000, s3
	v_s_rcp_f32 s3, s3
	s_delay_alu instid0(TRANS32_DEP_1) | instskip(NEXT) | instid1(SALU_CYCLE_3)
	s_mul_f32 s3, s3, 0x5f7ffffc
	s_mul_f32 s7, s3, 0x2f800000
	s_delay_alu instid0(SALU_CYCLE_3) | instskip(NEXT) | instid1(SALU_CYCLE_3)
	s_trunc_f32 s7, s7
	s_fmamk_f32 s3, s7, 0xcf800000, s3
	s_cvt_u32_f32 s13, s7
	s_delay_alu instid0(SALU_CYCLE_2) | instskip(NEXT) | instid1(SALU_CYCLE_3)
	s_cvt_u32_f32 s12, s3
	s_mul_u64 s[24:25], s[20:21], s[12:13]
	s_delay_alu instid0(SALU_CYCLE_1)
	s_mul_hi_u32 s29, s12, s25
	s_mul_i32 s28, s12, s25
	s_mul_hi_u32 s22, s12, s24
	s_mul_i32 s7, s13, s24
	s_add_nc_u64 s[22:23], s[22:23], s[28:29]
	s_mul_hi_u32 s3, s13, s24
	s_mul_hi_u32 s14, s13, s25
	s_add_co_u32 s7, s22, s7
	s_add_co_ci_u32 s26, s23, s3
	s_mul_i32 s24, s13, s25
	s_add_co_ci_u32 s25, s14, 0
	s_delay_alu instid0(SALU_CYCLE_1) | instskip(SKIP_3) | instid1(SALU_CYCLE_1)
	s_add_nc_u64 s[22:23], s[26:27], s[24:25]
	s_mov_b32 s25, s17
	s_add_co_u32 s12, s12, s22
	s_cselect_b32 s3, -1, 0
	s_cmp_lg_u32 s3, 0
	s_add_co_ci_u32 s13, s13, s23
	s_mov_b32 s23, s17
	s_mul_u64 s[20:21], s[20:21], s[12:13]
	s_delay_alu instid0(SALU_CYCLE_1)
	s_mul_hi_u32 s27, s12, s21
	s_mul_i32 s26, s12, s21
	s_mul_hi_u32 s22, s12, s20
	s_mul_i32 s7, s13, s20
	s_add_nc_u64 s[22:23], s[22:23], s[26:27]
	s_mul_hi_u32 s3, s13, s20
	s_mul_hi_u32 s14, s13, s21
	s_add_co_u32 s7, s22, s7
	s_add_co_ci_u32 s24, s23, s3
	s_mul_i32 s20, s13, s21
	s_add_co_ci_u32 s21, s14, 0
	s_mov_b32 s23, s17
	s_add_nc_u64 s[20:21], s[24:25], s[20:21]
	s_delay_alu instid0(SALU_CYCLE_1) | instskip(SKIP_1) | instid1(SALU_CYCLE_1)
	s_add_co_u32 s3, s12, s20
	s_cselect_b32 s7, -1, 0
	s_cmp_lg_u32 s7, 0
	s_add_co_ci_u32 s7, s13, s21
	s_ashr_i32 s12, s9, 31
	s_delay_alu instid0(SALU_CYCLE_1) | instskip(NEXT) | instid1(SALU_CYCLE_1)
	s_mov_b32 s13, s12
	s_add_nc_u64 s[20:21], s[8:9], s[12:13]
	s_delay_alu instid0(SALU_CYCLE_1) | instskip(NEXT) | instid1(SALU_CYCLE_1)
	s_xor_b64 s[20:21], s[20:21], s[12:13]
	s_mul_hi_u32 s27, s20, s7
	s_mul_i32 s26, s20, s7
	s_mul_hi_u32 s22, s20, s3
	s_mul_hi_u32 s14, s21, s3
	s_mul_i32 s3, s21, s3
	s_add_nc_u64 s[22:23], s[22:23], s[26:27]
	s_mul_hi_u32 s9, s21, s7
	s_add_co_u32 s3, s22, s3
	s_add_co_ci_u32 s24, s23, s14
	s_mul_i32 s26, s21, s7
	s_add_co_ci_u32 s27, s9, 0
	s_delay_alu instid0(SALU_CYCLE_1) | instskip(NEXT) | instid1(SALU_CYCLE_1)
	s_add_nc_u64 s[22:23], s[24:25], s[26:27]
	s_and_b64 s[24:25], s[22:23], 0xffffffff00000000
	s_delay_alu instid0(SALU_CYCLE_1) | instskip(NEXT) | instid1(SALU_CYCLE_1)
	s_or_b32 s24, s24, s22
	s_mul_u64 s[22:23], s[10:11], s[24:25]
	s_add_nc_u64 s[26:27], s[24:25], 1
	s_sub_co_u32 s3, s20, s22
	s_cselect_b32 s7, -1, 0
	s_sub_co_i32 s9, s21, s23
	s_cmp_lg_u32 s7, 0
	s_add_nc_u64 s[28:29], s[24:25], 2
	s_sub_co_ci_u32 s9, s9, s11
	s_sub_co_u32 s14, s3, s10
	s_cselect_b32 s20, -1, 0
	s_delay_alu instid0(SALU_CYCLE_1) | instskip(SKIP_1) | instid1(SALU_CYCLE_1)
	s_cmp_lg_u32 s20, 0
	s_sub_co_ci_u32 s9, s9, 0
	s_cmp_ge_u32 s9, s11
	s_cselect_b32 s20, -1, 0
	s_cmp_ge_u32 s14, s10
	s_cselect_b32 s14, -1, 0
	s_cmp_eq_u32 s9, s11
	s_cselect_b32 s9, s14, s20
	s_delay_alu instid0(SALU_CYCLE_1) | instskip(SKIP_4) | instid1(SALU_CYCLE_1)
	s_cmp_lg_u32 s9, 0
	s_cselect_b32 s9, s28, s26
	s_cselect_b32 s14, s29, s27
	s_cmp_lg_u32 s7, 0
	s_sub_co_ci_u32 s7, s21, s23
	s_cmp_ge_u32 s7, s11
	s_cselect_b32 s20, -1, 0
	s_cmp_ge_u32 s3, s10
	s_cselect_b32 s3, -1, 0
	s_cmp_eq_u32 s7, s11
	s_cselect_b32 s3, s3, s20
	s_delay_alu instid0(SALU_CYCLE_1) | instskip(SKIP_4) | instid1(SALU_CYCLE_1)
	s_cmp_lg_u32 s3, 0
	s_mov_b32 s3, s17
	s_cselect_b32 s11, s14, s25
	s_cselect_b32 s10, s9, s24
	s_xor_b64 s[12:13], s[12:13], 0
	s_xor_b64 s[10:11], s[10:11], s[12:13]
	s_delay_alu instid0(SALU_CYCLE_1)
	s_sub_nc_u64 s[20:21], s[10:11], s[12:13]
	s_and_not1_b32 vcc_lo, exec_lo, s3
	s_cbranch_vccnz .LBB45_3
.LBB45_2:
	v_cvt_f32_u32_e32 v1, s16
	s_sub_co_i32 s7, 0, s16
	s_mov_b32 s21, 0
	s_delay_alu instid0(VALU_DEP_1) | instskip(SKIP_1) | instid1(TRANS32_DEP_1)
	v_rcp_iflag_f32_e32 v1, v1
	v_nop
	v_mul_f32_e32 v1, 0x4f7ffffe, v1
	s_delay_alu instid0(VALU_DEP_1) | instskip(NEXT) | instid1(VALU_DEP_1)
	v_cvt_u32_f32_e32 v1, v1
	v_readfirstlane_b32 s3, v1
	s_mul_i32 s7, s7, s3
	s_delay_alu instid0(SALU_CYCLE_1) | instskip(NEXT) | instid1(SALU_CYCLE_1)
	s_mul_hi_u32 s7, s3, s7
	s_add_co_i32 s3, s3, s7
	s_delay_alu instid0(SALU_CYCLE_1) | instskip(NEXT) | instid1(SALU_CYCLE_1)
	s_mul_hi_u32 s3, s8, s3
	s_mul_i32 s7, s3, s16
	s_delay_alu instid0(SALU_CYCLE_1)
	s_sub_co_i32 s7, s8, s7
	s_add_co_i32 s8, s3, 1
	s_sub_co_i32 s9, s7, s16
	s_cmp_ge_u32 s7, s16
	s_cselect_b32 s3, s8, s3
	s_cselect_b32 s7, s9, s7
	s_add_co_i32 s8, s3, 1
	s_cmp_ge_u32 s7, s16
	s_cselect_b32 s20, s8, s3
.LBB45_3:
	s_add_co_i32 s8, s2, 1
	s_delay_alu instid0(SALU_CYCLE_1) | instskip(NEXT) | instid1(SALU_CYCLE_1)
	s_ashr_i32 s9, s8, 31
	s_mul_u64 s[8:9], s[18:19], s[8:9]
	s_delay_alu instid0(SALU_CYCLE_1) | instskip(NEXT) | instid1(SALU_CYCLE_1)
	s_and_b64 s[10:11], s[8:9], 0xffffffff00000000
	s_cmp_lg_u64 s[10:11], 0
	s_cbranch_scc0 .LBB45_22
; %bb.4:
	s_add_nc_u64 s[10:11], s[16:17], 0
	s_delay_alu instid0(SALU_CYCLE_1) | instskip(SKIP_4) | instid1(SALU_CYCLE_2)
	s_xor_b64 s[12:13], s[10:11], 0
	s_mov_b32 s11, 0
	s_cvt_f32_u32 s3, s12
	s_cvt_f32_u32 s7, s13
	s_sub_nc_u64 s[24:25], 0, s[12:13]
	s_fmamk_f32 s3, s7, 0x4f800000, s3
	s_delay_alu instid0(SALU_CYCLE_3) | instskip(NEXT) | instid1(TRANS32_DEP_1)
	v_s_rcp_f32 s3, s3
	s_mul_f32 s3, s3, 0x5f7ffffc
	s_delay_alu instid0(SALU_CYCLE_3) | instskip(NEXT) | instid1(SALU_CYCLE_3)
	s_mul_f32 s7, s3, 0x2f800000
	s_trunc_f32 s7, s7
	s_delay_alu instid0(SALU_CYCLE_3) | instskip(SKIP_1) | instid1(SALU_CYCLE_2)
	s_fmamk_f32 s3, s7, 0xcf800000, s3
	s_cvt_u32_f32 s23, s7
	s_cvt_u32_f32 s22, s3
	s_delay_alu instid0(SALU_CYCLE_3) | instskip(NEXT) | instid1(SALU_CYCLE_1)
	s_mul_u64 s[26:27], s[24:25], s[22:23]
	s_mul_hi_u32 s29, s22, s27
	s_mul_i32 s28, s22, s27
	s_mul_hi_u32 s10, s22, s26
	s_mul_i32 s7, s23, s26
	s_add_nc_u64 s[28:29], s[10:11], s[28:29]
	s_mul_hi_u32 s3, s23, s26
	s_mul_hi_u32 s14, s23, s27
	s_add_co_u32 s7, s28, s7
	s_add_co_ci_u32 s10, s29, s3
	s_mul_i32 s26, s23, s27
	s_add_co_ci_u32 s27, s14, 0
	s_delay_alu instid0(SALU_CYCLE_1) | instskip(NEXT) | instid1(SALU_CYCLE_1)
	s_add_nc_u64 s[26:27], s[10:11], s[26:27]
	s_add_co_u32 s22, s22, s26
	s_cselect_b32 s3, -1, 0
	s_delay_alu instid0(SALU_CYCLE_1) | instskip(SKIP_1) | instid1(SALU_CYCLE_1)
	s_cmp_lg_u32 s3, 0
	s_add_co_ci_u32 s23, s23, s27
	s_mul_u64 s[24:25], s[24:25], s[22:23]
	s_delay_alu instid0(SALU_CYCLE_1)
	s_mul_hi_u32 s27, s22, s25
	s_mul_i32 s26, s22, s25
	s_mul_hi_u32 s10, s22, s24
	s_mul_i32 s7, s23, s24
	s_add_nc_u64 s[26:27], s[10:11], s[26:27]
	s_mul_hi_u32 s3, s23, s24
	s_mul_hi_u32 s14, s23, s25
	s_add_co_u32 s7, s26, s7
	s_add_co_ci_u32 s10, s27, s3
	s_mul_i32 s24, s23, s25
	s_add_co_ci_u32 s25, s14, 0
	s_delay_alu instid0(SALU_CYCLE_1) | instskip(NEXT) | instid1(SALU_CYCLE_1)
	s_add_nc_u64 s[24:25], s[10:11], s[24:25]
	s_add_co_u32 s3, s22, s24
	s_cselect_b32 s7, -1, 0
	s_delay_alu instid0(SALU_CYCLE_1) | instskip(SKIP_2) | instid1(SALU_CYCLE_1)
	s_cmp_lg_u32 s7, 0
	s_add_co_ci_u32 s7, s23, s25
	s_ashr_i32 s22, s9, 31
	s_mov_b32 s23, s22
	s_delay_alu instid0(SALU_CYCLE_1) | instskip(NEXT) | instid1(SALU_CYCLE_1)
	s_add_nc_u64 s[24:25], s[8:9], s[22:23]
	s_xor_b64 s[24:25], s[24:25], s[22:23]
	s_delay_alu instid0(SALU_CYCLE_1)
	s_mul_hi_u32 s27, s24, s7
	s_mul_i32 s26, s24, s7
	s_mul_hi_u32 s10, s24, s3
	s_mul_hi_u32 s14, s25, s3
	s_mul_i32 s3, s25, s3
	s_add_nc_u64 s[26:27], s[10:11], s[26:27]
	s_mul_hi_u32 s9, s25, s7
	s_add_co_u32 s3, s26, s3
	s_add_co_ci_u32 s10, s27, s14
	s_mul_i32 s28, s25, s7
	s_add_co_ci_u32 s29, s9, 0
	s_delay_alu instid0(SALU_CYCLE_1) | instskip(NEXT) | instid1(SALU_CYCLE_1)
	s_add_nc_u64 s[26:27], s[10:11], s[28:29]
	s_and_b64 s[28:29], s[26:27], 0xffffffff00000000
	s_delay_alu instid0(SALU_CYCLE_1) | instskip(NEXT) | instid1(SALU_CYCLE_1)
	s_or_b32 s28, s28, s26
	s_mul_u64 s[26:27], s[12:13], s[28:29]
	s_add_nc_u64 s[30:31], s[28:29], 1
	s_sub_co_u32 s3, s24, s26
	s_cselect_b32 s7, -1, 0
	s_sub_co_i32 s9, s25, s27
	s_cmp_lg_u32 s7, 0
	s_add_nc_u64 s[34:35], s[28:29], 2
	s_sub_co_ci_u32 s9, s9, s13
	s_sub_co_u32 s10, s3, s12
	s_cselect_b32 s14, -1, 0
	s_delay_alu instid0(SALU_CYCLE_1) | instskip(SKIP_1) | instid1(SALU_CYCLE_1)
	s_cmp_lg_u32 s14, 0
	s_sub_co_ci_u32 s9, s9, 0
	s_cmp_ge_u32 s9, s13
	s_cselect_b32 s14, -1, 0
	s_cmp_ge_u32 s10, s12
	s_cselect_b32 s10, -1, 0
	s_cmp_eq_u32 s9, s13
	s_cselect_b32 s9, s10, s14
	s_delay_alu instid0(SALU_CYCLE_1) | instskip(SKIP_4) | instid1(SALU_CYCLE_1)
	s_cmp_lg_u32 s9, 0
	s_cselect_b32 s9, s34, s30
	s_cselect_b32 s10, s35, s31
	s_cmp_lg_u32 s7, 0
	s_sub_co_ci_u32 s7, s25, s27
	s_cmp_ge_u32 s7, s13
	s_cselect_b32 s14, -1, 0
	s_cmp_ge_u32 s3, s12
	s_cselect_b32 s3, -1, 0
	s_cmp_eq_u32 s7, s13
	s_cselect_b32 s3, s3, s14
	s_delay_alu instid0(SALU_CYCLE_1) | instskip(SKIP_3) | instid1(SALU_CYCLE_1)
	s_cmp_lg_u32 s3, 0
	s_cselect_b32 s13, s10, s29
	s_cselect_b32 s12, s9, s28
	s_xor_b64 s[22:23], s[22:23], 0
	s_xor_b64 s[12:13], s[12:13], s[22:23]
	s_delay_alu instid0(SALU_CYCLE_1)
	s_sub_nc_u64 s[24:25], s[12:13], s[22:23]
	s_load_b96 s[12:14], s[0:1], 0x44
	s_cbranch_execnz .LBB45_6
.LBB45_5:
	v_cvt_f32_u32_e32 v1, s16
	s_sub_co_i32 s7, 0, s16
	s_delay_alu instid0(VALU_DEP_1) | instskip(SKIP_1) | instid1(TRANS32_DEP_1)
	v_rcp_iflag_f32_e32 v1, v1
	v_nop
	v_mul_f32_e32 v1, 0x4f7ffffe, v1
	s_delay_alu instid0(VALU_DEP_1) | instskip(NEXT) | instid1(VALU_DEP_1)
	v_cvt_u32_f32_e32 v1, v1
	v_readfirstlane_b32 s3, v1
	s_mul_i32 s7, s7, s3
	s_delay_alu instid0(SALU_CYCLE_1) | instskip(NEXT) | instid1(SALU_CYCLE_1)
	s_mul_hi_u32 s7, s3, s7
	s_add_co_i32 s3, s3, s7
	s_delay_alu instid0(SALU_CYCLE_1) | instskip(NEXT) | instid1(SALU_CYCLE_1)
	s_mul_hi_u32 s3, s8, s3
	s_mul_i32 s7, s3, s16
	s_delay_alu instid0(SALU_CYCLE_1)
	s_sub_co_i32 s7, s8, s7
	s_add_co_i32 s8, s3, 1
	s_sub_co_i32 s9, s7, s16
	s_cmp_ge_u32 s7, s16
	s_cselect_b32 s3, s8, s3
	s_cselect_b32 s7, s9, s7
	s_add_co_i32 s8, s3, 1
	s_cmp_ge_u32 s7, s16
	s_cselect_b32 s24, s8, s3
.LBB45_6:
	s_delay_alu instid0(SALU_CYCLE_1)
	s_cmp_eq_u32 s20, s24
	s_mov_b64 s[8:9], 0xffffffff
	s_cselect_b32 s3, -1, 0
	s_and_b64 s[8:9], s[20:21], s[8:9]
	s_mov_b32 s23, 0
	s_wait_kmcnt 0x0
	s_mov_b32 s22, s12
	s_mov_b32 s25, s23
	s_mul_u64 s[10:11], s[8:9], s[22:23]
	s_delay_alu instid0(SALU_CYCLE_1) | instskip(SKIP_2) | instid1(SALU_CYCLE_1)
	s_add_co_i32 s7, s11, s20
	s_mul_u64 s[10:11], s[24:25], s[22:23]
	s_lshr_b32 s12, s7, s13
	s_mul_i32 s7, s12, s14
	s_delay_alu instid0(SALU_CYCLE_1) | instskip(SKIP_2) | instid1(SALU_CYCLE_1)
	s_cmp_eq_u32 s7, s20
	s_cselect_b32 s7, -1, 0
	s_add_co_i32 s10, s11, s24
	s_lshr_b32 s10, s10, s13
	s_delay_alu instid0(SALU_CYCLE_1)
	s_cmp_eq_u32 s12, s10
	s_mul_i32 s10, s10, s14
	s_cselect_b32 s11, -1, 0
	s_cmp_lg_u32 s10, s24
	s_cselect_b32 s10, -1, 0
	s_or_b32 s3, s3, s7
	s_and_b32 s10, s11, s10
	s_delay_alu instid0(SALU_CYCLE_1) | instskip(NEXT) | instid1(SALU_CYCLE_1)
	s_or_b32 s3, s3, s10
	s_and_b32 vcc_lo, exec_lo, s3
	s_cbranch_vccnz .LBB45_24
; %bb.7:
	s_load_b256 s[24:31], s[0:1], 0x20
	s_bfe_u32 s7, ttmp6, 0x40014
	s_bfe_u32 s33, ttmp6, 0x40010
	s_lshr_b32 s3, ttmp7, 16
	s_add_co_i32 s7, s7, 1
	s_and_b32 s21, ttmp7, 0xffff
	s_add_co_i32 s33, s33, 1
	s_bfe_u32 s10, ttmp6, 0x40008
	s_mul_i32 s7, s3, s7
	s_bfe_u32 s34, ttmp6, 0x40004
	s_mul_i32 s33, s21, s33
	s_mov_b32 s11, s23
	s_add_co_i32 s7, s10, s7
	s_add_co_i32 s34, s34, s33
	s_cmp_eq_u32 s15, 0
	s_cselect_b32 s15, s21, s34
	s_cselect_b32 s3, s3, s7
	s_wait_kmcnt 0x0
	s_mov_b32 s10, s24
	s_delay_alu instid0(SALU_CYCLE_1) | instskip(SKIP_2) | instid1(SALU_CYCLE_1)
	s_mul_u64 s[8:9], s[8:9], s[10:11]
	s_load_b32 s8, s[0:1], 0x40
	s_add_co_i32 s7, s9, s20
	s_lshr_b32 s7, s7, s25
	s_delay_alu instid0(SALU_CYCLE_1) | instskip(NEXT) | instid1(SALU_CYCLE_1)
	s_mul_i32 s9, s7, s26
	s_sub_co_i32 s9, s20, s9
	s_delay_alu instid0(SALU_CYCLE_1) | instskip(NEXT) | instid1(SALU_CYCLE_1)
	s_mul_hi_u32 s10, s9, s27
	s_add_co_i32 s10, s9, s10
	s_delay_alu instid0(SALU_CYCLE_1) | instskip(NEXT) | instid1(SALU_CYCLE_1)
	s_lshr_b32 s21, s10, s28
	s_mul_i32 s10, s21, s29
	s_delay_alu instid0(SALU_CYCLE_1) | instskip(NEXT) | instid1(SALU_CYCLE_1)
	s_sub_co_i32 s10, s9, s10
	s_mul_hi_u32 s9, s10, s30
	s_delay_alu instid0(SALU_CYCLE_1) | instskip(NEXT) | instid1(SALU_CYCLE_1)
	s_add_co_i32 s9, s10, s9
	s_lshr_b32 s24, s9, s31
	s_mov_b32 s9, s23
	s_wait_kmcnt 0x0
	s_mul_i32 s8, s24, s8
	s_delay_alu instid0(SALU_CYCLE_1) | instskip(NEXT) | instid1(SALU_CYCLE_1)
	s_sub_co_i32 s8, s10, s8
	s_mul_u64 s[10:11], s[8:9], s[22:23]
	s_delay_alu instid0(SALU_CYCLE_1) | instskip(NEXT) | instid1(SALU_CYCLE_1)
	s_add_co_i32 s8, s8, s11
	s_lshr_b32 s25, s8, s13
	s_delay_alu instid0(SALU_CYCLE_1) | instskip(NEXT) | instid1(SALU_CYCLE_1)
	s_lshl_b32 s8, s25, 5
	s_add_co_i32 s8, s8, s15
	s_delay_alu instid0(SALU_CYCLE_1) | instskip(SKIP_2) | instid1(SALU_CYCLE_1)
	s_cmp_lt_i32 s8, s4
	s_cselect_b32 s8, -1, 0
	s_add_co_i32 s9, s24, s3
	s_cmp_lt_i32 s9, s6
	s_cselect_b32 s9, -1, 0
	s_delay_alu instid0(SALU_CYCLE_1) | instskip(NEXT) | instid1(SALU_CYCLE_1)
	s_and_b32 s8, s8, s9
	s_and_not1_b32 vcc_lo, exec_lo, s8
	s_cbranch_vccnz .LBB45_24
; %bb.8:
	s_mul_i32 s4, s7, s4
	s_load_b128 s[8:11], s[0:1], 0x0
	s_wait_xcnt 0x0
	s_add_co_i32 s0, s4, s15
	s_mul_i32 s21, s21, s6
	s_mul_i32 s0, s0, s5
	;; [unrolled: 1-line block ×3, first 2 shown]
	s_add_co_i32 s0, s0, s3
	s_lshl_b32 s1, s1, 13
	s_add_co_i32 s0, s0, s21
	s_add_co_i32 s15, s15, s3
	s_add_co_i32 s0, s0, s24
	v_lshl_or_b32 v6, s15, 8, v0
	s_lshl_b32 s0, s0, 8
	v_cvt_f32_u32_e32 v4, s16
	s_add_co_i32 s1, s1, s0
	s_lshl_b32 s24, s16, 7
	v_or_b32_e32 v2, s1, v0
	s_add_nc_u64 s[0:1], s[16:17], 0
	v_rcp_iflag_f32_e32 v4, v4
	s_xor_b64 s[6:7], s[0:1], 0
	s_lshl_b32 s0, s2, 5
	s_cvt_f32_u32 s3, s6
	s_add_co_i32 s0, s0, s15
	s_cvt_f32_u32 s4, s7
	s_ashr_i32 s1, s0, 31
	s_mov_b32 s25, 0
	s_lshl_b64 s[0:1], s[0:1], 3
	s_fmamk_f32 s3, s4, 0x4f800000, s3
	s_wait_kmcnt 0x0
	s_add_nc_u64 s[0:1], s[10:11], s[0:1]
	s_add_co_i32 s36, s2, -1
	s_load_b64 s[28:29], s[0:1], 0x0
	v_s_rcp_f32 s3, s3
	s_wait_xcnt 0x0
	s_lshl_b64 s[0:1], s[24:25], 2
	s_sub_nc_u64 s[34:35], 0, s[6:7]
	s_add_nc_u64 s[26:27], s[10:11], s[0:1]
	v_mul_f32_e32 v4, 0x4f7ffffe, v4
	s_delay_alu instid0(TRANS32_DEP_1) | instskip(NEXT) | instid1(VALU_DEP_1)
	s_mul_f32 s3, s3, 0x5f7ffffc
	v_cvt_u32_f32_e32 v7, v4
	s_delay_alu instid0(SALU_CYCLE_2) | instskip(NEXT) | instid1(SALU_CYCLE_3)
	s_mul_f32 s4, s3, 0x2f800000
	s_trunc_f32 s4, s4
	s_wait_kmcnt 0x0
	v_mov_b32_e32 v0, s29
	global_load_b32 v1, v2, s[8:9] scale_offset
	v_ashrrev_i32_e32 v3, 31, v2
	s_fmamk_f32 s0, s4, 0xcf800000, s3
	s_cvt_u32_f32 s31, s4
	s_wait_xcnt 0x0
	s_delay_alu instid0(VALU_DEP_1)
	v_lshl_add_u64 v[2:3], v[2:3], 2, s[8:9]
	s_cvt_u32_f32 s30, s0
	s_mov_b64 s[8:9], 0xffffffff
.LBB45_9:                               ; =>This Inner Loop Header: Depth=1
	s_ashr_i32 s37, s36, 31
                                        ; implicit-def: $sgpr40_sgpr41
	s_delay_alu instid0(SALU_CYCLE_1) | instskip(NEXT) | instid1(SALU_CYCLE_1)
	s_mul_u64 s[0:1], s[36:37], s[18:19]
	s_and_b64 s[2:3], s[0:1], 0xffffffff00000000
	s_delay_alu instid0(SALU_CYCLE_1)
	s_cmp_lg_u64 s[2:3], 0
	s_mov_b32 s2, -1
	s_cbranch_scc0 .LBB45_11
; %bb.10:                               ;   in Loop: Header=BB45_9 Depth=1
	s_mul_u64 s[2:3], s[34:35], s[30:31]
	s_delay_alu instid0(SALU_CYCLE_1)
	s_mul_hi_u32 s5, s30, s3
	s_mul_i32 s4, s30, s3
	s_mul_hi_u32 s24, s30, s2
	s_mul_hi_u32 s17, s31, s2
	s_add_nc_u64 s[4:5], s[24:25], s[4:5]
	s_mul_i32 s2, s31, s2
	s_mul_hi_u32 s21, s31, s3
	s_add_co_u32 s2, s4, s2
	s_add_co_ci_u32 s24, s5, s17
	s_add_co_ci_u32 s5, s21, 0
	s_mul_i32 s4, s31, s3
	s_delay_alu instid0(SALU_CYCLE_1) | instskip(NEXT) | instid1(SALU_CYCLE_1)
	s_add_nc_u64 s[2:3], s[24:25], s[4:5]
	s_add_co_u32 s2, s30, s2
	s_cselect_b32 s4, -1, 0
	s_delay_alu instid0(SALU_CYCLE_1) | instskip(SKIP_1) | instid1(SALU_CYCLE_1)
	s_cmp_lg_u32 s4, 0
	s_add_co_ci_u32 s3, s31, s3
	s_mul_u64 s[4:5], s[34:35], s[2:3]
	s_delay_alu instid0(SALU_CYCLE_1)
	s_mul_hi_u32 s39, s2, s5
	s_mul_i32 s38, s2, s5
	s_mul_hi_u32 s24, s2, s4
	s_mul_hi_u32 s17, s3, s4
	s_mul_i32 s4, s3, s4
	s_add_nc_u64 s[38:39], s[24:25], s[38:39]
	s_mul_hi_u32 s21, s3, s5
	s_add_co_u32 s4, s38, s4
	s_add_co_ci_u32 s24, s39, s17
	s_mul_i32 s4, s3, s5
	s_add_co_ci_u32 s5, s21, 0
	s_delay_alu instid0(SALU_CYCLE_1) | instskip(NEXT) | instid1(SALU_CYCLE_1)
	s_add_nc_u64 s[4:5], s[24:25], s[4:5]
	s_add_co_u32 s17, s2, s4
	s_cselect_b32 s2, -1, 0
	s_delay_alu instid0(SALU_CYCLE_1) | instskip(SKIP_2) | instid1(SALU_CYCLE_1)
	s_cmp_lg_u32 s2, 0
	s_add_co_ci_u32 s21, s3, s5
	s_ashr_i32 s2, s1, 31
	s_mov_b32 s3, s2
	s_delay_alu instid0(SALU_CYCLE_1) | instskip(NEXT) | instid1(SALU_CYCLE_1)
	s_add_nc_u64 s[4:5], s[0:1], s[2:3]
	s_xor_b64 s[4:5], s[4:5], s[2:3]
	s_delay_alu instid0(SALU_CYCLE_1)
	s_mul_hi_u32 s39, s4, s21
	s_mul_i32 s38, s4, s21
	s_mul_hi_u32 s24, s4, s17
	s_mul_hi_u32 s29, s5, s17
	s_mul_i32 s17, s5, s17
	s_add_nc_u64 s[38:39], s[24:25], s[38:39]
	s_mul_hi_u32 s1, s5, s21
	s_add_co_u32 s17, s38, s17
	s_add_co_ci_u32 s24, s39, s29
	s_mul_i32 s40, s5, s21
	s_add_co_ci_u32 s41, s1, 0
	s_delay_alu instid0(SALU_CYCLE_1) | instskip(NEXT) | instid1(SALU_CYCLE_1)
	s_add_nc_u64 s[38:39], s[24:25], s[40:41]
	s_and_b64 s[40:41], s[38:39], 0xffffffff00000000
	s_delay_alu instid0(SALU_CYCLE_1) | instskip(NEXT) | instid1(SALU_CYCLE_1)
	s_or_b32 s40, s40, s38
	s_mul_u64 s[38:39], s[6:7], s[40:41]
	s_add_nc_u64 s[42:43], s[40:41], 1
	s_sub_co_u32 s1, s4, s38
	s_cselect_b32 s4, -1, 0
	s_sub_co_i32 s17, s5, s39
	s_cmp_lg_u32 s4, 0
	s_add_nc_u64 s[44:45], s[40:41], 2
	s_sub_co_ci_u32 s17, s17, s7
	s_sub_co_u32 s21, s1, s6
	s_cselect_b32 s24, -1, 0
	s_delay_alu instid0(SALU_CYCLE_1) | instskip(SKIP_1) | instid1(SALU_CYCLE_1)
	s_cmp_lg_u32 s24, 0
	s_sub_co_ci_u32 s17, s17, 0
	s_cmp_ge_u32 s17, s7
	s_cselect_b32 s24, -1, 0
	s_cmp_ge_u32 s21, s6
	s_cselect_b32 s21, -1, 0
	s_cmp_eq_u32 s17, s7
	s_cselect_b32 s17, s21, s24
	s_delay_alu instid0(SALU_CYCLE_1) | instskip(SKIP_4) | instid1(SALU_CYCLE_1)
	s_cmp_lg_u32 s17, 0
	s_cselect_b32 s17, s44, s42
	s_cselect_b32 s21, s45, s43
	s_cmp_lg_u32 s4, 0
	s_sub_co_ci_u32 s4, s5, s39
	s_cmp_ge_u32 s4, s7
	s_cselect_b32 s5, -1, 0
	s_cmp_ge_u32 s1, s6
	s_cselect_b32 s1, -1, 0
	s_cmp_eq_u32 s4, s7
	s_cselect_b32 s1, s1, s5
	s_delay_alu instid0(SALU_CYCLE_1) | instskip(SKIP_3) | instid1(SALU_CYCLE_1)
	s_cmp_lg_u32 s1, 0
	s_cselect_b32 s5, s21, s41
	s_cselect_b32 s4, s17, s40
	s_xor_b64 s[2:3], s[2:3], 0
	s_xor_b64 s[4:5], s[4:5], s[2:3]
	s_delay_alu instid0(SALU_CYCLE_1)
	s_sub_nc_u64 s[40:41], s[4:5], s[2:3]
	s_mov_b32 s2, 0
.LBB45_11:                              ;   in Loop: Header=BB45_9 Depth=1
	s_delay_alu instid0(SALU_CYCLE_1)
	s_and_not1_b32 vcc_lo, exec_lo, s2
	s_cbranch_vccnz .LBB45_13
; %bb.12:                               ;   in Loop: Header=BB45_9 Depth=1
	v_readfirstlane_b32 s1, v7
	s_sub_co_i32 s2, 0, s16
	s_delay_alu instid0(SALU_CYCLE_1) | instskip(NEXT) | instid1(SALU_CYCLE_1)
	s_mul_i32 s2, s2, s1
	s_mul_hi_u32 s2, s1, s2
	s_delay_alu instid0(SALU_CYCLE_1) | instskip(NEXT) | instid1(SALU_CYCLE_1)
	s_add_co_i32 s1, s1, s2
	s_mul_hi_u32 s1, s0, s1
	s_delay_alu instid0(SALU_CYCLE_1) | instskip(NEXT) | instid1(SALU_CYCLE_1)
	s_mul_i32 s2, s1, s16
	s_sub_co_i32 s0, s0, s2
	s_add_co_i32 s2, s1, 1
	s_sub_co_i32 s3, s0, s16
	s_cmp_ge_u32 s0, s16
	s_cselect_b32 s1, s2, s1
	s_cselect_b32 s0, s3, s0
	s_add_co_i32 s2, s1, 1
	s_cmp_ge_u32 s0, s16
	s_cselect_b32 s24, s2, s1
	s_delay_alu instid0(SALU_CYCLE_1)
	s_mov_b64 s[40:41], s[24:25]
.LBB45_13:                              ;   in Loop: Header=BB45_9 Depth=1
	s_delay_alu instid0(SALU_CYCLE_1)
	s_cmp_lg_u32 s20, s40
	s_mov_b32 s0, -1
                                        ; implicit-def: $vgpr4_vgpr5
                                        ; implicit-def: $sgpr24
                                        ; implicit-def: $sgpr17
                                        ; implicit-def: $sgpr21
                                        ; implicit-def: $sgpr29
	s_cbranch_scc0 .LBB45_18
; %bb.14:                               ;   in Loop: Header=BB45_9 Depth=1
	s_add_co_i32 s0, s36, s16
	v_max_num_f32_e64 v4, s28, s28
	s_lshl_b32 s0, s0, 5
	s_mov_b32 s29, s20
	s_add_co_i32 s0, s0, s15
	s_load_b64 s[38:39], s[10:11], s0 offset:0x0 scale_offset
	s_wait_xcnt 0x0
	v_readfirstlane_b32 s0, v4
	s_wait_kmcnt 0x0
	v_max_num_f32_e64 v5, s38, s38
	s_delay_alu instid0(VALU_DEP_1) | instskip(SKIP_1) | instid1(SALU_CYCLE_3)
	v_readfirstlane_b32 s1, v5
	s_max_num_f32 s17, s0, s1
	s_sub_f32 s33, s28, s17
	s_sub_f32 s37, s38, s17
	s_delay_alu instid0(SALU_CYCLE_2)
	s_cmp_nlt_f32 s33, 0xc2ce8ed0
	s_cselect_b32 s1, -1, 0
	s_cmp_ngt_f32 s33, 0x42b17218
	s_cselect_b32 s2, -1, 0
	s_cmp_ge_f32 s33, 0xc1a00000
	s_cselect_b32 s0, -1, 0
	s_cmp_nlt_f32 s37, 0xc2ce8ed0
	s_cselect_b32 s3, -1, 0
	s_cmp_ngt_f32 s37, 0x42b17218
	s_cselect_b32 s4, -1, 0
	s_cmp_ge_f32 s37, 0xc1a00000
	s_cselect_b32 s5, -1, 0
	s_and_b64 s[42:43], s[40:41], s[8:9]
	s_delay_alu instid0(SALU_CYCLE_1) | instskip(NEXT) | instid1(SALU_CYCLE_1)
	s_mul_u64 s[42:43], s[42:43], s[22:23]
	s_add_co_i32 s21, s43, s40
	s_delay_alu instid0(SALU_CYCLE_1) | instskip(NEXT) | instid1(SALU_CYCLE_1)
	s_lshr_b32 s21, s21, s13
	s_mul_i32 s24, s21, s14
	s_delay_alu instid0(SALU_CYCLE_1) | instskip(SKIP_3) | instid1(SALU_CYCLE_1)
	s_cmp_eq_u32 s24, s40
	s_cselect_b32 s24, -1, 0
	s_cmp_lt_u32 s21, s12
	s_cselect_b32 s21, -1, 0
	s_or_b32 s21, s21, s24
	s_mov_b32 s24, -1
	s_and_b32 vcc_lo, exec_lo, s21
	s_mov_b32 s21, s36
	s_cbranch_vccnz .LBB45_16
; %bb.15:                               ;   in Loop: Header=BB45_9 Depth=1
	s_add_co_i32 s21, s36, -1
	s_mov_b32 s24, 0
	s_mov_b32 s29, s40
.LBB45_16:                              ;   in Loop: Header=BB45_9 Depth=1
	v_lshl_add_u32 v4, s36, 13, v6
	s_mul_f32 s40, s33, 0x3fb8aa3b
	s_mul_f32 s38, s37, 0x3fb8aa3b
	s_delay_alu instid0(SALU_CYCLE_2)
	s_xor_b32 s42, s40, 0x80000000
	global_load_b32 v5, v4, s[26:27] scale_offset
	s_fmamk_f32 s42, s33, 0x3fb8aa3b, s42
	s_rndne_f32 s44, s40
	s_xor_b32 s41, s38, 0x80000000
	s_rndne_f32 s43, s38
	s_fmamk_f32 s33, s33, 0x32a5705f, s42
	s_sub_f32 s40, s40, s44
	s_fmamk_f32 s41, s37, 0x3fb8aa3b, s41
	s_sub_f32 s38, s38, s43
	s_delay_alu instid0(SALU_CYCLE_1) | instskip(NEXT) | instid1(SALU_CYCLE_1)
	s_add_f32 s33, s40, s33
	s_fmamk_f32 s37, s37, 0x32a5705f, s41
	s_cvt_i32_f32 s40, s44
	s_delay_alu instid0(SALU_CYCLE_1) | instskip(NEXT) | instid1(SALU_CYCLE_1)
	v_s_exp_f32 s33, s33
	s_add_f32 s37, s38, s37
	s_cvt_i32_f32 s38, s43
	s_delay_alu instid0(SALU_CYCLE_2) | instskip(NEXT) | instid1(TRANS32_DEP_2)
	v_s_exp_f32 s37, s37
	v_ldexp_f32 v8, s33, s40
	s_wait_xcnt 0x0
	s_delay_alu instid0(TRANS32_DEP_1) | instskip(NEXT) | instid1(VALU_DEP_2)
	v_ldexp_f32 v4, s37, s38
	v_cndmask_b32_e64 v8, 0, v8, s1
	s_delay_alu instid0(VALU_DEP_1) | instskip(NEXT) | instid1(VALU_DEP_1)
	v_cndmask_b32_e64 v9, 0x7f800000, v8, s2
	v_dual_cndmask_b32 v4, 0, v4, s3 :: v_dual_cndmask_b32 v10, 0, v9, s0
	s_delay_alu instid0(VALU_DEP_1) | instskip(NEXT) | instid1(VALU_DEP_1)
	v_cndmask_b32_e64 v4, 0x7f800000, v4, s4
	v_dual_cndmask_b32 v8, 0, v4, s5 :: v_dual_mov_b32 v4, s39
	s_wait_loadcnt 0x0
	s_delay_alu instid0(VALU_DEP_1) | instskip(NEXT) | instid1(VALU_DEP_1)
	v_pk_mul_f32 v[4:5], v[4:5], v[8:9] op_sel_hi:[1,0]
	v_pk_fma_f32 v[4:5], v[0:1], v[10:11], v[4:5] op_sel_hi:[1,0,1]
	s_cbranch_execz .LBB45_19
.LBB45_17:                              ;   in Loop: Header=BB45_9 Depth=1
	s_and_not1_b32 vcc_lo, exec_lo, s24
	s_cbranch_vccnz .LBB45_20
	s_branch .LBB45_23
.LBB45_18:                              ;   in Loop: Header=BB45_9 Depth=1
	s_and_not1_b32 vcc_lo, exec_lo, s0
	s_cbranch_vccnz .LBB45_17
.LBB45_19:                              ;   in Loop: Header=BB45_9 Depth=1
	s_wait_loadcnt 0x0
	v_mov_b64_e32 v[4:5], v[0:1]
	s_add_co_i32 s21, s36, -1
	s_mov_b32 s29, s20
	s_mov_b32 s17, s28
	s_cbranch_execz .LBB45_23
.LBB45_20:                              ;   in Loop: Header=BB45_9 Depth=1
	s_wait_loadcnt 0x0
	s_delay_alu instid0(VALU_DEP_1)
	v_mov_b64_e32 v[0:1], v[4:5]
	s_mov_b32 s20, s29
	s_mov_b32 s36, s21
	;; [unrolled: 1-line block ×3, first 2 shown]
	s_branch .LBB45_9
.LBB45_21:
                                        ; implicit-def: $sgpr20_sgpr21
	s_branch .LBB45_2
.LBB45_22:
                                        ; implicit-def: $sgpr24_sgpr25
	s_load_b96 s[12:14], s[0:1], 0x44
	s_branch .LBB45_5
.LBB45_23:
	s_delay_alu instid0(VALU_DEP_1) | instskip(SKIP_1) | instid1(VALU_DEP_1)
	v_div_scale_f32 v0, null, v4, v4, v5
	s_wait_loadcnt 0x0
	v_rcp_f32_e32 v1, v0
	v_nop
	s_delay_alu instid0(TRANS32_DEP_1) | instskip(NEXT) | instid1(VALU_DEP_1)
	v_fma_f32 v6, -v0, v1, 1.0
	v_fmac_f32_e32 v1, v6, v1
	v_div_scale_f32 v6, vcc_lo, v5, v4, v5
	s_delay_alu instid0(VALU_DEP_1) | instskip(NEXT) | instid1(VALU_DEP_1)
	v_mul_f32_e32 v7, v6, v1
	v_fma_f32 v8, -v0, v7, v6
	s_delay_alu instid0(VALU_DEP_1) | instskip(NEXT) | instid1(VALU_DEP_1)
	v_fmac_f32_e32 v7, v8, v1
	v_fma_f32 v0, -v0, v7, v6
	s_delay_alu instid0(VALU_DEP_1) | instskip(NEXT) | instid1(VALU_DEP_1)
	v_div_fmas_f32 v0, v0, v1, v7
	v_div_fixup_f32 v0, v0, v4, v5
	global_store_b32 v[2:3], v0, off
.LBB45_24:
	s_endpgm
	.section	.rodata,"a",@progbits
	.p2align	6, 0x0
	.amdhsa_kernel _ZL33flash_attn_stream_k_fixup_generalILi256ELi32ELi1EEvPfPK15HIP_vector_typeIfLj2EEiiiiS1_IjLj3EES5_S5_S5_
		.amdhsa_group_segment_fixed_size 0
		.amdhsa_private_segment_fixed_size 0
		.amdhsa_kernarg_size 336
		.amdhsa_user_sgpr_count 2
		.amdhsa_user_sgpr_dispatch_ptr 0
		.amdhsa_user_sgpr_queue_ptr 0
		.amdhsa_user_sgpr_kernarg_segment_ptr 1
		.amdhsa_user_sgpr_dispatch_id 0
		.amdhsa_user_sgpr_kernarg_preload_length 0
		.amdhsa_user_sgpr_kernarg_preload_offset 0
		.amdhsa_user_sgpr_private_segment_size 0
		.amdhsa_wavefront_size32 1
		.amdhsa_uses_dynamic_stack 0
		.amdhsa_enable_private_segment 0
		.amdhsa_system_sgpr_workgroup_id_x 1
		.amdhsa_system_sgpr_workgroup_id_y 1
		.amdhsa_system_sgpr_workgroup_id_z 1
		.amdhsa_system_sgpr_workgroup_info 0
		.amdhsa_system_vgpr_workitem_id 0
		.amdhsa_next_free_vgpr 12
		.amdhsa_next_free_sgpr 46
		.amdhsa_named_barrier_count 0
		.amdhsa_reserve_vcc 1
		.amdhsa_float_round_mode_32 0
		.amdhsa_float_round_mode_16_64 0
		.amdhsa_float_denorm_mode_32 3
		.amdhsa_float_denorm_mode_16_64 3
		.amdhsa_fp16_overflow 0
		.amdhsa_memory_ordered 1
		.amdhsa_forward_progress 1
		.amdhsa_inst_pref_size 27
		.amdhsa_round_robin_scheduling 0
		.amdhsa_exception_fp_ieee_invalid_op 0
		.amdhsa_exception_fp_denorm_src 0
		.amdhsa_exception_fp_ieee_div_zero 0
		.amdhsa_exception_fp_ieee_overflow 0
		.amdhsa_exception_fp_ieee_underflow 0
		.amdhsa_exception_fp_ieee_inexact 0
		.amdhsa_exception_int_div_zero 0
	.end_amdhsa_kernel
	.section	.text._ZL33flash_attn_stream_k_fixup_generalILi256ELi32ELi1EEvPfPK15HIP_vector_typeIfLj2EEiiiiS1_IjLj3EES5_S5_S5_,"axG",@progbits,_ZL33flash_attn_stream_k_fixup_generalILi256ELi32ELi1EEvPfPK15HIP_vector_typeIfLj2EEiiiiS1_IjLj3EES5_S5_S5_,comdat
.Lfunc_end45:
	.size	_ZL33flash_attn_stream_k_fixup_generalILi256ELi32ELi1EEvPfPK15HIP_vector_typeIfLj2EEiiiiS1_IjLj3EES5_S5_S5_, .Lfunc_end45-_ZL33flash_attn_stream_k_fixup_generalILi256ELi32ELi1EEvPfPK15HIP_vector_typeIfLj2EEiiiiS1_IjLj3EES5_S5_S5_
                                        ; -- End function
	.set _ZL33flash_attn_stream_k_fixup_generalILi256ELi32ELi1EEvPfPK15HIP_vector_typeIfLj2EEiiiiS1_IjLj3EES5_S5_S5_.num_vgpr, 12
	.set _ZL33flash_attn_stream_k_fixup_generalILi256ELi32ELi1EEvPfPK15HIP_vector_typeIfLj2EEiiiiS1_IjLj3EES5_S5_S5_.num_agpr, 0
	.set _ZL33flash_attn_stream_k_fixup_generalILi256ELi32ELi1EEvPfPK15HIP_vector_typeIfLj2EEiiiiS1_IjLj3EES5_S5_S5_.numbered_sgpr, 46
	.set _ZL33flash_attn_stream_k_fixup_generalILi256ELi32ELi1EEvPfPK15HIP_vector_typeIfLj2EEiiiiS1_IjLj3EES5_S5_S5_.num_named_barrier, 0
	.set _ZL33flash_attn_stream_k_fixup_generalILi256ELi32ELi1EEvPfPK15HIP_vector_typeIfLj2EEiiiiS1_IjLj3EES5_S5_S5_.private_seg_size, 0
	.set _ZL33flash_attn_stream_k_fixup_generalILi256ELi32ELi1EEvPfPK15HIP_vector_typeIfLj2EEiiiiS1_IjLj3EES5_S5_S5_.uses_vcc, 1
	.set _ZL33flash_attn_stream_k_fixup_generalILi256ELi32ELi1EEvPfPK15HIP_vector_typeIfLj2EEiiiiS1_IjLj3EES5_S5_S5_.uses_flat_scratch, 0
	.set _ZL33flash_attn_stream_k_fixup_generalILi256ELi32ELi1EEvPfPK15HIP_vector_typeIfLj2EEiiiiS1_IjLj3EES5_S5_S5_.has_dyn_sized_stack, 0
	.set _ZL33flash_attn_stream_k_fixup_generalILi256ELi32ELi1EEvPfPK15HIP_vector_typeIfLj2EEiiiiS1_IjLj3EES5_S5_S5_.has_recursion, 0
	.set _ZL33flash_attn_stream_k_fixup_generalILi256ELi32ELi1EEvPfPK15HIP_vector_typeIfLj2EEiiiiS1_IjLj3EES5_S5_S5_.has_indirect_call, 0
	.section	.AMDGPU.csdata,"",@progbits
; Kernel info:
; codeLenInByte = 3352
; TotalNumSgprs: 48
; NumVgprs: 12
; ScratchSize: 0
; MemoryBound: 0
; FloatMode: 240
; IeeeMode: 1
; LDSByteSize: 0 bytes/workgroup (compile time only)
; SGPRBlocks: 0
; VGPRBlocks: 0
; NumSGPRsForWavesPerEU: 48
; NumVGPRsForWavesPerEU: 12
; NamedBarCnt: 0
; Occupancy: 16
; WaveLimiterHint : 0
; COMPUTE_PGM_RSRC2:SCRATCH_EN: 0
; COMPUTE_PGM_RSRC2:USER_SGPR: 2
; COMPUTE_PGM_RSRC2:TRAP_HANDLER: 0
; COMPUTE_PGM_RSRC2:TGID_X_EN: 1
; COMPUTE_PGM_RSRC2:TGID_Y_EN: 1
; COMPUTE_PGM_RSRC2:TGID_Z_EN: 1
; COMPUTE_PGM_RSRC2:TIDIG_COMP_CNT: 0
	.section	.text._ZL15flash_attn_tileILi256ELi256ELi16ELi1ELb0EEvPKcS1_S1_S1_S1_PKiPfP15HIP_vector_typeIfLj2EEffffjfiS5_IjLj3EEiiiiiiiiiiiliiliiiiil,"axG",@progbits,_ZL15flash_attn_tileILi256ELi256ELi16ELi1ELb0EEvPKcS1_S1_S1_S1_PKiPfP15HIP_vector_typeIfLj2EEffffjfiS5_IjLj3EEiiiiiiiiiiiliiliiiiil,comdat
	.globl	_ZL15flash_attn_tileILi256ELi256ELi16ELi1ELb0EEvPKcS1_S1_S1_S1_PKiPfP15HIP_vector_typeIfLj2EEffffjfiS5_IjLj3EEiiiiiiiiiiiliiliiiiil ; -- Begin function _ZL15flash_attn_tileILi256ELi256ELi16ELi1ELb0EEvPKcS1_S1_S1_S1_PKiPfP15HIP_vector_typeIfLj2EEffffjfiS5_IjLj3EEiiiiiiiiiiiliiliiiiil
	.p2align	8
	.type	_ZL15flash_attn_tileILi256ELi256ELi16ELi1ELb0EEvPKcS1_S1_S1_S1_PKiPfP15HIP_vector_typeIfLj2EEffffjfiS5_IjLj3EEiiiiiiiiiiiliiliiiiil,@function
_ZL15flash_attn_tileILi256ELi256ELi16ELi1ELb0EEvPKcS1_S1_S1_S1_PKiPfP15HIP_vector_typeIfLj2EEffffjfiS5_IjLj3EEiiiiiiiiiiiliiliiiiil: ; @_ZL15flash_attn_tileILi256ELi256ELi16ELi1ELb0EEvPKcS1_S1_S1_S1_PKiPfP15HIP_vector_typeIfLj2EEffffjfiS5_IjLj3EEiiiiiiiiiiiliiliiiiil
; %bb.0:
	s_clause 0x1
	s_load_b128 s[20:23], s[0:1], 0x5c
	s_load_b64 s[2:3], s[0:1], 0x80
	s_bfe_u32 s6, ttmp6, 0x40014
	s_lshr_b32 s5, ttmp7, 16
	s_add_co_i32 s6, s6, 1
	s_bfe_u32 s7, ttmp6, 0x40008
	s_mul_i32 s6, s5, s6
	s_getreg_b32 s40, hwreg(HW_REG_IB_STS2, 6, 4)
	s_add_co_i32 s7, s7, s6
	s_load_b64 s[38:39], s[0:1], 0xb8
	s_mov_b32 s37, 0
	s_mov_b64 s[30:31], 0
	s_wait_kmcnt 0x0
	s_cvt_f32_u32 s4, s23
	s_sub_co_i32 s8, 0, s23
	s_delay_alu instid0(SALU_CYCLE_2) | instskip(SKIP_1) | instid1(TRANS32_DEP_1)
	v_rcp_iflag_f32_e32 v1, s4
	v_nop
	v_readfirstlane_b32 s4, v1
	s_mul_f32 s4, s4, 0x4f7ffffe
	s_delay_alu instid0(SALU_CYCLE_3) | instskip(NEXT) | instid1(SALU_CYCLE_3)
	s_cvt_u32_f32 s4, s4
	s_mul_i32 s8, s8, s4
	s_delay_alu instid0(SALU_CYCLE_1) | instskip(NEXT) | instid1(SALU_CYCLE_1)
	s_mul_hi_u32 s8, s4, s8
	s_add_co_i32 s4, s4, s8
	s_cmp_eq_u32 s40, 0
	s_cselect_b32 s5, s5, s7
	s_delay_alu instid0(SALU_CYCLE_1) | instskip(NEXT) | instid1(SALU_CYCLE_1)
	s_mul_hi_u32 s4, s5, s4
	s_mul_i32 s6, s4, s23
	s_add_co_i32 s7, s4, 1
	s_sub_co_i32 s6, s5, s6
	s_delay_alu instid0(SALU_CYCLE_1)
	s_sub_co_i32 s8, s6, s23
	s_cmp_ge_u32 s6, s23
	s_cselect_b32 s4, s7, s4
	s_cselect_b32 s6, s8, s6
	s_add_co_i32 s7, s4, 1
	s_cmp_ge_u32 s6, s23
	s_cselect_b32 s28, s7, s4
	s_abs_i32 s4, s3
	s_mul_i32 s8, s28, s23
	s_cvt_f32_u32 s6, s4
	s_sub_co_i32 s7, 0, s4
	s_abs_i32 s9, s23
	s_sub_co_i32 s33, s5, s8
	v_rcp_iflag_f32_e32 v1, s6
	s_xor_b32 s3, s23, s3
	s_delay_alu instid0(SALU_CYCLE_1) | instskip(SKIP_1) | instid1(TRANS32_DEP_1)
	s_ashr_i32 s3, s3, 31
	v_nop
	v_readfirstlane_b32 s6, v1
	s_mul_f32 s6, s6, 0x4f7ffffe
	s_delay_alu instid0(SALU_CYCLE_3) | instskip(NEXT) | instid1(SALU_CYCLE_3)
	s_cvt_u32_f32 s6, s6
	s_mul_i32 s7, s7, s6
	s_delay_alu instid0(SALU_CYCLE_1) | instskip(NEXT) | instid1(SALU_CYCLE_1)
	s_mul_hi_u32 s7, s6, s7
	s_add_co_i32 s6, s6, s7
	s_delay_alu instid0(SALU_CYCLE_1) | instskip(NEXT) | instid1(SALU_CYCLE_1)
	s_mul_hi_u32 s5, s9, s6
	s_mul_i32 s6, s5, s4
	s_add_co_i32 s7, s5, 1
	s_sub_co_i32 s6, s9, s6
	s_delay_alu instid0(SALU_CYCLE_1)
	s_sub_co_i32 s8, s6, s4
	s_cmp_ge_u32 s6, s4
	s_cselect_b32 s5, s7, s5
	s_cselect_b32 s6, s8, s6
	s_add_co_i32 s7, s5, 1
	s_cmp_ge_u32 s6, s4
	s_cselect_b32 s4, s7, s5
	s_abs_i32 s36, s33
	s_xor_b32 s4, s4, s3
	s_delay_alu instid0(SALU_CYCLE_1) | instskip(NEXT) | instid1(SALU_CYCLE_1)
	s_sub_co_i32 s29, s4, s3
	s_abs_i32 s3, s29
	s_delay_alu instid0(SALU_CYCLE_1) | instskip(SKIP_1) | instid1(SALU_CYCLE_2)
	s_cvt_f32_u32 s4, s3
	s_sub_co_i32 s25, 0, s3
	v_rcp_iflag_f32_e32 v1, s4
	s_load_b512 s[4:19], s[0:1], 0x0
	v_nop
	s_delay_alu instid0(TRANS32_DEP_1) | instskip(SKIP_1) | instid1(SALU_CYCLE_3)
	v_readfirstlane_b32 s24, v1
	s_mul_f32 s24, s24, 0x4f7ffffe
	s_cvt_u32_f32 s24, s24
	s_delay_alu instid0(SALU_CYCLE_3) | instskip(NEXT) | instid1(SALU_CYCLE_1)
	s_mul_i32 s25, s25, s24
	s_mul_hi_u32 s25, s24, s25
	s_delay_alu instid0(SALU_CYCLE_1)
	s_add_co_i32 s34, s24, s25
	s_wait_kmcnt 0x0
	s_cmp_eq_u64 s[10:11], 0
	s_cbranch_scc1 .LBB46_2
; %bb.1:
	s_abs_i32 s26, s38
	s_abs_i32 s27, s28
	s_cvt_f32_u32 s24, s26
	s_sub_co_i32 s25, 0, s26
	s_delay_alu instid0(SALU_CYCLE_2) | instskip(SKIP_1) | instid1(TRANS32_DEP_1)
	v_rcp_iflag_f32_e32 v1, s24
	v_nop
	v_readfirstlane_b32 s24, v1
	s_mul_f32 s24, s24, 0x4f7ffffe
	s_delay_alu instid0(SALU_CYCLE_3) | instskip(NEXT) | instid1(SALU_CYCLE_3)
	s_cvt_u32_f32 s24, s24
	s_mul_i32 s25, s25, s24
	s_delay_alu instid0(SALU_CYCLE_1) | instskip(NEXT) | instid1(SALU_CYCLE_1)
	s_mul_hi_u32 s25, s24, s25
	s_add_co_i32 s24, s24, s25
	s_delay_alu instid0(SALU_CYCLE_1) | instskip(SKIP_2) | instid1(SALU_CYCLE_1)
	s_mul_hi_u32 s30, s27, s24
	s_load_b64 s[24:25], s[0:1], 0xc8
	s_mul_i32 s30, s30, s26
	s_sub_co_i32 s27, s27, s30
	s_ashr_i32 s30, s28, 31
	s_sub_co_i32 s31, s27, s26
	s_cmp_ge_u32 s27, s26
	s_cselect_b32 s27, s31, s27
	s_delay_alu instid0(SALU_CYCLE_1) | instskip(SKIP_2) | instid1(SALU_CYCLE_1)
	s_sub_co_i32 s31, s27, s26
	s_cmp_ge_u32 s27, s26
	s_cselect_b32 s26, s31, s27
	s_xor_b32 s26, s26, s30
	s_delay_alu instid0(SALU_CYCLE_1) | instskip(NEXT) | instid1(SALU_CYCLE_1)
	s_sub_co_i32 s26, s26, s30
	s_ashr_i32 s27, s26, 31
	s_wait_kmcnt 0x0
	s_mul_u64 s[24:25], s[24:25], s[26:27]
	s_delay_alu instid0(SALU_CYCLE_1)
	s_add_nc_u64 s[30:31], s[10:11], s[24:25]
.LBB46_2:
	s_clause 0x1
	s_load_b128 s[24:27], s[0:1], 0x40
	s_load_b32 s10, s[0:1], 0x50
	v_mov_b32_e32 v122, 1.0
	s_mov_b32 s35, s37
	s_wait_kmcnt 0x0
	s_cmp_le_f32 s25, 0
	s_cbranch_scc1 .LBB46_4
; %bb.3:
	v_sub_co_u32 v1, s10, s33, s10
	s_and_b32 s25, s10, exec_lo
	s_cselect_b32 s25, s26, s27
	s_add_co_i32 s26, s33, 1
	v_readfirstlane_b32 s11, v1
	s_lshl_b32 s11, s11, 1
	s_delay_alu instid0(SALU_CYCLE_1) | instskip(SKIP_4) | instid1(SALU_CYCLE_3)
	s_or_b32 s11, s11, 1
	s_and_b32 s10, s10, exec_lo
	s_cselect_b32 s10, s26, s11
	s_cmp_neq_f32 s25, 1.0
	s_cvt_f32_i32 s10, s10
	s_cselect_b32 s11, s10, 1.0
	s_delay_alu instid0(SALU_CYCLE_1) | instskip(SKIP_1) | instid1(SALU_CYCLE_1)
	s_cmp_neq_f32 s11, 0
	s_cselect_b32 s10, s25, 1.0
	v_cvt_f64_f32_e64 v[2:3], |s10|
	s_delay_alu instid0(VALU_DEP_1) | instskip(SKIP_1) | instid1(VALU_DEP_1)
	v_frexp_exp_i32_f64_e32 v1, v[2:3]
	v_frexp_mant_f32_e64 v2, |s10|
	v_readfirstlane_b32 s25, v2
	s_cmp_lt_f32 s25, 0x3f2aaaab
	s_cselect_b32 vcc_lo, -1, 0
	s_delay_alu instid0(SALU_CYCLE_1) | instskip(SKIP_1) | instid1(SALU_CYCLE_1)
	s_and_b32 s26, vcc_lo, exec_lo
	s_cselect_b32 s26, 2.0, 1.0
	s_mul_f32 s25, s25, s26
	s_delay_alu instid0(SALU_CYCLE_3) | instskip(SKIP_1) | instid1(SALU_CYCLE_2)
	s_add_f32 s26, s25, 1.0
	s_add_f32 s38, s25, -1.0
	v_s_rcp_f32 s27, s26
	s_add_f32 s43, s26, -1.0
	v_subrev_co_ci_u32_e64 v1, null, 0, v1, vcc_lo
	s_delay_alu instid0(SALU_CYCLE_2) | instskip(NEXT) | instid1(TRANS32_DEP_1)
	s_sub_f32 s25, s25, s43
	s_mul_f32 s41, s38, s27
	v_cvt_f32_i32_e32 v1, v1
	s_delay_alu instid0(SALU_CYCLE_2) | instskip(NEXT) | instid1(SALU_CYCLE_3)
	s_mul_f32 s42, s26, s41
	v_dual_mov_b32 v3, s38 :: v_dual_mov_b32 v4, s42
	s_xor_b32 s44, s42, 0x80000000
	s_delay_alu instid0(SALU_CYCLE_1) | instskip(NEXT) | instid1(SALU_CYCLE_3)
	s_fmac_f32 s44, s41, s26
	s_fmac_f32 s44, s41, s25
	s_delay_alu instid0(SALU_CYCLE_3) | instskip(NEXT) | instid1(SALU_CYCLE_3)
	s_add_f32 s25, s42, s44
	v_dual_mov_b32 v6, s44 :: v_dual_mov_b32 v7, s25
	s_sub_f32 s26, s38, s25
	s_delay_alu instid0(SALU_CYCLE_3) | instskip(NEXT) | instid1(VALU_DEP_1)
	v_dual_mov_b32 v2, s25 :: v_dual_mov_b32 v5, s26
	v_pk_add_f32 v[2:3], v[2:3], v[4:5] neg_lo:[0,1] neg_hi:[0,1]
	s_delay_alu instid0(VALU_DEP_1) | instskip(NEXT) | instid1(VALU_DEP_1)
	v_pk_add_f32 v[2:3], v[2:3], v[6:7] neg_lo:[0,1] neg_hi:[0,1]
	v_readfirstlane_b32 s25, v3
	s_delay_alu instid0(VALU_DEP_2) | instskip(SKIP_1) | instid1(SALU_CYCLE_3)
	v_readfirstlane_b32 s38, v2
	s_add_f32 s25, s38, s25
	s_add_f32 s25, s26, s25
	s_delay_alu instid0(SALU_CYCLE_3) | instskip(NEXT) | instid1(SALU_CYCLE_3)
	s_mul_f32 s25, s27, s25
	s_add_f32 s26, s41, s25
	s_delay_alu instid0(SALU_CYCLE_3) | instskip(SKIP_1) | instid1(SALU_CYCLE_2)
	s_sub_f32 s27, s26, s41
	s_mul_f32 s38, s26, s26
	s_sub_f32 s25, s25, s27
	s_delay_alu instid0(SALU_CYCLE_2) | instskip(NEXT) | instid1(SALU_CYCLE_1)
	s_xor_b32 s27, s38, 0x80000000
	s_fmac_f32 s27, s26, s26
	s_delay_alu instid0(SALU_CYCLE_1) | instskip(NEXT) | instid1(SALU_CYCLE_3)
	s_add_f32 s41, s25, s25
	s_fmac_f32 s27, s26, s41
	s_mov_b32 s41, 0x3e76c4e1
	s_delay_alu instid0(SALU_CYCLE_2) | instskip(NEXT) | instid1(SALU_CYCLE_3)
	s_add_f32 s42, s38, s27
	s_fmaak_f32 s41, s42, s41, 0x3e91f4c4
	s_sub_f32 s38, s42, s38
	s_delay_alu instid0(SALU_CYCLE_2) | instskip(NEXT) | instid1(SALU_CYCLE_2)
	s_fmaak_f32 s41, s42, s41, 0x3ecccdef
	s_sub_f32 s38, s27, s38
	s_delay_alu instid0(SALU_CYCLE_2) | instskip(NEXT) | instid1(SALU_CYCLE_3)
	s_mul_f32 s43, s42, s41
	s_xor_b32 s44, s43, 0x80000000
	s_delay_alu instid0(SALU_CYCLE_1) | instskip(NEXT) | instid1(SALU_CYCLE_3)
	s_fmac_f32 s44, s42, s41
	s_fmac_f32 s44, s38, s41
	s_delay_alu instid0(SALU_CYCLE_3) | instskip(NEXT) | instid1(SALU_CYCLE_3)
	s_add_f32 s41, s43, s44
	s_sub_f32 s27, s41, s43
	s_add_f32 s45, s41, 0x3f2aaaaa
	s_delay_alu instid0(SALU_CYCLE_2) | instskip(NEXT) | instid1(SALU_CYCLE_2)
	s_sub_f32 s27, s44, s27
	s_add_f32 s43, s45, 0xbf2aaaaa
	s_delay_alu instid0(SALU_CYCLE_2) | instskip(NEXT) | instid1(SALU_CYCLE_2)
	s_add_f32 s27, s27, 0x31739010
	s_sub_f32 s43, s41, s43
	s_delay_alu instid0(SALU_CYCLE_2) | instskip(NEXT) | instid1(SALU_CYCLE_2)
	v_mov_b64_e32 v[2:3], s[26:27]
	v_mov_b64_e32 v[4:5], s[42:43]
	s_delay_alu instid0(VALU_DEP_1) | instskip(SKIP_2) | instid1(VALU_DEP_3)
	v_pk_mul_f32 v[6:7], v[2:3], v[4:5]
	v_pk_add_f32 v[2:3], v[2:3], v[4:5]
	v_mov_b32_e32 v9, s45
	v_xor_b32_e32 v8, 0x80000000, v6
	s_delay_alu instid0(VALU_DEP_3) | instskip(NEXT) | instid1(VALU_DEP_2)
	v_mov_b32_e32 v7, v3
	v_fmac_f32_e64 v8, s42, s26
	s_delay_alu instid0(VALU_DEP_1) | instskip(NEXT) | instid1(VALU_DEP_1)
	v_fmac_f32_e64 v8, s42, s25
	v_fmac_f32_e64 v8, s38, s26
	s_delay_alu instid0(VALU_DEP_1) | instskip(NEXT) | instid1(VALU_DEP_1)
	v_pk_add_f32 v[4:5], v[6:7], v[8:9]
	v_dual_mov_b32 v2, v5 :: v_dual_sub_f32 v7, s45, v5
	v_mul_f32_e32 v12, 0x3f317218, v1
	s_delay_alu instid0(VALU_DEP_2) | instskip(NEXT) | instid1(VALU_DEP_3)
	v_pk_mul_f32 v[10:11], v[4:5], v[2:3]
	v_add_f32_e32 v3, v3, v7
	s_delay_alu instid0(VALU_DEP_3) | instskip(NEXT) | instid1(VALU_DEP_3)
	v_xor_b32_e32 v7, 0x80000000, v12
	v_xor_b32_e32 v2, 0x80000000, v10
	s_delay_alu instid0(VALU_DEP_2) | instskip(NEXT) | instid1(VALU_DEP_2)
	v_dual_sub_f32 v6, v4, v6 :: v_dual_fmac_f32 v7, 0x3f317218, v1
	v_fmac_f32_e32 v2, v4, v5
	s_delay_alu instid0(VALU_DEP_2) | instskip(NEXT) | instid1(VALU_DEP_2)
	v_sub_f32_e32 v6, v8, v6
	v_fmac_f32_e32 v2, v4, v3
	s_delay_alu instid0(VALU_DEP_1) | instskip(SKIP_3) | instid1(VALU_DEP_2)
	v_fmac_f32_e32 v2, v6, v5
	v_fmamk_f32 v4, v1, 0xb102e308, v7
	v_ldexp_f32 v5, s26, 1
	v_ldexp_f32 v1, s25, 1
	v_dual_add_f32 v13, v10, v2 :: v_dual_mov_b32 v11, v5
	s_delay_alu instid0(VALU_DEP_1) | instskip(SKIP_1) | instid1(VALU_DEP_2)
	v_pk_add_f32 v[6:7], v[12:13], v[4:5]
	v_dual_mov_b32 v8, v13 :: v_dual_mov_b32 v3, v13
	v_dual_mov_b32 v9, v7 :: v_dual_mov_b32 v5, v6
	v_mov_b32_e32 v14, v7
	s_delay_alu instid0(VALU_DEP_2) | instskip(NEXT) | instid1(VALU_DEP_1)
	v_pk_add_f32 v[8:9], v[8:9], v[10:11] neg_lo:[0,1] neg_hi:[0,1]
	v_pk_add_f32 v[2:3], v[2:3], v[8:9] neg_lo:[0,1] neg_hi:[0,1]
	s_delay_alu instid0(VALU_DEP_1) | instskip(NEXT) | instid1(VALU_DEP_1)
	v_add_f32_e32 v1, v1, v2
	v_add_f32_e32 v13, v1, v3
	s_delay_alu instid0(VALU_DEP_1) | instskip(SKIP_1) | instid1(VALU_DEP_2)
	v_pk_add_f32 v[2:3], v[6:7], v[12:13]
	v_pk_add_f32 v[8:9], v[6:7], v[12:13] neg_lo:[0,1] neg_hi:[0,1]
	v_mov_b32_e32 v9, v3
	s_delay_alu instid0(VALU_DEP_1) | instskip(SKIP_2) | instid1(VALU_DEP_3)
	v_pk_add_f32 v[10:11], v[4:5], v[8:9]
	v_pk_add_f32 v[4:5], v[4:5], v[8:9] neg_lo:[0,1] neg_hi:[0,1]
	v_dual_mov_b32 v16, v3 :: v_dual_mov_b32 v5, v6
	v_dual_mov_b32 v12, v11 :: v_dual_mov_b32 v17, v11
	s_delay_alu instid0(VALU_DEP_3) | instskip(NEXT) | instid1(VALU_DEP_2)
	v_readfirstlane_b32 s25, v4
	v_pk_add_f32 v[8:9], v[12:13], v[6:7] neg_lo:[0,1] neg_hi:[0,1]
	s_delay_alu instid0(VALU_DEP_2) | instskip(NEXT) | instid1(VALU_DEP_2)
	v_dual_mov_b32 v4, v13 :: v_dual_mov_b32 v10, s25
	v_dual_mov_b32 v15, v8 :: v_dual_mov_b32 v1, v8
	s_delay_alu instid0(VALU_DEP_1) | instskip(NEXT) | instid1(VALU_DEP_2)
	v_pk_add_f32 v[6:7], v[16:17], v[14:15] neg_lo:[0,1] neg_hi:[0,1]
	v_pk_add_f32 v[2:3], v[2:3], v[0:1] neg_lo:[0,1] neg_hi:[0,1]
	v_mov_b32_e32 v2, s25
	s_delay_alu instid0(VALU_DEP_3) | instskip(NEXT) | instid1(VALU_DEP_1)
	v_pk_add_f32 v[4:5], v[4:5], v[6:7] neg_lo:[0,1] neg_hi:[0,1]
	v_pk_add_f32 v[2:3], v[2:3], v[4:5]
	s_delay_alu instid0(VALU_DEP_1) | instskip(NEXT) | instid1(VALU_DEP_2)
	v_readfirstlane_b32 s26, v2
	v_mov_b32_e32 v6, v3
	s_delay_alu instid0(VALU_DEP_1) | instskip(NEXT) | instid1(VALU_DEP_3)
	v_pk_add_f32 v[6:7], v[2:3], v[6:7]
	v_mov_b32_e32 v2, s26
	s_delay_alu instid0(VALU_DEP_2) | instskip(SKIP_1) | instid1(VALU_DEP_2)
	v_pk_add_f32 v[8:9], v[12:13], v[6:7]
	v_mov_b32_e32 v5, v6
	v_readfirstlane_b32 s27, v8
	s_delay_alu instid0(VALU_DEP_1) | instskip(NEXT) | instid1(VALU_DEP_1)
	v_mov_b32_e32 v3, s27
	v_pk_add_f32 v[2:3], v[2:3], v[10:11] neg_lo:[0,1] neg_hi:[0,1]
	s_delay_alu instid0(VALU_DEP_1) | instskip(NEXT) | instid1(VALU_DEP_2)
	v_readfirstlane_b32 s38, v2
	v_pk_add_f32 v[2:3], v[4:5], v[2:3] neg_lo:[0,1] neg_hi:[0,1]
	s_sub_f32 s26, s26, s38
	s_delay_alu instid0(VALU_DEP_1) | instskip(NEXT) | instid1(SALU_CYCLE_2)
	v_readfirstlane_b32 s38, v2
	s_sub_f32 s25, s25, s26
	v_readfirstlane_b32 s26, v3
	s_delay_alu instid0(SALU_CYCLE_2) | instskip(NEXT) | instid1(SALU_CYCLE_3)
	s_add_f32 s25, s38, s25
	s_add_f32 s25, s25, s26
	s_delay_alu instid0(SALU_CYCLE_3) | instskip(NEXT) | instid1(SALU_CYCLE_3)
	s_add_f32 s26, s27, s25
	s_mul_f32 s38, s11, s26
	s_sub_f32 s27, s26, s27
	s_delay_alu instid0(SALU_CYCLE_2) | instskip(NEXT) | instid1(SALU_CYCLE_2)
	s_xor_b32 s41, s38, 0x80000000
	s_sub_f32 s25, s25, s27
	s_fmac_f32 s41, s11, s26
	s_delay_alu instid0(SALU_CYCLE_3) | instskip(SKIP_1) | instid1(SALU_CYCLE_2)
	s_fmac_f32 s41, s11, s25
	v_cmp_class_f32_e64 s25, s38, 0x204
	s_add_f32 s26, s38, s41
	s_and_b32 s25, s25, exec_lo
	s_delay_alu instid0(SALU_CYCLE_2) | instskip(SKIP_1) | instid1(SALU_CYCLE_1)
	s_sub_f32 s25, s26, s38
	s_cselect_b32 s26, s38, s26
	s_and_b32 s27, s26, 0x7fffffff
	s_delay_alu instid0(SALU_CYCLE_1) | instskip(SKIP_1) | instid1(SALU_CYCLE_2)
	s_sub_f32 s25, s41, s25
	s_cmp_neq_f32 s27, 0x7f800000
	s_cselect_b32 s25, s25, 0
	s_cmp_eq_f32 s26, 0x42b17218
	s_cselect_b32 s27, 0x37000000, 0
	s_delay_alu instid0(SALU_CYCLE_1) | instskip(SKIP_1) | instid1(SALU_CYCLE_2)
	s_sub_f32 s26, s26, s27
	s_add_f32 s25, s27, s25
	s_mul_f32 s38, s26, 0x3fb8aa3b
	s_delay_alu instid0(SALU_CYCLE_3) | instskip(SKIP_3) | instid1(SALU_CYCLE_1)
	s_xor_b32 s41, s38, 0x80000000
	s_rndne_f32 s42, s38
	s_fmamk_f32 s41, s26, 0x3fb8aa3b, s41
	s_cmp_nlt_f32 s26, 0xc2ce8ed0
	s_sub_f32 s38, s38, s42
	s_delay_alu instid0(SALU_CYCLE_1)
	s_fmamk_f32 s41, s26, 0x32a5705f, s41
	s_cselect_b32 vcc_lo, -1, 0
	s_cmp_ngt_f32 s26, 0x42b17218
	s_trunc_f32 s26, s11
	s_add_f32 s38, s38, s41
	s_cvt_i32_f32 s41, s42
	s_delay_alu instid0(SALU_CYCLE_2)
	v_s_exp_f32 s38, s38
	v_nop
	s_delay_alu instid0(TRANS32_DEP_1) | instid1(SALU_CYCLE_1)
	v_ldexp_f32 v1, s38, s41
	s_mul_f32 s38, s11, 0.5
	s_delay_alu instid0(VALU_DEP_1) | instskip(SKIP_3) | instid1(VALU_DEP_1)
	v_cndmask_b32_e32 v1, 0, v1, vcc_lo
	s_cselect_b32 vcc_lo, -1, 0
	s_cmp_eq_f32 s26, s11
	s_trunc_f32 s41, s38
	v_cndmask_b32_e32 v1, 0x7f800000, v1, vcc_lo
	s_cselect_b32 s42, -1, 0
	s_delay_alu instid0(SALU_CYCLE_1) | instskip(NEXT) | instid1(VALU_DEP_1)
	s_cmp_neq_f32 s41, s38
	v_fma_f32 v2, s25, v1, v1
	v_cmp_class_f32_e64 vcc_lo, v1, 0x204
	s_cselect_b32 s27, -1, 0
	s_delay_alu instid0(SALU_CYCLE_1)
	s_and_b32 s25, s42, s27
	v_cndmask_b32_e32 v1, v2, v1, vcc_lo
	s_and_b32 s27, s25, exec_lo
	s_cselect_b32 s27, s10, 1.0
	s_cmp_eq_f32 s26, s11
	v_cmp_class_f32_e64 s26, s10, 0x204
	v_bfi_b32 v1, 0x7fffffff, v1, s27
	s_cselect_b32 vcc_lo, -1, 0
	s_cmp_lt_f32 s10, 0
	s_delay_alu instid0(VALU_DEP_1) | instskip(SKIP_2) | instid1(VALU_DEP_1)
	v_cndmask_b32_e32 v2, 0x7fc00000, v1, vcc_lo
	s_cselect_b32 vcc_lo, -1, 0
	s_cmp_eq_f32 s10, 0
	v_cndmask_b32_e32 v1, v1, v2, vcc_lo
	s_cselect_b32 s27, -1, 0
	s_delay_alu instid0(SALU_CYCLE_1) | instskip(SKIP_2) | instid1(SALU_CYCLE_1)
	s_or_b32 vcc_lo, s27, s26
	s_cmp_lt_f32 s11, 0
	s_cselect_b32 s11, -1, 0
	s_xor_b32 s11, s11, s27
	s_delay_alu instid0(SALU_CYCLE_1)
	s_and_b32 s11, s11, exec_lo
	s_cselect_b32 s11, 0, 0x7f800000
	s_and_b32 s25, s25, exec_lo
	s_cselect_b32 s25, s10, 0
	s_cmp_o_f32 s10, s10
	v_mov_b32_e32 v2, s25
	s_delay_alu instid0(VALU_DEP_1) | instskip(NEXT) | instid1(VALU_DEP_1)
	v_bfi_b32 v2, 0x7fffffff, s11, v2
	v_cndmask_b32_e32 v1, v1, v2, vcc_lo
	s_cselect_b32 vcc_lo, -1, 0
	s_delay_alu instid0(VALU_DEP_1)
	v_cndmask_b32_e32 v122, 0x7fc00000, v1, vcc_lo
.LBB46_4:
	s_bfe_u32 s11, ttmp6, 0x4000c
	s_and_b32 s25, ttmp6, 15
	s_add_co_i32 s11, s11, 1
	s_ashr_i32 s10, s33, 31
	s_mul_i32 s26, ttmp9, s11
	v_bfe_u32 v121, v0, 10, 10
	s_ashr_i32 s11, s29, 31
	s_add_co_i32 s25, s25, s26
	s_cmp_eq_u32 s40, 0
	s_load_b96 s[44:46], s[0:1], 0x70
	s_cselect_b32 s25, ttmp9, s25
	v_and_b32_e32 v117, 0x3ff, v0
	s_lshl_b32 s38, s25, 4
	v_dual_mov_b32 v109, 0 :: v_dual_lshlrev_b32 v114, 1, v121
	s_delay_alu instid0(VALU_DEP_2) | instskip(NEXT) | instid1(VALU_DEP_2)
	v_dual_lshlrev_b32 v108, 4, v117 :: v_dual_lshlrev_b32 v115, 2, v117
	v_or_b32_e32 v112, 1, v114
	s_delay_alu instid0(VALU_DEP_1) | instskip(NEXT) | instid1(VALU_DEP_1)
	v_dual_add_nc_u32 v113, s38, v112 :: v_dual_add_nc_u32 v116, s38, v114
	v_mul_hi_u32 v2, v113, s20
	s_delay_alu instid0(VALU_DEP_2)
	v_mul_hi_u32 v1, v116, s20
	s_wait_kmcnt 0x0
	s_mul_i32 s26, s28, s46
	s_mul_i32 s42, s33, s45
	s_ashr_i32 s27, s26, 31
	s_ashr_i32 s43, s42, 31
	s_add_nc_u64 s[4:5], s[4:5], s[26:27]
	s_ashr_i32 s45, s44, 31
	s_add_nc_u64 s[4:5], s[4:5], s[42:43]
	s_lshr_b64 s[26:27], s[44:45], 2
	v_add_nc_u64_e32 v[4:5], s[4:5], v[108:109]
	v_dual_add_nc_u32 v0, v113, v2 :: v_dual_add_nc_u32 v1, v116, v1
	s_mul_u64 s[4:5], s[36:37], s[34:35]
	s_mov_b32 s35, 0
	s_cmp_eq_u64 s[14:15], 0
	s_delay_alu instid0(VALU_DEP_1) | instskip(NEXT) | instid1(VALU_DEP_1)
	v_dual_lshrrev_b32 v0, s21, v0 :: v_dual_lshrrev_b32 v1, s21, v1
	v_mul_lo_u32 v2, v0, s22
	s_delay_alu instid0(VALU_DEP_2) | instskip(SKIP_1) | instid1(VALU_DEP_2)
	v_mul_lo_u32 v1, v1, s22
	v_mov_b32_e32 v93, v109
	v_dual_sub_nc_u32 v108, v113, v2 :: v_dual_sub_nc_u32 v92, v116, v1
	s_delay_alu instid0(VALU_DEP_1) | instskip(SKIP_1) | instid1(VALU_DEP_3)
	v_mul_u64_e32 v[0:1], s[26:27], v[92:93]
	v_lshlrev_b32_e32 v93, 3, v117
	v_mul_u64_e32 v[6:7], s[26:27], v[108:109]
	s_delay_alu instid0(VALU_DEP_3) | instskip(NEXT) | instid1(VALU_DEP_2)
	v_lshl_add_u64 v[16:17], v[0:1], 2, v[4:5]
	v_lshl_add_u64 v[18:19], v[6:7], 2, v[4:5]
	s_clause 0x3
	global_load_b128 v[0:3], v[16:17], off
	global_load_b128 v[4:7], v[16:17], off offset:512
	global_load_b128 v[8:11], v[18:19], off
	global_load_b128 v[12:15], v[18:19], off offset:512
	s_wait_xcnt 0x2
	v_add_nc_u32_e32 v16, 0x4200, v93
	s_wait_loadcnt 0x2
	v_fma_mixlo_f16 v4, s24, v4, 0
	v_fma_mixlo_f16 v0, s24, v0, 0
	;; [unrolled: 1-line block ×5, first 2 shown]
	v_lshlrev_b32_e32 v123, 10, v121
	v_fma_mixlo_f16 v5, s24, v5, 0
	v_fma_mixlo_f16 v6, s24, v6, 0
	;; [unrolled: 1-line block ×3, first 2 shown]
	s_wait_loadcnt 0x1
	v_fma_mixlo_f16 v8, s24, v8, 0
	v_fma_mixlo_f16 v9, s24, v9, 0
	s_wait_loadcnt 0x0
	v_fma_mixlo_f16 v12, s24, v12, 0
	v_fma_mixlo_f16 v13, s24, v13, 0
	v_lshlrev_b32_e32 v1, 16, v1
	v_and_b32_e32 v0, 0xffff, v0
	v_lshlrev_b32_e32 v3, 16, v3
	v_add_nc_u32_e32 v17, v16, v123
	v_and_b32_e32 v2, 0xffff, v2
	v_dual_lshlrev_b32 v5, 16, v5 :: v_dual_lshlrev_b32 v7, 16, v7
	v_and_b32_e32 v4, 0xffff, v4
	v_fma_mixlo_f16 v10, s24, v10, 0
	v_fma_mixlo_f16 v11, s24, v11, 0
	;; [unrolled: 1-line block ×4, first 2 shown]
	v_and_b32_e32 v6, 0xffff, v6
	s_delay_alu instid0(VALU_DEP_4) | instskip(SKIP_1) | instid1(VALU_DEP_4)
	v_dual_lshlrev_b32 v9, 16, v9 :: v_dual_lshlrev_b32 v11, 16, v11
	v_and_b32_e32 v8, 0xffff, v8
	v_dual_lshlrev_b32 v13, 16, v13 :: v_dual_lshlrev_b32 v15, 16, v15
	v_and_b32_e32 v12, 0xffff, v12
	v_or_b32_e32 v0, v1, v0
	v_or3_b32 v1, v3, v2, 0
	v_or_b32_e32 v2, v5, v4
	v_and_b32_e32 v10, 0xffff, v10
	v_and_b32_e32 v14, 0xffff, v14
	v_or3_b32 v3, v7, v6, 0
	v_or_b32_e32 v4, v9, v8
	v_or_b32_e32 v6, v13, v12
	v_or3_b32 v0, 0, 0, v0
	v_or3_b32 v2, 0, 0, v2
	v_lshl_add_u32 v16, v112, 9, v16
	v_or3_b32 v5, v11, v10, 0
	v_or3_b32 v7, v15, v14, 0
	;; [unrolled: 1-line block ×4, first 2 shown]
	ds_store_2addr_b64 v17, v[0:1], v[2:3] offset1:32
	ds_store_2addr_b64 v16, v[4:5], v[6:7] offset1:32
	s_wait_dscnt 0x0
	s_barrier_signal -1
	s_barrier_wait -1
	s_cbranch_scc1 .LBB46_6
; %bb.5:
	s_load_b32 s2, s[0:1], 0xd0
	s_wait_kmcnt 0x0
	s_mul_i32 s2, s2, s28
	s_delay_alu instid0(SALU_CYCLE_1)
	s_add_co_i32 s2, s2, s25
	s_load_b32 s2, s[14:15], s2 offset:0x0 scale_offset
.LBB46_6:
	s_wait_xcnt 0x0
	s_clause 0x2
	s_load_b64 s[14:15], s[0:1], 0x8c
	s_load_b128 s[24:27], s[0:1], 0x98
	s_load_b64 s[42:43], s[0:1], 0xa8
	s_mul_i32 s4, s5, s3
	s_mov_b32 s34, s20
	s_sub_co_i32 s36, s36, s4
	s_ashr_i32 s37, s39, 1
	s_ashr_i32 s29, s28, 31
	s_xor_b32 s20, s10, s11
	s_add_co_i32 s39, s5, 1
	s_sub_co_i32 s41, s36, s3
	v_mul_u32_u24_e32 v124, 0x210, v117
	v_mbcnt_lo_u32_b32 v118, -1, 0
	s_wait_kmcnt 0x0
	s_ashr_i32 s4, s14, 2
	s_ashr_i32 s14, s26, 2
	s_cmp_ge_u32 s36, s3
	s_mul_u64 s[10:11], s[24:25], s[28:29]
	s_cselect_b32 s5, s39, s5
	s_add_nc_u64 s[6:7], s[6:7], s[10:11]
	s_cselect_b32 s10, s41, s36
	s_add_co_i32 s11, s5, 1
	s_cmp_ge_u32 s10, s3
	v_mul_lo_u32 v96, s4, v121
	s_cselect_b32 s3, s11, s5
	v_mul_lo_u32 v90, s14, v121
	s_bfe_u32 s10, ttmp6, 0x40010
	s_xor_b32 s3, s3, s20
	s_and_b32 s5, ttmp7, 0xffff
	s_add_co_i32 s10, s10, 1
	s_sub_co_i32 s3, s3, s20
	s_bfe_u32 s11, ttmp6, 0x40004
	s_mul_i32 s20, s5, s10
	s_mul_i32 s10, s3, s15
	;; [unrolled: 1-line block ×3, first 2 shown]
	s_add_co_i32 s3, s11, s20
	s_ashr_i32 s11, s10, 31
	s_ashr_i32 s27, s26, 31
	s_cmp_eq_u32 s40, 0
	s_mul_u64 s[42:43], s[42:43], s[28:29]
	s_cselect_b32 s20, s5, s3
	v_dual_lshlrev_b32 v88, 2, v115 :: v_dual_ashrrev_i32 v97, 31, v96
	v_ashrrev_i32_e32 v91, 31, v90
	s_sub_co_i32 s3, s2, 32
	s_lshl_b32 s24, s20, 5
	s_add_nc_u64 s[8:9], s[8:9], s[42:43]
	s_add_nc_u64 s[6:7], s[6:7], s[10:11]
	s_cmp_ge_i32 s24, s3
	s_add_nc_u64 s[10:11], s[8:9], s[26:27]
	s_cbranch_scc1 .LBB46_15
; %bb.7:
	v_dual_mov_b32 v89, 0 :: v_dual_bitop2_b32 v0, 1, v116 bitop3:0x54
	s_ashr_i32 s5, s4, 31
	s_lshl_b32 s8, s4, 3
	s_cmp_lg_u64 s[30:31], 0
	s_delay_alu instid0(VALU_DEP_1) | instskip(SKIP_3) | instid1(VALU_DEP_2)
	v_dual_mov_b32 v1, v89 :: v_dual_add_nc_u32 v126, 0x4200, v123
	s_cselect_b32 s26, -1, 0
	s_lshl_b32 s9, s14, 3
	v_dual_mov_b32 v23, 0xfeffffff :: v_dual_add_nc_u32 v98, s8, v96
	v_mul_u64_e32 v[2:3], s[34:35], v[0:1]
	v_mul_lo_u32 v127, v92, s37
	v_mad_u32_u24 v125, 0x210, v121, v88
	v_lshl_add_u32 v129, v121, 9, v88
	v_lshl_add_u32 v128, v121, 7, 0x6200
	v_mbcnt_lo_u32_b32 v130, -1, 0
	s_delay_alu instid0(VALU_DEP_4)
	v_dual_mov_b32 v16, v89 :: v_dual_add_nc_u32 v131, 0x1080, v125
	v_dual_mov_b32 v17, v89 :: v_dual_add_nc_u32 v132, 0x2100, v125
	;; [unrolled: 1-line block ×6, first 2 shown]
	v_dual_mov_b32 v22, 0xfeffffff :: v_dual_mov_b32 v109, v89
	v_mov_b32_e32 v108, v89
	s_ashr_i32 s15, s14, 31
	v_add_nc_u32_e32 v100, s9, v90
	v_dual_add_nc_u32 v102, s8, v98 :: v_dual_ashrrev_i32 v99, 31, v98
	v_dual_mov_b32 v21, v89 :: v_dual_mov_b32 v120, v89
	s_delay_alu instid0(VALU_DEP_3) | instskip(NEXT) | instid1(VALU_DEP_3)
	v_dual_add_nc_u32 v104, s9, v100 :: v_dual_ashrrev_i32 v101, 31, v100
	v_dual_add_nc_u32 v106, s8, v102 :: v_dual_ashrrev_i32 v103, 31, v102
	s_delay_alu instid0(VALU_DEP_2) | instskip(NEXT) | instid1(VALU_DEP_1)
	v_dual_ashrrev_i32 v105, 31, v104 :: v_dual_add_nc_u32 v1, v0, v3
	v_dual_ashrrev_i32 v107, 31, v106 :: v_dual_lshrrev_b32 v1, s21, v1
	s_delay_alu instid0(VALU_DEP_1) | instskip(SKIP_2) | instid1(VALU_DEP_1)
	v_mul_lo_u32 v1, v1, s22
	v_add_nc_u32_e32 v110, s9, v104
	s_add_nc_u64 s[8:9], s[0:1], 0xd0
	v_dual_sub_nc_u32 v0, v0, v1 :: v_dual_ashrrev_i32 v111, 31, v110
	s_delay_alu instid0(VALU_DEP_1)
	v_mul_lo_u32 v137, v0, s37
.LBB46_8:                               ; =>This Inner Loop Header: Depth=1
	s_ashr_i32 s25, s24, 31
	s_and_not1_b32 vcc_lo, exec_lo, s26
	s_mul_u64 s[40:41], s[24:25], s[4:5]
	v_mov_b32_e32 v33, 0
	s_lshl_b64 s[40:41], s[40:41], 2
	s_delay_alu instid0(SALU_CYCLE_1) | instskip(NEXT) | instid1(SALU_CYCLE_1)
	s_add_nc_u64 s[40:41], s[6:7], s[40:41]
	v_lshl_add_u64 v[0:1], v[96:97], 2, s[40:41]
	v_lshl_add_u64 v[2:3], v[98:99], 2, s[40:41]
	;; [unrolled: 1-line block ×4, first 2 shown]
	s_delay_alu instid0(VALU_DEP_4) | instskip(NEXT) | instid1(VALU_DEP_4)
	v_add_nc_u64_e32 v[24:25], v[0:1], v[88:89]
	v_add_nc_u64_e32 v[26:27], v[2:3], v[88:89]
	s_delay_alu instid0(VALU_DEP_4) | instskip(NEXT) | instid1(VALU_DEP_4)
	v_add_nc_u64_e32 v[28:29], v[4:5], v[88:89]
	v_add_nc_u64_e32 v[30:31], v[6:7], v[88:89]
	s_clause 0x3
	global_load_b128 v[0:3], v[24:25], off
	global_load_b128 v[4:7], v[26:27], off
	;; [unrolled: 1-line block ×4, first 2 shown]
	s_wait_loadcnt 0x3
	ds_store_b128 v125, v[0:3]
	s_wait_loadcnt 0x2
	ds_store_b128 v131, v[4:7]
	;; [unrolled: 2-line block ×4, first 2 shown]
	s_wait_dscnt 0x0
	s_barrier_signal -1
	s_barrier_wait -1
	ds_load_b128 v[2:5], v124
	ds_load_b128 v[6:9], v126
	ds_load_b128 v[10:13], v126 offset:512
	v_dual_mov_b32 v1, 0 :: v_dual_add_nc_u32 v0, s24, v117
	s_wait_dscnt 0x1
	;;#ASMSTART
	v_dot2_f32_f16 v1, v2, v6, v1
	;;#ASMEND
	;;#ASMSTART
	v_dot2_f32_f16 v1, v3, v7, v1
	;;#ASMEND
	;;#ASMSTART
	v_dot2_f32_f16 v1, v4, v8, v1
	;;#ASMEND
	;;#ASMSTART
	v_dot2_f32_f16 v1, v5, v9, v1
	;;#ASMEND
	s_wait_dscnt 0x0
	;;#ASMSTART
	v_dot2_f32_f16 v33, v2, v10, v33
	;;#ASMEND
	;;#ASMSTART
	v_dot2_f32_f16 v33, v3, v11, v33
	;;#ASMEND
	;;#ASMSTART
	v_dot2_f32_f16 v33, v4, v12, v33
	;;#ASMEND
	;;#ASMSTART
	v_dot2_f32_f16 v33, v5, v13, v33
	;;#ASMEND
	ds_load_b128 v[2:5], v124 offset:16
	ds_load_b128 v[6:9], v126 offset:16
	ds_load_b128 v[10:13], v126 offset:528
	s_wait_dscnt 0x1
	;;#ASMSTART
	v_dot2_f32_f16 v1, v2, v6, v1
	;;#ASMEND
	;;#ASMSTART
	v_dot2_f32_f16 v1, v3, v7, v1
	;;#ASMEND
	;;#ASMSTART
	v_dot2_f32_f16 v1, v4, v8, v1
	;;#ASMEND
	;;#ASMSTART
	v_dot2_f32_f16 v1, v5, v9, v1
	;;#ASMEND
	s_wait_dscnt 0x0
	;;#ASMSTART
	v_dot2_f32_f16 v33, v2, v10, v33
	;;#ASMEND
	;;#ASMSTART
	v_dot2_f32_f16 v33, v3, v11, v33
	;;#ASMEND
	;;#ASMSTART
	v_dot2_f32_f16 v33, v4, v12, v33
	;;#ASMEND
	;;#ASMSTART
	v_dot2_f32_f16 v33, v5, v13, v33
	;;#ASMEND
	ds_load_b128 v[2:5], v124 offset:32
	ds_load_b128 v[6:9], v126 offset:32
	ds_load_b128 v[10:13], v126 offset:544
	;; [unrolled: 29-line block ×31, first 2 shown]
	s_wait_dscnt 0x1
	;;#ASMSTART
	v_dot2_f32_f16 v1, v4, v8, v1
	;;#ASMEND
	v_mov_b32_e32 v2, 0
	;;#ASMSTART
	v_dot2_f32_f16 v1, v5, v9, v1
	;;#ASMEND
	;;#ASMSTART
	v_dot2_f32_f16 v1, v6, v10, v1
	;;#ASMEND
	;; [unrolled: 3-line block ×3, first 2 shown]
	s_wait_dscnt 0x0
	;;#ASMSTART
	v_dot2_f32_f16 v33, v4, v12, v33
	;;#ASMEND
	;;#ASMSTART
	v_dot2_f32_f16 v33, v5, v13, v33
	;;#ASMEND
	;; [unrolled: 3-line block ×4, first 2 shown]
	s_cbranch_vccnz .LBB46_10
; %bb.9:                                ;   in Loop: Header=BB46_8 Depth=1
	v_add_nc_u32_e32 v2, v0, v127
	global_load_u16 v2, v2, s[30:31] scale_offset
	s_wait_loadcnt 0x0
	v_cvt_f32_f16_e32 v2, v2
	s_delay_alu instid0(VALU_DEP_1)
	v_mul_f32_e32 v2, v122, v2
.LBB46_10:                              ;   in Loop: Header=BB46_8 Depth=1
	v_xor_b32_e32 v3, 16, v130
	s_delay_alu instid0(VALU_DEP_2) | instskip(NEXT) | instid1(VALU_DEP_2)
	v_dual_add_f32 v28, v1, v2 :: v_dual_max_num_f32 v1, v23, v23
	v_cmp_gt_i32_e32 vcc_lo, 32, v3
	s_delay_alu instid0(VALU_DEP_2) | instskip(NEXT) | instid1(VALU_DEP_1)
	v_dual_cndmask_b32 v2, v130, v3 :: v_dual_add_f32 v3, 0x40051340, v28
	v_dual_max_num_f32 v1, v1, v3 :: v_dual_lshlrev_b32 v24, 2, v2
	v_xor_b32_e32 v3, 8, v130
	ds_bpermute_b32 v2, v24, v1
	v_cmp_gt_i32_e32 vcc_lo, 32, v3
	s_wait_dscnt 0x0
	v_max_num_f32_e32 v2, v2, v2
	s_delay_alu instid0(VALU_DEP_1) | instskip(NEXT) | instid1(VALU_DEP_1)
	v_dual_cndmask_b32 v3, v130, v3, vcc_lo :: v_dual_max_num_f32 v1, v1, v2
	v_dual_lshlrev_b32 v26, 2, v3 :: v_dual_bitop2_b32 v3, 4, v130 bitop3:0x14
	ds_bpermute_b32 v2, v26, v1
	v_cmp_gt_i32_e32 vcc_lo, 32, v3
	s_wait_dscnt 0x0
	v_max_num_f32_e32 v2, v2, v2
	s_delay_alu instid0(VALU_DEP_1) | instskip(NEXT) | instid1(VALU_DEP_1)
	v_dual_cndmask_b32 v3, v130, v3, vcc_lo :: v_dual_max_num_f32 v1, v1, v2
	v_dual_lshlrev_b32 v27, 2, v3 :: v_dual_bitop2_b32 v3, 2, v130 bitop3:0x14
	;; [unrolled: 7-line block ×3, first 2 shown]
	ds_bpermute_b32 v2, v29, v1
	v_cmp_gt_i32_e32 vcc_lo, 32, v3
	s_wait_dscnt 0x0
	v_max_num_f32_e32 v2, v2, v2
	v_cndmask_b32_e32 v3, v130, v3, vcc_lo
	s_and_not1_b32 vcc_lo, exec_lo, s26
	s_delay_alu instid0(VALU_DEP_1)
	v_dual_max_num_f32 v30, v1, v2 :: v_dual_lshlrev_b32 v31, 2, v3
	ds_bpermute_b32 v32, v31, v30
	s_cbranch_vccnz .LBB46_12
; %bb.11:                               ;   in Loop: Header=BB46_8 Depth=1
	v_add_nc_u32_e32 v0, v0, v137
	global_load_u16 v0, v0, s[30:31] scale_offset
	s_wait_loadcnt 0x0
	v_cvt_f32_f16_e32 v0, v0
	s_delay_alu instid0(VALU_DEP_1)
	v_mul_f32_e32 v25, v122, v0
	s_branch .LBB46_13
.LBB46_12:                              ;   in Loop: Header=BB46_8 Depth=1
	v_mov_b32_e32 v25, 0
.LBB46_13:                              ;   in Loop: Header=BB46_8 Depth=1
	s_mul_u64 s[40:41], s[24:25], s[14:15]
	s_wait_dscnt 0x0
	s_lshl_b64 s[40:41], s[40:41], 2
	s_barrier_signal -1
	s_add_nc_u64 s[40:41], s[10:11], s[40:41]
	s_barrier_wait -1
	v_lshl_add_u64 v[0:1], v[90:91], 2, s[40:41]
	v_lshl_add_u64 v[2:3], v[100:101], 2, s[40:41]
	;; [unrolled: 1-line block ×4, first 2 shown]
	s_delay_alu instid0(VALU_DEP_4) | instskip(NEXT) | instid1(VALU_DEP_4)
	v_add_nc_u64_e32 v[34:35], v[0:1], v[88:89]
	v_add_nc_u64_e32 v[36:37], v[2:3], v[88:89]
	s_delay_alu instid0(VALU_DEP_4) | instskip(NEXT) | instid1(VALU_DEP_4)
	v_add_nc_u64_e32 v[38:39], v[4:5], v[88:89]
	v_add_nc_u64_e32 v[40:41], v[6:7], v[88:89]
	v_dual_add_f32 v25, v33, v25 :: v_dual_max_num_f32 v33, v22, v22
	v_add_nc_u32_e32 v140, 0x2800, v93
	s_clause 0x3
	global_load_b128 v[0:3], v[34:35], off
	global_load_b128 v[4:7], v[36:37], off
	;; [unrolled: 1-line block ×4, first 2 shown]
	v_add_nc_u32_e32 v139, 0x3000, v93
	s_wait_xcnt 0x3
	v_add_f32_e32 v34, 0x40051340, v25
	v_add_nc_u32_e32 v138, 0x3800, v93
	v_add_nc_u32_e32 v141, 0x2000, v93
	s_delay_alu instid0(VALU_DEP_3) | instskip(SKIP_3) | instid1(VALU_DEP_1)
	v_max_num_f32_e32 v33, v33, v34
	ds_bpermute_b32 v24, v24, v33
	s_wait_dscnt 0x0
	v_max_num_f32_e32 v24, v24, v24
	v_max_num_f32_e32 v24, v33, v24
	ds_bpermute_b32 v26, v26, v24
	s_wait_dscnt 0x0
	v_max_num_f32_e32 v26, v26, v26
	s_delay_alu instid0(VALU_DEP_1) | instskip(SKIP_3) | instid1(VALU_DEP_1)
	v_max_num_f32_e32 v24, v24, v26
	ds_bpermute_b32 v26, v27, v24
	s_wait_dscnt 0x0
	v_dual_max_num_f32 v26, v26, v26 :: v_dual_add_nc_u32 v27, 0x1000, v93
	v_max_num_f32_e32 v24, v24, v26
	ds_bpermute_b32 v26, v29, v24
	s_wait_dscnt 0x0
	v_max_num_f32_e32 v26, v26, v26
	s_delay_alu instid0(VALU_DEP_1) | instskip(SKIP_4) | instid1(VALU_DEP_2)
	v_max_num_f32_e32 v29, v24, v26
	v_dual_max_num_f32 v24, v32, v32 :: v_dual_max_num_f32 v26, v30, v30
	ds_bpermute_b32 v31, v31, v29
	v_max_num_f32_e32 v94, v26, v24
	v_add_nc_u32_e32 v26, 0x800, v93
	v_dual_sub_f32 v24, v23, v94 :: v_dual_add_nc_u32 v23, v128, v115
	v_sub_f32_e32 v28, v28, v94
	s_delay_alu instid0(VALU_DEP_2) | instskip(SKIP_2) | instid1(VALU_DEP_1)
	v_cmp_ngt_f32_e32 vcc_lo, 0xc2ce8ed0, v24
	s_wait_dscnt 0x0
	v_dual_max_num_f32 v31, v31, v31 :: v_dual_mul_f32 v30, 0x3fb8aa3b, v24
	v_max_num_f32_e32 v95, v29, v31
	s_delay_alu instid0(VALU_DEP_2) | instskip(SKIP_1) | instid1(VALU_DEP_3)
	v_fma_f32 v33, 0x3fb8aa3b, v24, -v30
	v_rndne_f32_e32 v34, v30
	v_dual_sub_f32 v35, v25, v95 :: v_dual_add_nc_u32 v142, 0x1800, v93
	s_delay_alu instid0(VALU_DEP_2) | instskip(SKIP_2) | instid1(VALU_DEP_3)
	v_dual_fmac_f32 v33, 0x32a5705f, v24 :: v_dual_sub_f32 v30, v30, v34
	v_mul_f32_e32 v32, 0x3fb8aa3b, v28
	v_cvt_i32_f32_e32 v34, v34
	v_add_f32_e32 v25, v30, v33
	s_delay_alu instid0(VALU_DEP_3)
	v_fma_f32 v29, 0x3fb8aa3b, v28, -v32
	v_sub_f32_e32 v22, v22, v95
	v_rndne_f32_e32 v31, v32
	v_mul_f32_e32 v33, 0x3fb8aa3b, v35
	v_exp_f32_e32 v25, v25
	v_fmac_f32_e32 v29, 0x32a5705f, v28
	v_mul_f32_e32 v30, 0x3fb8aa3b, v22
	s_wait_xcnt 0x1
	v_fma_f32 v38, 0x3fb8aa3b, v35, -v33
	v_rndne_f32_e32 v39, v33
	s_delay_alu instid0(VALU_DEP_3)
	v_fma_f32 v36, 0x3fb8aa3b, v22, -v30
	v_rndne_f32_e32 v37, v30
	v_sub_f32_e32 v32, v32, v31
	v_ldexp_f32 v25, v25, v34
	v_cvt_i32_f32_e32 v31, v31
	v_fmac_f32_e32 v38, 0x32a5705f, v35
	v_sub_f32_e32 v30, v30, v37
	v_dual_fmac_f32 v36, 0x32a5705f, v22 :: v_dual_add_f32 v29, v32, v29
	v_dual_sub_f32 v32, v33, v39 :: v_dual_cndmask_b32 v25, 0, v25
	v_cmp_nlt_f32_e32 vcc_lo, 0x42b17218, v24
	s_delay_alu instid0(VALU_DEP_3) | instskip(NEXT) | instid1(VALU_DEP_4)
	v_add_f32_e32 v30, v30, v36
	v_exp_f32_e32 v29, v29
	s_delay_alu instid0(VALU_DEP_3) | instskip(NEXT) | instid1(VALU_DEP_2)
	v_cndmask_b32_e32 v24, 0x7f800000, v25, vcc_lo
	v_exp_f32_e32 v30, v30
	v_cmp_ngt_f32_e32 vcc_lo, 0xc2ce8ed0, v28
	v_cvt_i32_f32_e32 v25, v37
	s_delay_alu instid0(TRANS32_DEP_2)
	v_ldexp_f32 v29, v29, v31
	v_add_f32_e32 v32, v32, v38
	v_cvt_i32_f32_e32 v31, v39
	v_cvt_f16_f32_e32 v33, v24
	v_ldexp_f32 v25, v30, v25
	v_cndmask_b32_e32 v29, 0, v29, vcc_lo
	v_exp_f32_e32 v32, v32
	v_cmp_ngt_f32_e32 vcc_lo, 0xc2ce8ed0, v22
	s_delay_alu instid0(TRANS32_DEP_1) | instskip(SKIP_3) | instid1(VALU_DEP_4)
	v_ldexp_f32 v30, v32, v31
	v_cndmask_b32_e32 v25, 0, v25, vcc_lo
	v_cmp_ngt_f32_e32 vcc_lo, 0xc2ce8ed0, v35
	v_and_b32_e32 v31, 0xffff, v33
	v_cndmask_b32_e32 v30, 0, v30, vcc_lo
	v_cmp_nlt_f32_e32 vcc_lo, 0x42b17218, v22
	s_delay_alu instid0(VALU_DEP_3) | instskip(SKIP_2) | instid1(VALU_DEP_3)
	v_mul_u32_u24_e32 v143, 0x10001, v31
	v_cndmask_b32_e32 v25, 0x7f800000, v25, vcc_lo
	v_cmp_nlt_f32_e32 vcc_lo, 0x42b17218, v28
	v_pk_mul_f16 v21, v21, v143
	v_pk_mul_f16 v20, v20, v143
	;; [unrolled: 1-line block ×3, first 2 shown]
	v_cvt_f16_f32_e32 v22, v25
	v_cndmask_b32_e32 v28, 0x7f800000, v29, vcc_lo
	v_cmp_nlt_f32_e32 vcc_lo, 0x42b17218, v35
	s_delay_alu instid0(VALU_DEP_3) | instskip(SKIP_1) | instid1(VALU_DEP_2)
	v_and_b32_e32 v22, 0xffff, v22
	v_cndmask_b32_e32 v29, 0x7f800000, v30, vcc_lo
	v_mul_u32_u24_e32 v149, 0x10001, v22
	s_delay_alu instid0(VALU_DEP_2)
	v_cvt_pk_f16_f32 v30, v28, v29
	v_pk_fma_f32 v[108:109], v[108:109], v[24:25], v[28:29]
	ds_store_b32 v23, v30
	s_wait_loadcnt 0x3
	ds_store_b128 v129, v[0:3]
	s_wait_loadcnt 0x2
	ds_store_b128 v134, v[4:7]
	;; [unrolled: 2-line block ×4, first 2 shown]
	s_wait_dscnt 0x0
	s_barrier_signal -1
	s_barrier_wait -1
	ds_load_b128 v[22:25], v128
	ds_load_2addr_b64 v[8:11], v93 offset1:32
	ds_load_b128 v[56:59], v128 offset:16
	ds_load_b128 v[64:67], v128 offset:32
	ds_load_b128 v[32:35], v128 offset:48
	ds_load_2addr_b64 v[144:147], v93 offset0:64 offset1:96
	ds_load_2addr_b64 v[84:87], v93 offset0:128 offset1:160
	ds_load_2addr_b64 v[80:83], v93 offset0:192 offset1:224
	ds_load_2addr_b64 v[44:47], v26 offset1:32
	ds_load_2addr_b64 v[48:51], v26 offset0:64 offset1:96
	ds_load_2addr_b64 v[76:79], v26 offset0:128 offset1:160
	ds_load_2addr_b64 v[72:75], v26 offset0:192 offset1:224
	ds_load_2addr_b64 v[68:71], v27 offset1:32
	;; [unrolled: 4-line block ×3, first 2 shown]
	v_pk_mul_f16 v12, v18, v149
	v_pk_mul_f16 v13, v17, v149
	;; [unrolled: 1-line block ×3, first 2 shown]
	ds_load_2addr_b64 v[28:31], v142 offset0:64 offset1:96
	ds_load_2addr_b64 v[16:19], v142 offset0:128 offset1:160
	;; [unrolled: 1-line block ×3, first 2 shown]
	s_wait_dscnt 0x13
	v_and_b32_e32 v4, 0xffff, v22
	v_dual_lshrrev_b32 v15, 16, v22 :: v_dual_lshrrev_b32 v26, 16, v23
	v_and_b32_e32 v23, 0xffff, v23
	s_delay_alu instid0(VALU_DEP_3) | instskip(NEXT) | instid1(VALU_DEP_3)
	v_mul_u32_u24_e32 v22, 0x10001, v4
	v_mul_u32_u24_e32 v15, 0x10001, v15
	s_delay_alu instid0(VALU_DEP_4) | instskip(NEXT) | instid1(VALU_DEP_4)
	v_mul_u32_u24_e32 v26, 0x10001, v26
	v_mul_u32_u24_e32 v23, 0x10001, v23
	ds_load_2addr_b64 v[4:7], v141 offset1:32
	s_wait_dscnt 0x13
	v_pk_mul_f16 v27, v8, v22
	v_pk_fma_f16 v21, v9, v22, v21
	v_pk_fma_f16 v20, v10, v22, v20
	;; [unrolled: 1-line block ×3, first 2 shown]
	v_pk_mul_f16 v142, v8, v15
	v_pk_fma_f16 v148, v9, v15, v12
	v_pk_fma_f16 v27, v120, v143, v27
	;; [unrolled: 1-line block ×4, first 2 shown]
	ds_load_2addr_b64 v[8:11], v141 offset0:64 offset1:96
	v_pk_fma_f16 v119, v119, v149, v142
	ds_load_2addr_b64 v[12:15], v141 offset0:128 offset1:160
	v_and_b32_e32 v120, 0xffff, v24
	s_wait_dscnt 0x11
	v_pk_fma_f16 v142, v145, v23, v21
	v_pk_fma_f16 v143, v145, v26, v148
	v_pk_fma_f16 v145, v146, v23, v20
	v_pk_fma_f16 v148, v147, v23, v22
	v_pk_fma_f16 v149, v144, v23, v27
	ds_load_2addr_b64 v[20:23], v141 offset0:192 offset1:224
	v_lshrrev_b32_e32 v141, 16, v24
	v_pk_fma_f16 v146, v146, v26, v150
	v_pk_fma_f16 v147, v147, v26, v151
	;; [unrolled: 1-line block ×3, first 2 shown]
	v_mul_u32_u24_e32 v120, 0x10001, v120
	v_lshrrev_b32_e32 v144, 16, v25
	v_and_b32_e32 v150, 0xffff, v25
	v_mul_u32_u24_e32 v141, 0x10001, v141
	ds_load_2addr_b64 v[24:27], v140 offset1:32
	s_wait_dscnt 0x12
	v_pk_fma_f16 v142, v85, v120, v142
	v_pk_fma_f16 v145, v86, v120, v145
	;; [unrolled: 1-line block ×4, first 2 shown]
	v_lshrrev_b32_e32 v149, 16, v56
	v_pk_fma_f16 v85, v85, v141, v143
	v_pk_fma_f16 v86, v86, v141, v146
	;; [unrolled: 1-line block ×4, first 2 shown]
	v_and_b32_e32 v56, 0xffff, v56
	v_mul_u32_u24_e32 v141, 0x10001, v150
	v_mul_u32_u24_e32 v143, 0x10001, v144
	v_lshrrev_b32_e32 v119, 16, v57
	v_and_b32_e32 v57, 0xffff, v57
	v_mul_u32_u24_e32 v56, 0x10001, v56
	v_mul_u32_u24_e32 v144, 0x10001, v149
	s_wait_dscnt 0x11
	v_pk_fma_f16 v142, v81, v141, v142
	v_pk_fma_f16 v146, v81, v143, v85
	;; [unrolled: 1-line block ×8, first 2 shown]
	v_mul_u32_u24_e32 v57, 0x10001, v57
	v_mul_u32_u24_e32 v119, 0x10001, v119
	s_wait_dscnt 0x10
	v_pk_fma_f16 v142, v45, v56, v142
	v_pk_fma_f16 v143, v45, v144, v146
	;; [unrolled: 1-line block ×8, first 2 shown]
	v_and_b32_e32 v141, 0xffff, v58
	s_wait_dscnt 0xf
	v_pk_fma_f16 v143, v49, v119, v143
	v_pk_fma_f16 v144, v50, v57, v145
	;; [unrolled: 1-line block ×6, first 2 shown]
	v_dual_lshrrev_b32 v120, 16, v58 :: v_dual_lshrrev_b32 v149, 16, v59
	v_pk_fma_f16 v142, v49, v57, v142
	v_pk_fma_f16 v148, v48, v57, v56
	v_mul_u32_u24_e32 v141, 0x10001, v141
	v_and_b32_e32 v150, 0xffff, v59
	v_mul_u32_u24_e32 v120, 0x10001, v120
	ds_load_b128 v[84:87], v128 offset:64
	ds_load_b128 v[80:83], v128 offset:80
	ds_load_2addr_b64 v[44:47], v140 offset0:64 offset1:96
	ds_load_2addr_b64 v[48:51], v140 offset0:128 offset1:160
	;; [unrolled: 1-line block ×3, first 2 shown]
	v_and_b32_e32 v140, 0xffff, v64
	s_wait_dscnt 0x13
	v_pk_fma_f16 v142, v77, v141, v142
	v_pk_fma_f16 v144, v78, v141, v144
	;; [unrolled: 1-line block ×4, first 2 shown]
	v_lshrrev_b32_e32 v148, 16, v64
	v_pk_fma_f16 v77, v77, v120, v143
	v_pk_fma_f16 v78, v78, v120, v145
	;; [unrolled: 1-line block ×4, first 2 shown]
	v_mul_u32_u24_e32 v64, 0x10001, v150
	v_mul_u32_u24_e32 v149, 0x10001, v149
	v_and_b32_e32 v119, 0xffff, v65
	v_lshrrev_b32_e32 v120, 16, v65
	v_mul_u32_u24_e32 v140, 0x10001, v140
	s_wait_dscnt 0x12
	v_pk_fma_f16 v142, v73, v64, v142
	v_pk_fma_f16 v144, v74, v64, v144
	;; [unrolled: 1-line block ×8, first 2 shown]
	v_mul_u32_u24_e32 v148, 0x10001, v148
	v_and_b32_e32 v143, 0xffff, v66
	v_dual_lshrrev_b32 v145, 16, v66 :: v_dual_lshrrev_b32 v147, 16, v67
	v_lshrrev_b32_e32 v149, 16, v32
	s_wait_dscnt 0x11
	v_pk_fma_f16 v142, v69, v140, v142
	v_pk_fma_f16 v144, v70, v140, v144
	;; [unrolled: 1-line block ×4, first 2 shown]
	v_and_b32_e32 v141, 0xffff, v32
	v_pk_fma_f16 v69, v69, v148, v77
	v_pk_fma_f16 v70, v70, v148, v78
	;; [unrolled: 1-line block ×4, first 2 shown]
	v_mul_u32_u24_e32 v32, 0x10001, v119
	v_mul_u32_u24_e32 v120, 0x10001, v120
	v_and_b32_e32 v150, 0xffff, v67
	v_mul_u32_u24_e32 v143, 0x10001, v143
	v_mul_u32_u24_e32 v145, 0x10001, v145
	s_wait_dscnt 0x10
	v_pk_fma_f16 v142, v61, v32, v142
	v_pk_fma_f16 v144, v62, v32, v144
	;; [unrolled: 1-line block ×8, first 2 shown]
	ds_load_2addr_b64 v[64:67], v139 offset1:32
	v_and_b32_e32 v76, 0xffff, v33
	v_lshrrev_b32_e32 v77, 16, v33
	v_and_b32_e32 v78, 0xffff, v34
	v_dual_lshrrev_b32 v79, 16, v34 :: v_dual_lshrrev_b32 v119, 16, v35
	v_and_b32_e32 v148, 0xffff, v35
	ds_load_2addr_b64 v[32:35], v139 offset0:64 offset1:96
	ds_load_2addr_b64 v[60:63], v139 offset0:128 offset1:160
	s_wait_dscnt 0x12
	v_pk_fma_f16 v142, v53, v143, v142
	v_pk_fma_f16 v144, v54, v143, v144
	;; [unrolled: 1-line block ×8, first 2 shown]
	v_mul_u32_u24_e32 v150, 0x10001, v150
	ds_load_2addr_b64 v[52:55], v139 offset0:192 offset1:224
	v_mul_u32_u24_e32 v139, 0x10001, v147
	v_mul_u32_u24_e32 v141, 0x10001, v141
	v_mul_u32_u24_e32 v147, 0x10001, v149
	s_wait_dscnt 0x12
	v_pk_fma_f16 v142, v41, v150, v142
	v_pk_fma_f16 v144, v42, v150, v144
	;; [unrolled: 1-line block ×8, first 2 shown]
	s_wait_dscnt 0x11
	v_pk_fma_f16 v142, v37, v141, v142
	v_pk_fma_f16 v144, v38, v141, v144
	;; [unrolled: 1-line block ×8, first 2 shown]
	v_mul_u32_u24_e32 v76, 0x10001, v76
	v_mul_u32_u24_e32 v77, 0x10001, v77
	;; [unrolled: 1-line block ×4, first 2 shown]
	s_wait_dscnt 0x8
	v_and_b32_e32 v120, 0xffff, v84
	v_pk_fma_f16 v142, v29, v76, v142
	v_pk_fma_f16 v69, v29, v77, v69
	;; [unrolled: 1-line block ×8, first 2 shown]
	v_lshrrev_b32_e32 v84, 16, v84
	v_pk_fma_f16 v140, v17, v78, v142
	v_pk_fma_f16 v142, v18, v78, v144
	;; [unrolled: 1-line block ×8, first 2 shown]
	v_mul_u32_u24_e32 v79, 0x10001, v148
	v_mul_u32_u24_e32 v119, 0x10001, v119
	v_and_b32_e32 v143, 0xffff, v85
	v_lshrrev_b32_e32 v85, 16, v85
	v_mul_u32_u24_e32 v84, 0x10001, v84
	v_pk_fma_f16 v140, v1, v79, v140
	v_pk_fma_f16 v1, v1, v119, v17
	;; [unrolled: 1-line block ×8, first 2 shown]
	v_mul_u32_u24_e32 v120, 0x10001, v120
	v_dual_lshrrev_b32 v145, 16, v86 :: v_dual_lshrrev_b32 v151, 16, v87
	v_mul_u32_u24_e32 v85, 0x10001, v85
	v_pk_fma_f16 v1, v5, v84, v1
	v_pk_fma_f16 v2, v6, v84, v2
	;; [unrolled: 1-line block ×3, first 2 shown]
	v_and_b32_e32 v86, 0xffff, v86
	v_mul_u32_u24_e32 v143, 0x10001, v143
	v_pk_fma_f16 v16, v5, v120, v140
	v_pk_fma_f16 v5, v6, v120, v17
	;; [unrolled: 1-line block ×5, first 2 shown]
	v_mul_u32_u24_e32 v145, 0x10001, v145
	v_pk_fma_f16 v1, v9, v85, v1
	v_pk_fma_f16 v2, v10, v85, v2
	;; [unrolled: 1-line block ×3, first 2 shown]
	v_and_b32_e32 v87, 0xffff, v87
	v_mul_u32_u24_e32 v86, 0x10001, v86
	v_pk_fma_f16 v4, v9, v143, v16
	v_pk_fma_f16 v5, v10, v143, v5
	;; [unrolled: 1-line block ×4, first 2 shown]
	ds_load_b128 v[72:75], v128 offset:96
	ds_load_b128 v[36:39], v128 offset:112
	s_wait_dscnt 0x9
	v_and_b32_e32 v139, 0xffff, v80
	v_lshrrev_b32_e32 v80, 16, v80
	v_mul_u32_u24_e32 v146, 0x10001, v151
	v_pk_fma_f16 v3, v11, v85, v3
	v_pk_fma_f16 v1, v13, v145, v1
	;; [unrolled: 1-line block ×4, first 2 shown]
	v_mul_u32_u24_e32 v87, 0x10001, v87
	v_pk_fma_f16 v4, v13, v86, v4
	v_pk_fma_f16 v5, v14, v86, v5
	;; [unrolled: 1-line block ×4, first 2 shown]
	v_and_b32_e32 v141, 0xffff, v81
	v_lshrrev_b32_e32 v81, 16, v81
	v_mul_u32_u24_e32 v80, 0x10001, v80
	v_pk_fma_f16 v3, v15, v145, v3
	v_pk_fma_f16 v1, v21, v146, v1
	;; [unrolled: 1-line block ×4, first 2 shown]
	v_mul_u32_u24_e32 v139, 0x10001, v139
	v_pk_fma_f16 v4, v21, v87, v4
	v_pk_fma_f16 v5, v22, v87, v5
	v_pk_fma_f16 v6, v23, v87, v6
	v_pk_fma_f16 v7, v20, v87, v7
	v_dual_lshrrev_b32 v147, 16, v82 :: v_dual_lshrrev_b32 v149, 16, v83
	v_mul_u32_u24_e32 v81, 0x10001, v81
	v_pk_fma_f16 v3, v23, v146, v3
	v_pk_fma_f16 v1, v25, v80, v1
	;; [unrolled: 1-line block ×4, first 2 shown]
	v_and_b32_e32 v82, 0xffff, v82
	v_mul_u32_u24_e32 v141, 0x10001, v141
	v_pk_fma_f16 v4, v25, v139, v4
	v_pk_fma_f16 v5, v26, v139, v5
	;; [unrolled: 1-line block ×4, first 2 shown]
	v_mul_u32_u24_e32 v147, 0x10001, v147
	v_pk_fma_f16 v3, v27, v80, v3
	s_wait_dscnt 0x8
	v_pk_fma_f16 v1, v45, v81, v1
	v_pk_fma_f16 v2, v46, v81, v2
	;; [unrolled: 1-line block ×3, first 2 shown]
	v_and_b32_e32 v83, 0xffff, v83
	v_mul_u32_u24_e32 v82, 0x10001, v82
	v_pk_fma_f16 v4, v45, v141, v4
	v_pk_fma_f16 v5, v46, v141, v5
	;; [unrolled: 1-line block ×4, first 2 shown]
	s_wait_dscnt 0x1
	v_dual_lshrrev_b32 v77, 16, v72 :: v_dual_lshrrev_b32 v78, 16, v73
	v_mul_u32_u24_e32 v148, 0x10001, v149
	v_pk_fma_f16 v3, v47, v81, v3
	v_pk_fma_f16 v1, v49, v147, v1
	;; [unrolled: 1-line block ×4, first 2 shown]
	v_and_b32_e32 v72, 0xffff, v72
	v_mul_u32_u24_e32 v83, 0x10001, v83
	v_pk_fma_f16 v4, v49, v82, v4
	v_pk_fma_f16 v5, v50, v82, v5
	;; [unrolled: 1-line block ×4, first 2 shown]
	v_mul_u32_u24_e32 v77, 0x10001, v77
	v_pk_fma_f16 v3, v51, v147, v3
	v_pk_fma_f16 v1, v57, v148, v1
	;; [unrolled: 1-line block ×4, first 2 shown]
	v_and_b32_e32 v68, 0xffff, v73
	v_mul_u32_u24_e32 v72, 0x10001, v72
	v_pk_fma_f16 v4, v57, v83, v4
	v_pk_fma_f16 v5, v58, v83, v5
	;; [unrolled: 1-line block ×4, first 2 shown]
	ds_load_2addr_b64 v[40:43], v138 offset1:32
	v_dual_lshrrev_b32 v69, 16, v74 :: v_dual_lshrrev_b32 v71, 16, v75
	v_mul_u32_u24_e32 v78, 0x10001, v78
	v_pk_fma_f16 v3, v59, v148, v3
	v_pk_fma_f16 v1, v65, v77, v1
	;; [unrolled: 1-line block ×4, first 2 shown]
	v_and_b32_e32 v70, 0xffff, v74
	v_mul_u32_u24_e32 v68, 0x10001, v68
	v_pk_fma_f16 v4, v65, v72, v4
	v_pk_fma_f16 v5, v66, v72, v5
	;; [unrolled: 1-line block ×4, first 2 shown]
	v_mul_u32_u24_e32 v69, 0x10001, v69
	v_pk_fma_f16 v3, v67, v77, v3
	v_pk_fma_f16 v1, v33, v78, v1
	;; [unrolled: 1-line block ×4, first 2 shown]
	ds_load_2addr_b64 v[28:31], v138 offset0:64 offset1:96
	v_and_b32_e32 v73, 0xffff, v75
	v_mul_u32_u24_e32 v70, 0x10001, v70
	v_pk_fma_f16 v4, v33, v68, v4
	v_pk_fma_f16 v5, v34, v68, v5
	;; [unrolled: 1-line block ×4, first 2 shown]
	s_wait_dscnt 0x2
	v_dual_lshrrev_b32 v74, 16, v36 :: v_dual_lshrrev_b32 v75, 16, v37
	v_mul_u32_u24_e32 v71, 0x10001, v71
	v_pk_fma_f16 v3, v35, v78, v3
	v_pk_fma_f16 v1, v61, v69, v1
	v_pk_fma_f16 v2, v62, v69, v2
	v_pk_fma_f16 v0, v60, v69, v0
	v_and_b32_e32 v36, 0xffff, v36
	v_mul_u32_u24_e32 v73, 0x10001, v73
	v_pk_fma_f16 v4, v61, v70, v4
	v_pk_fma_f16 v5, v62, v70, v5
	;; [unrolled: 1-line block ×4, first 2 shown]
	v_mul_u32_u24_e32 v74, 0x10001, v74
	v_pk_fma_f16 v3, v63, v69, v3
	v_pk_fma_f16 v1, v53, v71, v1
	;; [unrolled: 1-line block ×4, first 2 shown]
	v_and_b32_e32 v37, 0xffff, v37
	v_mul_u32_u24_e32 v36, 0x10001, v36
	v_pk_fma_f16 v4, v53, v73, v4
	v_pk_fma_f16 v5, v54, v73, v5
	;; [unrolled: 1-line block ×5, first 2 shown]
	s_wait_dscnt 0x1
	v_pk_fma_f16 v9, v41, v74, v1
	v_pk_fma_f16 v10, v40, v74, v0
	;; [unrolled: 1-line block ×3, first 2 shown]
	ds_load_2addr_b64 v[0:3], v138 offset0:128 offset1:160
	v_pk_fma_f16 v4, v41, v36, v4
	v_pk_fma_f16 v7, v40, v36, v7
	;; [unrolled: 1-line block ×3, first 2 shown]
	v_mul_u32_u24_e32 v12, 0x10001, v37
	v_pk_fma_f16 v6, v43, v36, v6
	v_mul_u32_u24_e32 v13, 0x10001, v75
	v_pk_fma_f16 v8, v43, v74, v8
	v_and_b32_e32 v17, 0xffff, v38
	s_wait_dscnt 0x1
	v_pk_fma_f16 v14, v28, v12, v7
	v_pk_fma_f16 v15, v29, v12, v4
	;; [unrolled: 1-line block ×4, first 2 shown]
	ds_load_2addr_b64 v[4:7], v138 offset0:192 offset1:224
	s_wait_dscnt 0x0
	s_barrier_signal -1
	s_barrier_wait -1
	s_load_b32 s25, s[8:9], 0x4
	v_lshrrev_b32_e32 v18, 16, v38
	v_pk_fma_f16 v10, v28, v13, v10
	v_pk_fma_f16 v9, v29, v13, v9
	;; [unrolled: 1-line block ×4, first 2 shown]
	v_mul_u32_u24_e32 v13, 0x10001, v17
	v_mul_u32_u24_e32 v17, 0x10001, v18
	v_lshrrev_b32_e32 v18, 16, v39
	s_delay_alu instid0(VALU_DEP_3) | instskip(NEXT) | instid1(VALU_DEP_3)
	v_pk_fma_f16 v14, v0, v13, v14
	v_pk_fma_f16 v0, v0, v17, v10
	v_and_b32_e32 v10, 0xffff, v39
	v_pk_fma_f16 v15, v1, v13, v15
	v_pk_fma_f16 v1, v1, v17, v9
	;; [unrolled: 1-line block ×3, first 2 shown]
	v_mul_u32_u24_e32 v16, 0x10001, v18
	v_mul_u32_u24_e32 v10, 0x10001, v10
	v_pk_fma_f16 v2, v2, v17, v11
	v_pk_fma_f16 v11, v3, v13, v12
	v_pk_fma_f16 v3, v3, v17, v8
	s_wait_kmcnt 0x0
	s_lshl_b32 s25, s25, 5
	v_pk_fma_f16 v120, v4, v10, v14
	v_pk_fma_f16 v119, v4, v16, v0
	;; [unrolled: 1-line block ×8, first 2 shown]
	s_add_co_i32 s24, s25, s24
	s_delay_alu instid0(SALU_CYCLE_1)
	s_cmp_lt_i32 s24, s3
	s_cbranch_scc0 .LBB46_16
; %bb.14:                               ;   in Loop: Header=BB46_8 Depth=1
	v_dual_mov_b32 v23, v94 :: v_dual_mov_b32 v22, v95
	s_branch .LBB46_8
.LBB46_15:
	v_mov_b64_e32 v[94:95], 0xfefffffffeffffff
	v_dual_mov_b32 v120, 0 :: v_dual_mov_b32 v108, 0
	v_dual_mov_b32 v21, 0 :: v_dual_mov_b32 v20, 0
	;; [unrolled: 1-line block ×4, first 2 shown]
	v_mov_b32_e32 v16, 0
.LBB46_16:
	s_cmp_gt_i32 s2, s24
	s_cbranch_scc1 .LBB46_19
; %bb.17:
	v_mbcnt_lo_u32_b32 v0, -1, 0
	v_mov_b32_e32 v128, 32
	s_delay_alu instid0(VALU_DEP_2)
	v_xor_b32_e32 v125, 16, v0
	v_xor_b32_e32 v126, 8, v0
	;; [unrolled: 1-line block ×5, first 2 shown]
	s_cbranch_execz .LBB46_20
; %bb.18:
	v_mov_b32_e32 v118, v0
	s_branch .LBB46_30
.LBB46_19:
                                        ; implicit-def: $vgpr0
                                        ; implicit-def: $vgpr128
                                        ; implicit-def: $vgpr125
                                        ; implicit-def: $vgpr126
                                        ; implicit-def: $vgpr127
                                        ; implicit-def: $vgpr129
                                        ; implicit-def: $vgpr130
.LBB46_20:
	s_ashr_i32 s25, s24, 31
	s_ashr_i32 s5, s4, 31
	s_mov_b32 s40, 0
	s_mul_u64 s[8:9], s[24:25], s[4:5]
	v_dual_mov_b32 v0, 0 :: v_dual_lshlrev_b32 v1, 20, v118
	s_lshl_b64 s[8:9], s[8:9], 2
	s_mov_b32 s41, s40
	s_add_nc_u64 s[8:9], s[6:7], s[8:9]
	s_mov_b32 s42, s40
	v_dual_mov_b32 v89, 0 :: v_dual_mov_b32 v10, s40
	v_lshl_add_u64 v[2:3], v[96:97], 2, s[8:9]
	v_add_nc_u64_e32 v[0:1], src_flat_scratch_base_lo, v[0:1]
	s_sub_co_i32 s7, s2, s24
	v_dual_mov_b32 v11, s41 :: v_dual_mov_b32 v12, s42
	s_delay_alu instid0(VALU_DEP_3)
	v_add_nc_u64_e32 v[2:3], v[2:3], v[88:89]
	v_cmp_gt_i32_e64 s2, s7, v121
	s_clause 0x1
	scratch_store_b32 off, v89, off
	scratch_store_b96 off, v[10:12], off offset:4
	s_lshl_b32 s5, s4, 3
	s_cmp_lg_u64 s[30:31], 0
	v_dual_add_nc_u32 v14, s5, v96 :: v_dual_cndmask_b32 v3, v1, v3, s2
	v_cndmask_b32_e64 v2, v0, v2, s2
	v_cmp_gt_i32_e64 s6, s7, v117
	flat_load_b128 v[4:7], v[2:3]
	s_wait_xcnt 0x0
	v_add_nc_u32_e32 v2, 8, v121
	v_mad_u32_u24 v3, 0x210, v121, v88
	s_clause 0x1
	scratch_store_b32 off, v89, off
	scratch_store_b96 off, v[10:12], off offset:4
	v_cmp_gt_i32_e64 s3, s7, v2
	v_ashrrev_i32_e32 v15, 31, v14
	s_delay_alu instid0(VALU_DEP_1) | instskip(NEXT) | instid1(VALU_DEP_1)
	v_lshl_add_u64 v[8:9], v[14:15], 2, s[8:9]
	v_add_nc_u64_e32 v[8:9], v[8:9], v[88:89]
	s_delay_alu instid0(VALU_DEP_1)
	v_dual_cndmask_b32 v9, v1, v9, s3 :: v_dual_cndmask_b32 v8, v0, v8, s3
	s_wait_loadcnt_dscnt 0x0
	ds_store_b128 v3, v[4:7]
	v_add_nc_u32_e32 v4, s5, v14
	flat_load_b128 v[6:9], v[8:9]
	s_clause 0x1
	scratch_store_b32 off, v89, off
	scratch_store_b96 off, v[10:12], off offset:4
	v_ashrrev_i32_e32 v5, 31, v4
	s_delay_alu instid0(VALU_DEP_1) | instskip(NEXT) | instid1(VALU_DEP_1)
	v_lshl_add_u64 v[14:15], v[4:5], 2, s[8:9]
	v_add_nc_u64_e32 v[14:15], v[14:15], v[88:89]
	v_add_nc_u32_e32 v5, 16, v121
	s_delay_alu instid0(VALU_DEP_1) | instskip(NEXT) | instid1(VALU_DEP_1)
	v_cmp_gt_i32_e64 s4, s7, v5
	v_dual_cndmask_b32 v15, v1, v15, s4 :: v_dual_cndmask_b32 v14, v0, v14, s4
	s_wait_loadcnt_dscnt 0x0
	ds_store_b128 v3, v[6:9] offset:4224
	flat_load_b128 v[6:9], v[14:15]
	s_wait_xcnt 0x0
	v_dual_add_nc_u32 v14, s5, v4 :: v_dual_add_nc_u32 v4, 24, v121
	s_clause 0x1
	scratch_store_b32 off, v89, off
	scratch_store_b96 off, v[10:12], off offset:4
	v_cmp_gt_i32_e64 s5, s7, v4
	v_ashrrev_i32_e32 v15, 31, v14
	s_delay_alu instid0(VALU_DEP_1) | instskip(SKIP_1) | instid1(VALU_DEP_1)
	v_lshl_add_u64 v[14:15], v[14:15], 2, s[8:9]
	s_cselect_b32 s9, -1, 0
	v_add_nc_u64_e32 v[14:15], v[14:15], v[88:89]
	s_delay_alu instid0(VALU_DEP_1)
	v_dual_cndmask_b32 v1, v1, v15, s5 :: v_dual_cndmask_b32 v0, v0, v14, s5
	s_wait_loadcnt_dscnt 0x0
	ds_store_b128 v3, v[6:9] offset:8448
	flat_load_b128 v[6:9], v[0:1]
	s_wait_xcnt 0x0
	v_dual_mov_b32 v0, v89 :: v_dual_mov_b32 v1, v89
	s_wait_loadcnt_dscnt 0x0
	ds_store_b128 v3, v[6:9] offset:12672
	s_wait_storecnt_dscnt 0x0
	s_barrier_signal -1
	s_barrier_wait -1
	ds_load_b128 v[6:9], v124
	ds_load_b128 v[10:13], v123 offset:16896
	ds_load_b128 v[22:25], v123 offset:17408
	v_mov_b32_e32 v3, v94
	s_wait_dscnt 0x1
	;;#ASMSTART
	v_dot2_f32_f16 v0, v6, v10, v0
	;;#ASMEND
	;;#ASMSTART
	v_dot2_f32_f16 v0, v7, v11, v0
	;;#ASMEND
	;;#ASMSTART
	v_dot2_f32_f16 v0, v8, v12, v0
	;;#ASMEND
	;;#ASMSTART
	v_dot2_f32_f16 v0, v9, v13, v0
	;;#ASMEND
	s_wait_dscnt 0x0
	;;#ASMSTART
	v_dot2_f32_f16 v1, v6, v22, v1
	;;#ASMEND
	;;#ASMSTART
	v_dot2_f32_f16 v1, v7, v23, v1
	;;#ASMEND
	;;#ASMSTART
	v_dot2_f32_f16 v1, v8, v24, v1
	;;#ASMEND
	;;#ASMSTART
	v_dot2_f32_f16 v1, v9, v25, v1
	;;#ASMEND
	ds_load_b128 v[6:9], v124 offset:16
	ds_load_b128 v[10:13], v123 offset:16912
	ds_load_b128 v[22:25], v123 offset:17424
	s_wait_dscnt 0x1
	;;#ASMSTART
	v_dot2_f32_f16 v0, v6, v10, v0
	;;#ASMEND
	;;#ASMSTART
	v_dot2_f32_f16 v0, v7, v11, v0
	;;#ASMEND
	;;#ASMSTART
	v_dot2_f32_f16 v0, v8, v12, v0
	;;#ASMEND
	;;#ASMSTART
	v_dot2_f32_f16 v0, v9, v13, v0
	;;#ASMEND
	s_wait_dscnt 0x0
	;;#ASMSTART
	v_dot2_f32_f16 v1, v6, v22, v1
	;;#ASMEND
	;;#ASMSTART
	v_dot2_f32_f16 v1, v7, v23, v1
	;;#ASMEND
	;;#ASMSTART
	v_dot2_f32_f16 v1, v8, v24, v1
	;;#ASMEND
	;;#ASMSTART
	v_dot2_f32_f16 v1, v9, v25, v1
	;;#ASMEND
	ds_load_b128 v[6:9], v124 offset:32
	ds_load_b128 v[10:13], v123 offset:16928
	ds_load_b128 v[22:25], v123 offset:17440
	;; [unrolled: 29-line block ×31, first 2 shown]
	s_wait_dscnt 0x1
	;;#ASMSTART
	v_dot2_f32_f16 v0, v8, v12, v0
	;;#ASMEND
	v_add_nc_u32_e32 v6, s24, v117
	v_cndmask_b32_e64 v7, 0, 1, s9
	;;#ASMSTART
	v_dot2_f32_f16 v0, v9, v13, v0
	;;#ASMEND
	;;#ASMSTART
	v_dot2_f32_f16 v0, v10, v14, v0
	;;#ASMEND
	;; [unrolled: 3-line block ×3, first 2 shown]
	s_wait_dscnt 0x0
	;;#ASMSTART
	v_dot2_f32_f16 v1, v8, v22, v1
	;;#ASMEND
	;;#ASMSTART
	v_dot2_f32_f16 v1, v9, v23, v1
	;;#ASMEND
	;; [unrolled: 3-line block ×4, first 2 shown]
	s_and_saveexec_b32 s8, s6
	s_cbranch_execz .LBB46_24
; %bb.21:
	s_and_not1_b32 vcc_lo, exec_lo, s9
	s_cbranch_vccnz .LBB46_23
; %bb.22:
	v_mad_u32 v3, v92, s37, v6
	global_load_u16 v3, v3, s[30:31] scale_offset
	s_wait_loadcnt 0x0
	v_cvt_f32_f16_e32 v3, v3
	s_delay_alu instid0(VALU_DEP_1)
	v_mul_f32_e32 v89, v122, v3
.LBB46_23:
	s_delay_alu instid0(VALU_DEP_1) | instskip(NEXT) | instid1(VALU_DEP_1)
	v_dual_add_f32 v0, v0, v89 :: v_dual_max_num_f32 v8, v94, v94
	v_add_f32_e32 v3, 0x40051340, v0
	s_delay_alu instid0(VALU_DEP_1)
	v_max_num_f32_e32 v3, v8, v3
.LBB46_24:
	s_or_b32 exec_lo, exec_lo, s8
	v_xor_b32_e32 v125, 16, v118
	v_xor_b32_e32 v126, 8, v118
	;; [unrolled: 1-line block ×3, first 2 shown]
	v_dual_mov_b32 v128, 32 :: v_dual_bitop2_b32 v130, 1, v118 bitop3:0x14
	s_delay_alu instid0(VALU_DEP_4) | instskip(SKIP_2) | instid1(VALU_DEP_2)
	v_cmp_gt_i32_e32 vcc_lo, 32, v125
	v_cndmask_b32_e32 v8, v118, v125, vcc_lo
	v_cmp_gt_i32_e32 vcc_lo, 32, v126
	v_dual_lshlrev_b32 v8, 2, v8 :: v_dual_cndmask_b32 v10, v118, v126, vcc_lo
	v_cmp_gt_i32_e32 vcc_lo, 32, v127
	ds_bpermute_b32 v9, v8, v3
	s_wait_dscnt 0x0
	v_dual_max_num_f32 v3, v3, v3 :: v_dual_max_num_f32 v11, v9, v9
	s_delay_alu instid0(VALU_DEP_1) | instskip(SKIP_3) | instid1(VALU_DEP_1)
	v_dual_lshlrev_b32 v9, 2, v10 :: v_dual_max_num_f32 v3, v3, v11
	ds_bpermute_b32 v10, v9, v3
	s_wait_dscnt 0x0
	v_max_num_f32_e32 v12, v10, v10
	v_dual_cndmask_b32 v11, v118, v127, vcc_lo :: v_dual_max_num_f32 v3, v3, v12
	s_delay_alu instid0(VALU_DEP_1) | instskip(SKIP_3) | instid1(VALU_DEP_1)
	v_lshlrev_b32_e32 v10, 2, v11
	ds_bpermute_b32 v11, v10, v3
	s_wait_dscnt 0x0
	v_dual_max_num_f32 v13, v11, v11 :: v_dual_bitop2_b32 v129, 2, v118 bitop3:0x14
	v_cmp_gt_i32_e32 vcc_lo, 32, v129
	s_delay_alu instid0(VALU_DEP_2) | instskip(SKIP_2) | instid1(VALU_DEP_2)
	v_max_num_f32_e32 v3, v3, v13
	v_cndmask_b32_e32 v12, v118, v129, vcc_lo
	v_cmp_gt_i32_e32 vcc_lo, 32, v130
	v_lshlrev_b32_e32 v11, 2, v12
	ds_bpermute_b32 v12, v11, v3
	s_wait_dscnt 0x0
	v_dual_cndmask_b32 v13, v118, v130 :: v_dual_max_num_f32 v14, v12, v12
	s_delay_alu instid0(VALU_DEP_1) | instskip(SKIP_3) | instid1(VALU_DEP_1)
	v_dual_max_num_f32 v3, v3, v14 :: v_dual_lshlrev_b32 v12, 2, v13
	ds_bpermute_b32 v13, v12, v3
	s_wait_dscnt 0x0
	v_max_num_f32_e32 v13, v13, v13
	v_max_num_f32_e32 v110, v3, v13
	v_mov_b32_e32 v3, v95
	s_and_saveexec_b32 s8, s6
	s_cbranch_execz .LBB46_29
; %bb.25:
	v_cmp_ne_u32_e32 vcc_lo, 1, v7
	s_cbranch_vccnz .LBB46_27
; %bb.26:
	v_dual_mov_b32 v15, 0 :: v_dual_bitop2_b32 v14, 1, v116 bitop3:0x54
	s_delay_alu instid0(VALU_DEP_1) | instskip(NEXT) | instid1(VALU_DEP_1)
	v_mul_u64_e32 v[22:23], s[34:35], v[14:15]
	v_add_nc_u32_e32 v3, v14, v23
	s_delay_alu instid0(VALU_DEP_1) | instskip(NEXT) | instid1(VALU_DEP_1)
	v_lshrrev_b32_e32 v3, s21, v3
	v_mul_lo_u32 v3, v3, s22
	s_delay_alu instid0(VALU_DEP_1) | instskip(NEXT) | instid1(VALU_DEP_1)
	v_sub_nc_u32_e32 v3, v14, v3
	v_mad_u32 v3, v3, s37, v6
	global_load_u16 v3, v3, s[30:31] scale_offset
	s_wait_loadcnt 0x0
	v_cvt_f32_f16_e32 v3, v3
	s_delay_alu instid0(VALU_DEP_1)
	v_mul_f32_e32 v3, v122, v3
	s_branch .LBB46_28
.LBB46_27:
	v_mov_b32_e32 v3, 0
.LBB46_28:
	v_max_num_f32_e32 v6, v95, v95
	s_delay_alu instid0(VALU_DEP_2) | instskip(NEXT) | instid1(VALU_DEP_1)
	v_add_f32_e32 v1, v1, v3
	v_add_f32_e32 v3, 0x40051340, v1
	s_delay_alu instid0(VALU_DEP_1)
	v_max_num_f32_e32 v3, v6, v3
.LBB46_29:
	s_or_b32 exec_lo, exec_lo, s8
	ds_bpermute_b32 v6, v8, v3
	v_max_num_f32_e32 v3, v3, v3
	s_ashr_i32 s15, s14, 31
	s_mov_b32 s8, 0
	s_mul_u64 s[24:25], s[24:25], s[14:15]
	s_mov_b32 s9, s8
	s_lshl_b64 s[24:25], s[24:25], 2
	s_wait_dscnt 0x0
	s_add_nc_u64 s[24:25], s[10:11], s[24:25]
	s_mov_b32 s10, s8
	s_barrier_signal -1
	s_barrier_wait -1
	v_lshl_add_u32 v2, v2, 9, v88
	v_lshl_add_u32 v5, v5, 9, v88
	v_add_nc_u32_e32 v123, 0x2800, v93
	v_add_nc_u32_e32 v124, 0x3000, v93
	v_dual_mov_b32 v89, 0 :: v_dual_lshlrev_b32 v122, 7, v121
	v_max_num_f32_e32 v6, v6, v6
	s_delay_alu instid0(VALU_DEP_1) | instskip(SKIP_3) | instid1(VALU_DEP_1)
	v_max_num_f32_e32 v3, v3, v6
	ds_bpermute_b32 v6, v9, v3
	s_wait_dscnt 0x0
	v_max_num_f32_e32 v6, v6, v6
	v_max_num_f32_e32 v3, v3, v6
	ds_bpermute_b32 v6, v10, v3
	s_wait_dscnt 0x0
	v_max_num_f32_e32 v6, v6, v6
	s_delay_alu instid0(VALU_DEP_1) | instskip(SKIP_4) | instid1(VALU_DEP_1)
	v_max_num_f32_e32 v3, v3, v6
	ds_bpermute_b32 v6, v11, v3
	v_mbcnt_lo_u32_b32 v11, -1, 0
	s_wait_dscnt 0x0
	v_max_num_f32_e32 v6, v6, v6
	v_max_num_f32_e32 v3, v3, v6
	ds_bpermute_b32 v6, v12, v3
	v_dual_mov_b32 v14, s10 :: v_dual_mov_b32 v13, s9
	v_mov_b32_e32 v12, s8
	s_clause 0x1
	scratch_store_b32 off, v89, off
	scratch_store_b96 off, v[12:14], off offset:4
	s_wait_dscnt 0x0
	v_max_num_f32_e32 v6, v6, v6
	s_delay_alu instid0(VALU_DEP_1) | instskip(SKIP_1) | instid1(VALU_DEP_1)
	v_max_num_f32_e32 v111, v3, v6
	v_sub_f32_e32 v3, v0, v110
	v_mul_f32_e32 v0, 0x3fb8aa3b, v3
	s_delay_alu instid0(VALU_DEP_3) | instskip(SKIP_1) | instid1(VALU_DEP_3)
	v_sub_f32_e32 v8, v1, v111
	v_cmp_ngt_f32_e32 vcc_lo, 0xc2ce8ed0, v3
	v_fma_f32 v6, 0x3fb8aa3b, v3, -v0
	s_delay_alu instid0(VALU_DEP_3) | instskip(SKIP_2) | instid1(VALU_DEP_3)
	v_mul_f32_e32 v1, 0x3fb8aa3b, v8
	v_rndne_f32_e32 v7, v0
	v_cmp_nlt_f32_e64 s6, 0x42b17218, v8
	v_fma_f32 v9, 0x3fb8aa3b, v8, -v1
	v_rndne_f32_e32 v10, v1
	v_fmac_f32_e32 v6, 0x32a5705f, v3
	v_sub_f32_e32 v0, v0, v7
	v_cvt_i32_f32_e32 v7, v7
	v_fmac_f32_e32 v9, 0x32a5705f, v8
	v_sub_f32_e32 v1, v1, v10
	v_cvt_i32_f32_e32 v10, v10
	v_dual_add_f32 v6, v0, v6 :: v_dual_mov_b32 v0, 0
	s_delay_alu instid0(VALU_DEP_3) | instskip(NEXT) | instid1(VALU_DEP_2)
	v_add_f32_e32 v1, v1, v9
	v_exp_f32_e32 v6, v6
	s_delay_alu instid0(VALU_DEP_1) | instskip(NEXT) | instid1(TRANS32_DEP_2)
	v_exp_f32_e32 v9, v1
	v_ldexp_f32 v6, v6, v7
	v_lshlrev_b32_e32 v1, 20, v11
	s_delay_alu instid0(TRANS32_DEP_1) | instskip(NEXT) | instid1(VALU_DEP_3)
	v_ldexp_f32 v9, v9, v10
	v_cndmask_b32_e32 v10, 0, v6, vcc_lo
	v_cmp_ngt_f32_e32 vcc_lo, 0xc2ce8ed0, v8
	v_lshl_add_u64 v[6:7], v[90:91], 2, s[24:25]
	v_add_nc_u64_e32 v[22:23], src_flat_scratch_base_lo, v[0:1]
	v_cndmask_b32_e32 v9, 0, v9, vcc_lo
	v_cmp_nlt_f32_e32 vcc_lo, 0x42b17218, v3
	s_delay_alu instid0(VALU_DEP_4) | instskip(SKIP_2) | instid1(VALU_DEP_3)
	v_add_nc_u64_e32 v[0:1], v[6:7], v[88:89]
	v_cndmask_b32_e32 v3, 0x7f800000, v10, vcc_lo
	v_cmp_gt_u32_e32 vcc_lo, s7, v117
	v_dual_cndmask_b32 v1, v23, v1, s2 :: v_dual_cndmask_b32 v0, v22, v0, s2
	s_lshl_b32 s2, s14, 3
	s_delay_alu instid0(VALU_DEP_3) | instskip(SKIP_2) | instid1(VALU_DEP_2)
	v_cndmask_b32_e32 v7, 0, v3, vcc_lo
	v_cndmask_b32_e64 v8, 0x7f800000, v9, s6
	v_add3_u32 v3, 0x6200, v122, v115
	v_cndmask_b32_e32 v6, 0, v8, vcc_lo
	s_delay_alu instid0(VALU_DEP_1)
	v_cvt_pk_f16_f32 v8, v7, v6
	ds_store_b32 v3, v8
	flat_load_b128 v[8:11], v[0:1]
	s_wait_xcnt 0x0
	v_add_nc_u32_e32 v0, s2, v90
	s_clause 0x1
	scratch_store_b32 off, v89, off
	scratch_store_b96 off, v[12:14], off offset:4
	v_ashrrev_i32_e32 v1, 31, v0
	s_delay_alu instid0(VALU_DEP_1) | instskip(SKIP_2) | instid1(VALU_DEP_3)
	v_lshl_add_u64 v[24:25], v[0:1], 2, s[24:25]
	v_lshl_add_u32 v1, v121, 9, v88
	v_add_nc_u32_e32 v121, 0x3800, v93
	v_add_nc_u64_e32 v[24:25], v[24:25], v[88:89]
	s_delay_alu instid0(VALU_DEP_1)
	v_dual_cndmask_b32 v25, v23, v25, s3 :: v_dual_cndmask_b32 v24, v22, v24, s3
	s_wait_loadcnt_dscnt 0x0
	ds_store_b128 v1, v[8:11]
	flat_load_b128 v[8:11], v[24:25]
	s_wait_xcnt 0x0
	v_add_nc_u32_e32 v24, s2, v0
	s_clause 0x1
	scratch_store_b32 off, v89, off
	scratch_store_b96 off, v[12:14], off offset:4
	v_ashrrev_i32_e32 v25, 31, v24
	s_wait_loadcnt_dscnt 0x0
	ds_store_b128 v2, v[8:11]
	v_add_nc_u32_e32 v8, s2, v24
	v_lshl_add_u64 v[0:1], v[24:25], 2, s[24:25]
	v_add_nc_u32_e32 v24, 0x1800, v93
	v_add_nc_u32_e32 v25, 0x2000, v93
	s_delay_alu instid0(VALU_DEP_4) | instskip(NEXT) | instid1(VALU_DEP_4)
	v_ashrrev_i32_e32 v9, 31, v8
	v_add_nc_u64_e32 v[0:1], v[0:1], v[88:89]
	s_delay_alu instid0(VALU_DEP_2) | instskip(NEXT) | instid1(VALU_DEP_2)
	v_lshl_add_u64 v[8:9], v[8:9], 2, s[24:25]
	v_cndmask_b32_e64 v1, v23, v1, s4
	s_delay_alu instid0(VALU_DEP_2) | instskip(NEXT) | instid1(VALU_DEP_1)
	v_add_nc_u64_e32 v[8:9], v[8:9], v[88:89]
	v_dual_cndmask_b32 v0, v22, v0, s4 :: v_dual_cndmask_b32 v9, v23, v9, s5
	flat_load_b128 v[0:3], v[0:1]
	v_cndmask_b32_e64 v8, v22, v8, s5
	s_clause 0x1
	scratch_store_b32 off, v89, off
	scratch_store_b96 off, v[12:14], off offset:4
	s_wait_loadcnt_dscnt 0x0
	ds_store_b128 v5, v[0:3]
	flat_load_b128 v[0:3], v[8:9]
	s_wait_xcnt 0x0
	v_dual_sub_f32 v8, v95, v111 :: v_dual_sub_f32 v5, v94, v110
	s_delay_alu instid0(VALU_DEP_1) | instskip(NEXT) | instid1(VALU_DEP_2)
	v_mul_f32_e32 v10, 0x3fb8aa3b, v8
	v_cmp_ngt_f32_e32 vcc_lo, 0xc2ce8ed0, v5
	s_delay_alu instid0(VALU_DEP_2) | instskip(SKIP_2) | instid1(VALU_DEP_3)
	v_rndne_f32_e32 v14, v10
	v_mul_f32_e32 v9, 0x3fb8aa3b, v5
	v_fma_f32 v13, 0x3fb8aa3b, v8, -v10
	v_sub_f32_e32 v10, v10, v14
	s_delay_alu instid0(VALU_DEP_3) | instskip(SKIP_1) | instid1(VALU_DEP_4)
	v_fma_f32 v11, 0x3fb8aa3b, v5, -v9
	v_rndne_f32_e32 v12, v9
	v_fmac_f32_e32 v13, 0x32a5705f, v8
	s_delay_alu instid0(VALU_DEP_3) | instskip(NEXT) | instid1(VALU_DEP_2)
	v_fmac_f32_e32 v11, 0x32a5705f, v5
	v_dual_sub_f32 v9, v9, v12 :: v_dual_add_f32 v10, v10, v13
	s_delay_alu instid0(VALU_DEP_1) | instskip(SKIP_1) | instid1(VALU_DEP_3)
	v_add_f32_e32 v9, v9, v11
	v_cvt_i32_f32_e32 v11, v12
	v_exp_f32_e32 v10, v10
	v_cvt_i32_f32_e32 v12, v14
	s_delay_alu instid0(VALU_DEP_3)
	v_exp_f32_e32 v9, v9
	s_delay_alu instid0(TRANS32_DEP_2) | instid1(VALU_DEP_1)
	v_ldexp_f32 v10, v10, v12
	s_delay_alu instid0(TRANS32_DEP_1) | instskip(SKIP_1) | instid1(VALU_DEP_2)
	v_ldexp_f32 v9, v9, v11
	v_add_nc_u32_e32 v11, 0x1000, v93
	v_cndmask_b32_e32 v9, 0, v9, vcc_lo
	v_cmp_ngt_f32_e32 vcc_lo, 0xc2ce8ed0, v8
	v_cndmask_b32_e32 v10, 0, v10, vcc_lo
	v_cmp_nlt_f32_e32 vcc_lo, 0x42b17218, v5
	v_lshl_add_u32 v5, v4, 9, v88
	v_add_nc_u32_e32 v4, 0x800, v93
	v_cndmask_b32_e32 v9, 0x7f800000, v9, vcc_lo
	v_cmp_nlt_f32_e32 vcc_lo, 0x42b17218, v8
	s_delay_alu instid0(VALU_DEP_2) | instskip(SKIP_2) | instid1(VALU_DEP_2)
	v_fma_f32 v108, v108, v9, v7
	v_cndmask_b32_e32 v8, 0x7f800000, v10, vcc_lo
	v_cvt_f16_f32_e32 v10, v9
	v_cvt_f16_f32_e32 v12, v8
	s_delay_alu instid0(VALU_DEP_2) | instskip(SKIP_1) | instid1(VALU_DEP_3)
	v_and_b32_e32 v10, 0xffff, v10
	v_fma_f32 v109, v109, v8, v6
	v_and_b32_e32 v12, 0xffff, v12
	s_delay_alu instid0(VALU_DEP_3) | instskip(NEXT) | instid1(VALU_DEP_2)
	v_mul_u32_u24_e32 v140, 0x10001, v10
	v_mul_u32_u24_e32 v141, 0x10001, v12
	s_delay_alu instid0(VALU_DEP_2) | instskip(SKIP_2) | instid1(VALU_DEP_4)
	v_pk_mul_f16 v142, v21, v140
	v_pk_mul_f16 v143, v20, v140
	;; [unrolled: 1-line block ×6, first 2 shown]
	s_wait_loadcnt_dscnt 0x0
	ds_store_b128 v5, v[0:3]
	s_wait_storecnt_dscnt 0x0
	s_barrier_signal -1
	s_barrier_wait -1
	ds_load_2addr_b64 v[72:75], v93 offset1:32
	ds_load_b128 v[132:135], v122 offset:25088
	ds_load_b128 v[136:139], v122 offset:25104
	;; [unrolled: 1-line block ×4, first 2 shown]
	ds_load_2addr_b64 v[84:87], v93 offset0:64 offset1:96
	ds_load_2addr_b64 v[80:83], v93 offset0:128 offset1:160
	ds_load_2addr_b64 v[92:95], v93 offset0:192 offset1:224
	ds_load_2addr_b64 v[88:91], v4 offset1:32
	ds_load_2addr_b64 v[76:79], v4 offset0:64 offset1:96
	ds_load_2addr_b64 v[64:67], v4 offset0:128 offset1:160
	ds_load_2addr_b64 v[60:63], v4 offset0:192 offset1:224
	ds_load_2addr_b64 v[52:55], v11 offset1:32
	;; [unrolled: 4-line block ×5, first 2 shown]
	ds_load_b128 v[104:107], v122 offset:25152
	ds_load_b128 v[96:99], v122 offset:25168
	ds_load_2addr_b64 v[48:51], v123 offset0:64 offset1:96
	ds_load_2addr_b64 v[56:59], v123 offset0:128 offset1:160
	s_wait_dscnt 0x1b
	v_and_b32_e32 v148, 0xffff, v132
	v_dual_lshrrev_b32 v149, 16, v132 :: v_dual_lshrrev_b32 v150, 16, v133
	v_and_b32_e32 v151, 0xffff, v133
	s_wait_dscnt 0x19
	v_dual_lshrrev_b32 v157, 16, v139 :: v_dual_lshrrev_b32 v132, 16, v100
	v_and_b32_e32 v158, 0xffff, v100
	v_and_b32_e32 v131, 0xffff, v101
	v_dual_lshrrev_b32 v133, 16, v101 :: v_dual_lshrrev_b32 v160, 16, v102
	v_mul_u32_u24_e32 v100, 0x10001, v148
	v_mul_u32_u24_e32 v101, 0x10001, v149
	v_and_b32_e32 v159, 0xffff, v102
	s_wait_dscnt 0x18
	v_dual_lshrrev_b32 v162, 16, v103 :: v_dual_lshrrev_b32 v163, 16, v68
	v_and_b32_e32 v164, 0xffff, v68
	v_dual_lshrrev_b32 v165, 16, v69 :: v_dual_lshrrev_b32 v167, 16, v70
	v_and_b32_e32 v166, 0xffff, v69
	v_and_b32_e32 v168, 0xffff, v70
	v_lshrrev_b32_e32 v148, 16, v71
	v_and_b32_e32 v169, 0xffff, v71
	ds_load_2addr_b64 v[68:71], v123 offset0:192 offset1:224
	v_pk_fma_f16 v123, v73, v100, v142
	v_pk_fma_f16 v142, v74, v100, v143
	;; [unrolled: 1-line block ×3, first 2 shown]
	v_pk_mul_f16 v100, v72, v100
	v_pk_mul_f16 v102, v72, v101
	v_lshrrev_b32_e32 v152, 16, v134
	v_and_b32_e32 v134, 0xffff, v134
	v_pk_fma_f16 v144, v73, v101, v145
	v_pk_fma_f16 v145, v74, v101, v146
	;; [unrolled: 1-line block ×3, first 2 shown]
	v_mul_u32_u24_e32 v147, 0x10001, v151
	v_pk_fma_f16 v120, v120, v140, v100
	v_pk_fma_f16 v119, v119, v141, v102
	v_mul_u32_u24_e32 v141, 0x10001, v150
	v_lshrrev_b32_e32 v153, 16, v135
	v_and_b32_e32 v135, 0xffff, v135
	s_wait_dscnt 0x18
	v_pk_fma_f16 v123, v85, v147, v123
	v_pk_fma_f16 v142, v86, v147, v142
	;; [unrolled: 1-line block ×8, first 2 shown]
	v_mul_u32_u24_e32 v84, 0x10001, v134
	v_mul_u32_u24_e32 v149, 0x10001, v152
	v_and_b32_e32 v154, 0xffff, v136
	v_lshrrev_b32_e32 v136, 16, v136
	v_mul_u32_u24_e32 v135, 0x10001, v135
	s_wait_dscnt 0x17
	v_pk_fma_f16 v123, v81, v84, v123
	v_pk_fma_f16 v142, v82, v84, v142
	;; [unrolled: 1-line block ×8, first 2 shown]
	v_mul_u32_u24_e32 v150, 0x10001, v153
	v_and_b32_e32 v155, 0xffff, v137
	s_wait_dscnt 0x4
	v_dual_lshrrev_b32 v137, 16, v137 :: v_dual_lshrrev_b32 v134, 16, v107
	s_wait_dscnt 0x3
	v_lshrrev_b32_e32 v149, 16, v96
	v_pk_fma_f16 v123, v93, v135, v123
	v_pk_fma_f16 v142, v94, v135, v142
	;; [unrolled: 1-line block ×4, first 2 shown]
	v_and_b32_e32 v135, 0xffff, v96
	v_pk_fma_f16 v96, v93, v150, v144
	v_pk_fma_f16 v144, v94, v150, v145
	;; [unrolled: 1-line block ×4, first 2 shown]
	v_dual_lshrrev_b32 v146, 16, v97 :: v_dual_lshrrev_b32 v151, 16, v98
	v_and_b32_e32 v150, 0xffff, v97
	v_and_b32_e32 v152, 0xffff, v98
	v_mul_u32_u24_e32 v97, 0x10001, v154
	v_mul_u32_u24_e32 v98, 0x10001, v136
	v_and_b32_e32 v156, 0xffff, v138
	v_lshrrev_b32_e32 v138, 16, v138
	v_and_b32_e32 v161, 0xffff, v103
	ds_load_2addr_b64 v[72:75], v124 offset1:32
	ds_load_b128 v[100:103], v122 offset:25184
	ds_load_2addr_b64 v[84:87], v124 offset0:64 offset1:96
	ds_load_2addr_b64 v[80:83], v124 offset0:128 offset1:160
	v_lshrrev_b32_e32 v153, 16, v99
	v_and_b32_e32 v154, 0xffff, v99
	ds_load_2addr_b64 v[92:95], v124 offset0:192 offset1:224
	v_mul_u32_u24_e32 v99, 0x10001, v155
	v_pk_fma_f16 v123, v89, v97, v123
	v_pk_fma_f16 v124, v90, v97, v142
	;; [unrolled: 1-line block ×8, first 2 shown]
	v_mul_u32_u24_e32 v120, 0x10001, v137
	v_and_b32_e32 v139, 0xffff, v139
	v_pk_fma_f16 v123, v77, v99, v123
	v_pk_fma_f16 v124, v78, v99, v124
	;; [unrolled: 1-line block ×4, first 2 shown]
	ds_load_b128 v[96:99], v122 offset:25200
	v_mul_u32_u24_e32 v122, 0x10001, v156
	v_pk_fma_f16 v142, v77, v120, v142
	v_pk_fma_f16 v143, v78, v120, v143
	;; [unrolled: 1-line block ×4, first 2 shown]
	v_mul_u32_u24_e32 v138, 0x10001, v138
	v_pk_fma_f16 v123, v65, v122, v123
	v_pk_fma_f16 v124, v66, v122, v124
	;; [unrolled: 1-line block ×8, first 2 shown]
	v_mul_u32_u24_e32 v64, 0x10001, v139
	v_mul_u32_u24_e32 v145, 0x10001, v157
	;; [unrolled: 1-line block ×5, first 2 shown]
	v_pk_fma_f16 v123, v61, v64, v123
	v_pk_fma_f16 v124, v62, v64, v124
	;; [unrolled: 1-line block ×16, first 2 shown]
	v_mul_u32_u24_e32 v133, 0x10001, v133
	v_mul_u32_u24_e32 v137, 0x10001, v159
	;; [unrolled: 1-line block ×3, first 2 shown]
	v_pk_fma_f16 v123, v41, v131, v123
	v_pk_fma_f16 v124, v42, v131, v124
	v_pk_fma_f16 v136, v43, v131, v136
	v_pk_fma_f16 v41, v41, v133, v53
	v_pk_fma_f16 v42, v42, v133, v54
	v_pk_fma_f16 v43, v43, v133, v55
	v_pk_fma_f16 v53, v40, v131, v122
	v_pk_fma_f16 v40, v40, v133, v52
	v_mul_u32_u24_e32 v143, 0x10001, v161
	v_mul_u32_u24_e32 v155, 0x10001, v162
	v_pk_fma_f16 v52, v33, v137, v123
	v_pk_fma_f16 v54, v34, v137, v124
	v_pk_fma_f16 v55, v35, v137, v136
	v_pk_fma_f16 v33, v33, v142, v41
	v_pk_fma_f16 v34, v34, v142, v42
	v_pk_fma_f16 v35, v35, v142, v43
	v_pk_fma_f16 v41, v32, v137, v53
	v_pk_fma_f16 v32, v32, v142, v40
	v_mul_u32_u24_e32 v156, 0x10001, v164
	v_mul_u32_u24_e32 v157, 0x10001, v163
	;; [unrolled: 10-line block ×4, first 2 shown]
	v_pk_fma_f16 v20, v5, v158, v32
	v_pk_fma_f16 v22, v6, v158, v34
	;; [unrolled: 1-line block ×8, first 2 shown]
	v_lshrrev_b32_e32 v140, 16, v104
	v_and_b32_e32 v104, 0xffff, v104
	v_mul_u32_u24_e32 v162, 0x10001, v169
	v_mul_u32_u24_e32 v148, 0x10001, v148
	v_pk_fma_f16 v12, v1, v160, v20
	v_pk_fma_f16 v14, v2, v160, v22
	v_pk_fma_f16 v15, v3, v160, v23
	v_pk_fma_f16 v1, v1, v161, v5
	v_pk_fma_f16 v2, v2, v161, v6
	v_pk_fma_f16 v3, v3, v161, v7
	v_pk_fma_f16 v5, v0, v160, v13
	v_pk_fma_f16 v0, v0, v161, v4
	v_dual_lshrrev_b32 v141, 16, v105 :: v_dual_lshrrev_b32 v147, 16, v106
	v_and_b32_e32 v105, 0xffff, v105
	v_mul_u32_u24_e32 v104, 0x10001, v104
	v_mul_u32_u24_e32 v140, 0x10001, v140
	v_pk_fma_f16 v4, v17, v162, v12
	v_pk_fma_f16 v6, v18, v162, v14
	v_pk_fma_f16 v7, v19, v162, v15
	v_pk_fma_f16 v1, v17, v148, v1
	v_pk_fma_f16 v2, v18, v148, v2
	v_pk_fma_f16 v3, v19, v148, v3
	v_pk_fma_f16 v5, v16, v162, v5
	v_pk_fma_f16 v0, v16, v148, v0
	v_and_b32_e32 v106, 0xffff, v106
	v_mul_u32_u24_e32 v105, 0x10001, v105
	v_mul_u32_u24_e32 v141, 0x10001, v141
	v_pk_fma_f16 v4, v9, v104, v4
	v_pk_fma_f16 v6, v10, v104, v6
	v_pk_fma_f16 v7, v11, v104, v7
	v_pk_fma_f16 v1, v9, v140, v1
	v_pk_fma_f16 v2, v10, v140, v2
	v_pk_fma_f16 v3, v11, v140, v3
	v_pk_fma_f16 v5, v8, v104, v5
	v_pk_fma_f16 v0, v8, v140, v0
	;; [unrolled: 11-line block ×3, first 2 shown]
	v_mul_u32_u24_e32 v107, 0x10001, v107
	v_mul_u32_u24_e32 v134, 0x10001, v134
	v_pk_fma_f16 v4, v37, v106, v4
	v_pk_fma_f16 v1, v37, v147, v1
	v_pk_fma_f16 v6, v38, v106, v6
	v_pk_fma_f16 v2, v38, v147, v2
	v_pk_fma_f16 v7, v39, v106, v7
	v_pk_fma_f16 v3, v39, v147, v3
	v_pk_fma_f16 v5, v36, v106, v5
	v_pk_fma_f16 v0, v36, v147, v0
	v_mul_u32_u24_e32 v135, 0x10001, v135
	v_mul_u32_u24_e32 v149, 0x10001, v149
	v_pk_fma_f16 v4, v25, v107, v4
	v_pk_fma_f16 v1, v25, v134, v1
	v_pk_fma_f16 v6, v26, v107, v6
	v_pk_fma_f16 v2, v26, v134, v2
	v_pk_fma_f16 v7, v27, v107, v7
	v_pk_fma_f16 v3, v27, v134, v3
	v_pk_fma_f16 v5, v24, v107, v5
	v_pk_fma_f16 v0, v24, v134, v0
	;; [unrolled: 10-line block ×3, first 2 shown]
	v_mul_u32_u24_e32 v152, 0x10001, v152
	v_mul_u32_u24_e32 v151, 0x10001, v151
	s_wait_dscnt 0x8
	v_pk_fma_f16 v4, v49, v150, v4
	v_pk_fma_f16 v1, v49, v146, v1
	;; [unrolled: 1-line block ×8, first 2 shown]
	s_wait_dscnt 0x4
	v_lshrrev_b32_e32 v120, 16, v100
	v_and_b32_e32 v100, 0xffff, v100
	v_mul_u32_u24_e32 v154, 0x10001, v154
	v_mul_u32_u24_e32 v153, 0x10001, v153
	v_pk_fma_f16 v4, v57, v152, v4
	v_pk_fma_f16 v1, v57, v151, v1
	;; [unrolled: 1-line block ×8, first 2 shown]
	v_dual_lshrrev_b32 v138, 16, v101 :: v_dual_lshrrev_b32 v144, 16, v102
	v_and_b32_e32 v101, 0xffff, v101
	v_mul_u32_u24_e32 v100, 0x10001, v100
	v_mul_u32_u24_e32 v120, 0x10001, v120
	v_pk_fma_f16 v4, v69, v154, v4
	v_pk_fma_f16 v1, v69, v153, v1
	;; [unrolled: 1-line block ×8, first 2 shown]
	ds_load_2addr_b64 v[88:91], v121 offset1:32
	v_and_b32_e32 v102, 0xffff, v102
	v_mul_u32_u24_e32 v101, 0x10001, v101
	v_mul_u32_u24_e32 v138, 0x10001, v138
	v_pk_fma_f16 v4, v73, v100, v4
	v_pk_fma_f16 v1, v73, v120, v1
	;; [unrolled: 1-line block ×8, first 2 shown]
	ds_load_2addr_b64 v[76:79], v121 offset0:64 offset1:96
	v_lshrrev_b32_e32 v139, 16, v103
	v_and_b32_e32 v103, 0xffff, v103
	v_mul_u32_u24_e32 v102, 0x10001, v102
	v_mul_u32_u24_e32 v144, 0x10001, v144
	s_wait_dscnt 0x5
	v_pk_fma_f16 v4, v85, v101, v4
	v_pk_fma_f16 v1, v85, v138, v1
	;; [unrolled: 1-line block ×8, first 2 shown]
	ds_load_2addr_b64 v[64:67], v121 offset0:128 offset1:160
	ds_load_2addr_b64 v[60:63], v121 offset0:192 offset1:224
	s_wait_dscnt 0x4
	v_lshrrev_b32_e32 v121, 16, v96
	v_and_b32_e32 v96, 0xffff, v96
	v_mul_u32_u24_e32 v103, 0x10001, v103
	v_mul_u32_u24_e32 v139, 0x10001, v139
	v_pk_fma_f16 v4, v81, v102, v4
	v_pk_fma_f16 v1, v81, v144, v1
	;; [unrolled: 1-line block ×8, first 2 shown]
	v_dual_lshrrev_b32 v145, 16, v97 :: v_dual_lshrrev_b32 v119, 16, v98
	v_and_b32_e32 v97, 0xffff, v97
	v_mul_u32_u24_e32 v96, 0x10001, v96
	v_mul_u32_u24_e32 v121, 0x10001, v121
	v_pk_fma_f16 v4, v93, v103, v4
	v_pk_fma_f16 v1, v93, v139, v1
	;; [unrolled: 1-line block ×8, first 2 shown]
	v_and_b32_e32 v98, 0xffff, v98
	v_mul_u32_u24_e32 v97, 0x10001, v97
	v_mul_u32_u24_e32 v145, 0x10001, v145
	s_wait_dscnt 0x3
	v_pk_fma_f16 v4, v89, v96, v4
	v_pk_fma_f16 v1, v89, v121, v1
	v_pk_fma_f16 v6, v90, v96, v6
	v_pk_fma_f16 v2, v90, v121, v2
	v_pk_fma_f16 v7, v91, v96, v7
	v_pk_fma_f16 v3, v91, v121, v3
	v_pk_fma_f16 v5, v88, v96, v5
	v_pk_fma_f16 v0, v88, v121, v0
	v_lshrrev_b32_e32 v132, 16, v99
	v_and_b32_e32 v99, 0xffff, v99
	v_mul_u32_u24_e32 v98, 0x10001, v98
	v_mul_u32_u24_e32 v119, 0x10001, v119
	s_wait_dscnt 0x2
	v_pk_fma_f16 v4, v77, v97, v4
	v_pk_fma_f16 v1, v77, v145, v1
	;; [unrolled: 1-line block ×8, first 2 shown]
	v_mul_u32_u24_e32 v99, 0x10001, v99
	v_mul_u32_u24_e32 v132, 0x10001, v132
	s_wait_dscnt 0x1
	v_pk_fma_f16 v4, v65, v98, v4
	v_pk_fma_f16 v1, v65, v119, v1
	;; [unrolled: 1-line block ×8, first 2 shown]
	v_mov_b64_e32 v[94:95], v[110:111]
	s_wait_dscnt 0x0
	v_pk_fma_f16 v21, v61, v99, v4
	v_pk_fma_f16 v18, v61, v132, v1
	;; [unrolled: 1-line block ×8, first 2 shown]
	s_barrier_signal -1
	s_barrier_wait -1
.LBB46_30:
	v_cmp_lt_i32_e32 vcc_lo, v125, v128
	s_cmp_eq_u64 s[12:13], 0
	s_cselect_b32 s2, -1, 0
	s_cmp_lg_u32 s20, 0
	v_cndmask_b32_e32 v0, v118, v125, vcc_lo
	v_cmp_lt_i32_e32 vcc_lo, v126, v128
	s_cselect_b32 s3, -1, 0
	s_delay_alu instid0(SALU_CYCLE_1) | instskip(NEXT) | instid1(VALU_DEP_2)
	s_or_b32 s2, s3, s2
	v_dual_cndmask_b32 v2, v118, v126 :: v_dual_lshlrev_b32 v1, 2, v0
	v_cmp_lt_i32_e32 vcc_lo, v127, v128
	s_delay_alu instid0(VALU_DEP_2) | instskip(SKIP_4) | instid1(VALU_DEP_2)
	v_lshlrev_b32_e32 v3, 2, v2
	ds_bpermute_b32 v0, v1, v108
	ds_bpermute_b32 v1, v1, v109
	v_cndmask_b32_e32 v4, v118, v127, vcc_lo
	v_cmp_lt_i32_e32 vcc_lo, v129, v128
	v_lshlrev_b32_e32 v4, 2, v4
	s_wait_dscnt 0x0
	v_pk_add_f32 v[0:1], v[108:109], v[0:1]
	ds_bpermute_b32 v2, v3, v0
	ds_bpermute_b32 v3, v3, v1
	s_wait_dscnt 0x0
	v_pk_add_f32 v[0:1], v[0:1], v[2:3]
	ds_bpermute_b32 v2, v4, v0
	ds_bpermute_b32 v3, v4, v1
	v_cndmask_b32_e32 v4, v118, v129, vcc_lo
	v_cmp_lt_i32_e32 vcc_lo, v130, v128
	s_delay_alu instid0(VALU_DEP_2)
	v_lshlrev_b32_e32 v4, 2, v4
	s_wait_dscnt 0x0
	v_pk_add_f32 v[0:1], v[0:1], v[2:3]
	ds_bpermute_b32 v2, v4, v0
	ds_bpermute_b32 v3, v4, v1
	v_cndmask_b32_e32 v4, v118, v130, vcc_lo
	s_and_b32 vcc_lo, exec_lo, s2
	s_delay_alu instid0(VALU_DEP_1)
	v_lshlrev_b32_e32 v4, 2, v4
	s_wait_dscnt 0x0
	v_pk_add_f32 v[0:1], v[0:1], v[2:3]
	ds_bpermute_b32 v2, v4, v0
	ds_bpermute_b32 v3, v4, v1
	s_wait_dscnt 0x0
	v_pk_add_f32 v[0:1], v[0:1], v[2:3]
	s_cbranch_vccnz .LBB46_32
; %bb.31:
	v_dual_mov_b32 v2, s33 :: v_dual_max_num_f32 v5, v95, v95
	global_load_b32 v4, v2, s[12:13] scale_offset
	s_wait_loadcnt 0x0
	v_dual_max_num_f32 v2, v94, v94 :: v_dual_max_num_f32 v3, v4, v4
	s_delay_alu instid0(VALU_DEP_1) | instskip(NEXT) | instid1(VALU_DEP_1)
	v_dual_max_num_f32 v2, v2, v3 :: v_dual_max_num_f32 v3, v5, v3
	v_dual_sub_f32 v5, v94, v2 :: v_dual_sub_f32 v6, v4, v2
	s_delay_alu instid0(VALU_DEP_2) | instskip(SKIP_1) | instid1(VALU_DEP_3)
	v_dual_sub_f32 v7, v95, v3 :: v_dual_sub_f32 v8, v4, v3
	v_mov_b64_e32 v[94:95], v[2:3]
	v_dual_mul_f32 v4, 0x3fb8aa3b, v5 :: v_dual_mul_f32 v9, 0x3fb8aa3b, v6
	s_delay_alu instid0(VALU_DEP_3) | instskip(SKIP_1) | instid1(VALU_DEP_3)
	v_dual_mul_f32 v10, 0x3fb8aa3b, v7 :: v_dual_mul_f32 v11, 0x3fb8aa3b, v8
	v_cmp_ngt_f32_e32 vcc_lo, 0xc2ce8ed0, v5
	v_fma_f32 v12, 0x3fb8aa3b, v5, -v4
	v_rndne_f32_e32 v13, v4
	v_rndne_f32_e32 v15, v9
	v_fma_f32 v22, 0x3fb8aa3b, v7, -v10
	v_rndne_f32_e32 v23, v10
	v_fmac_f32_e32 v12, 0x32a5705f, v5
	v_sub_f32_e32 v4, v4, v13
	v_rndne_f32_e32 v25, v11
	v_fma_f32 v14, 0x3fb8aa3b, v6, -v9
	v_fma_f32 v24, 0x3fb8aa3b, v8, -v11
	v_fmac_f32_e32 v22, 0x32a5705f, v7
	v_sub_f32_e32 v10, v10, v23
	v_dual_sub_f32 v9, v9, v15 :: v_dual_sub_f32 v11, v11, v25
	v_add_f32_e32 v4, v4, v12
	v_cvt_i32_f32_e32 v12, v13
	s_delay_alu instid0(VALU_DEP_4)
	v_add_f32_e32 v10, v10, v22
	v_cvt_i32_f32_e32 v13, v23
	v_fmac_f32_e32 v24, 0x32a5705f, v8
	v_exp_f32_e32 v4, v4
	v_fmac_f32_e32 v14, 0x32a5705f, v6
	v_exp_f32_e32 v10, v10
	s_delay_alu instid0(VALU_DEP_1) | instskip(NEXT) | instid1(TRANS32_DEP_2)
	v_dual_add_f32 v11, v11, v24 :: v_dual_add_f32 v9, v9, v14
	v_ldexp_f32 v4, v4, v12
	v_cvt_i32_f32_e32 v14, v15
	s_delay_alu instid0(TRANS32_DEP_1) | instskip(NEXT) | instid1(VALU_DEP_4)
	v_ldexp_f32 v10, v10, v13
	v_exp_f32_e32 v11, v11
	v_exp_f32_e32 v9, v9
	v_cndmask_b32_e32 v4, 0, v4, vcc_lo
	v_cmp_ngt_f32_e32 vcc_lo, 0xc2ce8ed0, v7
	v_cvt_i32_f32_e32 v12, v25
	v_cndmask_b32_e32 v10, 0, v10, vcc_lo
	v_cmp_nlt_f32_e32 vcc_lo, 0x42b17218, v5
	s_delay_alu instid0(TRANS32_DEP_1) | instskip(NEXT) | instid1(VALU_DEP_4)
	v_ldexp_f32 v9, v9, v14
	v_ldexp_f32 v11, v11, v12
	v_cndmask_b32_e32 v4, 0x7f800000, v4, vcc_lo
	v_cmp_nlt_f32_e32 vcc_lo, 0x42b17218, v7
	s_delay_alu instid0(VALU_DEP_2) | instskip(SKIP_2) | instid1(VALU_DEP_3)
	v_cvt_f16_f32_e32 v7, v4
	v_cndmask_b32_e32 v5, 0x7f800000, v10, vcc_lo
	v_cmp_ngt_f32_e32 vcc_lo, 0xc2ce8ed0, v6
	v_and_b32_e32 v12, 0xffff, v7
	v_cndmask_b32_e32 v9, 0, v9, vcc_lo
	v_cmp_ngt_f32_e32 vcc_lo, 0xc2ce8ed0, v8
	v_cndmask_b32_e32 v10, 0, v11, vcc_lo
	v_cmp_nlt_f32_e32 vcc_lo, 0x42b17218, v6
	v_cvt_f16_f32_e32 v11, v5
	v_cndmask_b32_e32 v6, 0x7f800000, v9, vcc_lo
	v_cmp_nlt_f32_e32 vcc_lo, 0x42b17218, v8
	s_delay_alu instid0(VALU_DEP_3) | instskip(SKIP_2) | instid1(VALU_DEP_2)
	v_and_b32_e32 v8, 0xffff, v11
	v_mul_u32_u24_e32 v9, 0x10001, v12
	v_cndmask_b32_e32 v7, 0x7f800000, v10, vcc_lo
	v_pk_mul_f16 v120, v120, v9
	v_pk_mul_f16 v21, v21, v9
	;; [unrolled: 1-line block ×3, first 2 shown]
	s_delay_alu instid0(VALU_DEP_4) | instskip(SKIP_2) | instid1(VALU_DEP_2)
	v_pk_fma_f32 v[0:1], v[0:1], v[4:5], v[6:7]
	v_mul_u32_u24_e32 v4, 0x10001, v8
	v_pk_mul_f16 v19, v19, v9
	v_pk_mul_f16 v119, v119, v4
	;; [unrolled: 1-line block ×5, first 2 shown]
.LBB46_32:
	s_mov_b32 s2, exec_lo
	v_cmpx_gt_i32_e64 s22, v116
	s_cbranch_execz .LBB46_42
; %bb.33:
	s_load_b32 s0, s[0:1], 0xd4
	v_mov_b32_e32 v2, 1.0
	s_wait_kmcnt 0x0
	s_cmp_lg_u32 s0, 1
	s_cselect_b32 s3, -1, 0
	s_cmp_eq_u32 s0, 1
	s_cselect_b32 s1, -1, 0
	s_and_b32 vcc_lo, exec_lo, s3
	s_cbranch_vccnz .LBB46_35
; %bb.34:
	v_div_scale_f32 v2, null, v0, v0, 1.0
	s_delay_alu instid0(VALU_DEP_1) | instskip(SKIP_1) | instid1(TRANS32_DEP_1)
	v_rcp_f32_e32 v3, v2
	v_nop
	v_fma_f32 v4, -v2, v3, 1.0
	s_delay_alu instid0(VALU_DEP_1) | instskip(SKIP_1) | instid1(VALU_DEP_1)
	v_fmac_f32_e32 v3, v4, v3
	v_div_scale_f32 v4, vcc_lo, 1.0, v0, 1.0
	v_mul_f32_e32 v5, v4, v3
	s_delay_alu instid0(VALU_DEP_1) | instskip(NEXT) | instid1(VALU_DEP_1)
	v_fma_f32 v6, -v2, v5, v4
	v_fmac_f32_e32 v5, v6, v3
	s_delay_alu instid0(VALU_DEP_1) | instskip(NEXT) | instid1(VALU_DEP_1)
	v_fma_f32 v2, -v2, v5, v4
	v_div_fmas_f32 v2, v2, v3, v5
	s_delay_alu instid0(VALU_DEP_1)
	v_div_fixup_f32 v2, v2, v0, 1.0
.LBB46_35:
	s_mul_i32 s2, s28, s22
	v_dual_lshrrev_b32 v5, 16, v120 :: v_dual_lshrrev_b32 v7, 16, v21
	s_add_co_i32 s2, s2, s38
	s_delay_alu instid0(SALU_CYCLE_1) | instskip(SKIP_3) | instid1(VALU_DEP_4)
	v_dual_mov_b32 v11, 0 :: v_dual_add_nc_u32 v3, s2, v114
	v_dual_lshrrev_b32 v9, 16, v20 :: v_dual_lshrrev_b32 v13, 16, v19
	v_cvt_f32_f16_e32 v4, v120
	v_cvt_f32_f16_e32 v6, v21
	v_mad_u32 v3, v3, s23, s33
	v_cvt_f32_f16_e32 v5, v5
	v_cvt_f32_f16_e32 v7, v7
	;; [unrolled: 1-line block ×6, first 2 shown]
	v_cmp_eq_u32_e32 vcc_lo, 0, v117
	v_mad_u32 v3, s0, v3, s20
	s_and_b32 s3, vcc_lo, s3
	s_delay_alu instid0(VALU_DEP_1) | instskip(SKIP_3) | instid1(VALU_DEP_4)
	v_lshl_add_u32 v10, v3, 8, v115
	v_pk_mul_f32 v[4:5], v[2:3], v[4:5] op_sel_hi:[0,1]
	v_pk_mul_f32 v[6:7], v[2:3], v[6:7] op_sel_hi:[0,1]
	;; [unrolled: 1-line block ×3, first 2 shown]
	v_lshl_add_u64 v[14:15], v[10:11], 2, s[16:17]
	v_add_nc_u32_e32 v10, 0x80, v10
	s_delay_alu instid0(VALU_DEP_1)
	v_lshl_add_u64 v[20:21], v[10:11], 2, s[16:17]
	v_pk_mul_f32 v[10:11], v[2:3], v[12:13] op_sel_hi:[0,1]
	s_clause 0x1
	global_store_b128 v[14:15], v[4:7], off
	global_store_b128 v[20:21], v[8:11], off
	s_wait_xcnt 0x0
	s_and_saveexec_b32 s4, s3
	s_cbranch_execz .LBB46_37
; %bb.36:
	v_dual_mov_b32 v4, v94 :: v_dual_mov_b32 v5, v0
	global_store_b64 v3, v[4:5], s[18:19] scale_offset
.LBB46_37:
	s_wait_xcnt 0x0
	s_or_b32 exec_lo, exec_lo, s4
	v_cmp_gt_i32_e32 vcc_lo, s22, v113
	s_and_b32 exec_lo, exec_lo, vcc_lo
	s_cbranch_execz .LBB46_42
; %bb.38:
	v_mov_b32_e32 v0, 1.0
	s_and_not1_b32 vcc_lo, exec_lo, s1
	s_cbranch_vccnz .LBB46_40
; %bb.39:
	v_div_scale_f32 v0, null, v1, v1, 1.0
	s_delay_alu instid0(VALU_DEP_1) | instskip(SKIP_1) | instid1(TRANS32_DEP_1)
	v_rcp_f32_e32 v2, v0
	v_nop
	v_fma_f32 v3, -v0, v2, 1.0
	s_delay_alu instid0(VALU_DEP_1) | instskip(SKIP_1) | instid1(VALU_DEP_1)
	v_fmac_f32_e32 v2, v3, v2
	v_div_scale_f32 v3, vcc_lo, 1.0, v1, 1.0
	v_mul_f32_e32 v4, v3, v2
	s_delay_alu instid0(VALU_DEP_1) | instskip(NEXT) | instid1(VALU_DEP_1)
	v_fma_f32 v5, -v0, v4, v3
	v_fmac_f32_e32 v4, v5, v2
	s_delay_alu instid0(VALU_DEP_1) | instskip(NEXT) | instid1(VALU_DEP_1)
	v_fma_f32 v0, -v0, v4, v3
	v_div_fmas_f32 v0, v0, v2, v4
	s_delay_alu instid0(VALU_DEP_1)
	v_div_fixup_f32 v0, v0, v1, 1.0
.LBB46_40:
	v_dual_mov_b32 v11, 0 :: v_dual_add_nc_u32 v2, s2, v112
	v_dual_lshrrev_b32 v3, 16, v119 :: v_dual_lshrrev_b32 v7, 16, v18
	v_dual_lshrrev_b32 v9, 16, v17 :: v_dual_lshrrev_b32 v13, 16, v16
	s_delay_alu instid0(VALU_DEP_3)
	v_mad_u32 v2, v2, s23, s33
	v_cvt_f32_f16_e32 v4, v119
	v_cvt_f32_f16_e32 v6, v18
	;; [unrolled: 1-line block ×8, first 2 shown]
	v_pk_mul_f32 v[4:5], v[0:1], v[4:5] op_sel_hi:[0,1]
	v_pk_mul_f32 v[6:7], v[0:1], v[6:7] op_sel_hi:[0,1]
	v_mad_u32 v2, s0, v2, s20
	v_pk_mul_f32 v[8:9], v[0:1], v[8:9] op_sel_hi:[0,1]
	s_delay_alu instid0(VALU_DEP_2) | instskip(NEXT) | instid1(VALU_DEP_1)
	v_lshl_add_u32 v10, v2, 8, v115
	v_lshl_add_u64 v[14:15], v[10:11], 2, s[16:17]
	v_add_nc_u32_e32 v10, 0x80, v10
	s_delay_alu instid0(VALU_DEP_1)
	v_lshl_add_u64 v[16:17], v[10:11], 2, s[16:17]
	v_pk_mul_f32 v[10:11], v[0:1], v[12:13] op_sel_hi:[0,1]
	s_clause 0x1
	global_store_b128 v[14:15], v[4:7], off
	global_store_b128 v[16:17], v[8:11], off
	s_wait_xcnt 0x0
	s_and_b32 exec_lo, exec_lo, s3
	s_cbranch_execz .LBB46_42
; %bb.41:
	v_mov_b32_e32 v0, v95
	global_store_b64 v2, v[0:1], s[18:19] scale_offset
.LBB46_42:
	s_sendmsg sendmsg(MSG_DEALLOC_VGPRS)
	s_endpgm
	.section	.rodata,"a",@progbits
	.p2align	6, 0x0
	.amdhsa_kernel _ZL15flash_attn_tileILi256ELi256ELi16ELi1ELb0EEvPKcS1_S1_S1_S1_PKiPfP15HIP_vector_typeIfLj2EEffffjfiS5_IjLj3EEiiiiiiiiiiiliiliiiiil
		.amdhsa_group_segment_fixed_size 26112
		.amdhsa_private_segment_fixed_size 32
		.amdhsa_kernarg_size 464
		.amdhsa_user_sgpr_count 2
		.amdhsa_user_sgpr_dispatch_ptr 0
		.amdhsa_user_sgpr_queue_ptr 0
		.amdhsa_user_sgpr_kernarg_segment_ptr 1
		.amdhsa_user_sgpr_dispatch_id 0
		.amdhsa_user_sgpr_kernarg_preload_length 0
		.amdhsa_user_sgpr_kernarg_preload_offset 0
		.amdhsa_user_sgpr_private_segment_size 0
		.amdhsa_wavefront_size32 1
		.amdhsa_uses_dynamic_stack 0
		.amdhsa_enable_private_segment 1
		.amdhsa_system_sgpr_workgroup_id_x 1
		.amdhsa_system_sgpr_workgroup_id_y 1
		.amdhsa_system_sgpr_workgroup_id_z 1
		.amdhsa_system_sgpr_workgroup_info 0
		.amdhsa_system_vgpr_workitem_id 1
		.amdhsa_next_free_vgpr 170
		.amdhsa_next_free_sgpr 47
		.amdhsa_named_barrier_count 0
		.amdhsa_reserve_vcc 1
		.amdhsa_float_round_mode_32 0
		.amdhsa_float_round_mode_16_64 0
		.amdhsa_float_denorm_mode_32 3
		.amdhsa_float_denorm_mode_16_64 3
		.amdhsa_fp16_overflow 0
		.amdhsa_memory_ordered 1
		.amdhsa_forward_progress 1
		.amdhsa_inst_pref_size 139
		.amdhsa_round_robin_scheduling 0
		.amdhsa_exception_fp_ieee_invalid_op 0
		.amdhsa_exception_fp_denorm_src 0
		.amdhsa_exception_fp_ieee_div_zero 0
		.amdhsa_exception_fp_ieee_overflow 0
		.amdhsa_exception_fp_ieee_underflow 0
		.amdhsa_exception_fp_ieee_inexact 0
		.amdhsa_exception_int_div_zero 0
	.end_amdhsa_kernel
	.section	.text._ZL15flash_attn_tileILi256ELi256ELi16ELi1ELb0EEvPKcS1_S1_S1_S1_PKiPfP15HIP_vector_typeIfLj2EEffffjfiS5_IjLj3EEiiiiiiiiiiiliiliiiiil,"axG",@progbits,_ZL15flash_attn_tileILi256ELi256ELi16ELi1ELb0EEvPKcS1_S1_S1_S1_PKiPfP15HIP_vector_typeIfLj2EEffffjfiS5_IjLj3EEiiiiiiiiiiiliiliiiiil,comdat
.Lfunc_end46:
	.size	_ZL15flash_attn_tileILi256ELi256ELi16ELi1ELb0EEvPKcS1_S1_S1_S1_PKiPfP15HIP_vector_typeIfLj2EEffffjfiS5_IjLj3EEiiiiiiiiiiiliiliiiiil, .Lfunc_end46-_ZL15flash_attn_tileILi256ELi256ELi16ELi1ELb0EEvPKcS1_S1_S1_S1_PKiPfP15HIP_vector_typeIfLj2EEffffjfiS5_IjLj3EEiiiiiiiiiiiliiliiiiil
                                        ; -- End function
	.set _ZL15flash_attn_tileILi256ELi256ELi16ELi1ELb0EEvPKcS1_S1_S1_S1_PKiPfP15HIP_vector_typeIfLj2EEffffjfiS5_IjLj3EEiiiiiiiiiiiliiliiiiil.num_vgpr, 170
	.set _ZL15flash_attn_tileILi256ELi256ELi16ELi1ELb0EEvPKcS1_S1_S1_S1_PKiPfP15HIP_vector_typeIfLj2EEffffjfiS5_IjLj3EEiiiiiiiiiiiliiliiiiil.num_agpr, 0
	.set _ZL15flash_attn_tileILi256ELi256ELi16ELi1ELb0EEvPKcS1_S1_S1_S1_PKiPfP15HIP_vector_typeIfLj2EEffffjfiS5_IjLj3EEiiiiiiiiiiiliiliiiiil.numbered_sgpr, 47
	.set _ZL15flash_attn_tileILi256ELi256ELi16ELi1ELb0EEvPKcS1_S1_S1_S1_PKiPfP15HIP_vector_typeIfLj2EEffffjfiS5_IjLj3EEiiiiiiiiiiiliiliiiiil.num_named_barrier, 0
	.set _ZL15flash_attn_tileILi256ELi256ELi16ELi1ELb0EEvPKcS1_S1_S1_S1_PKiPfP15HIP_vector_typeIfLj2EEffffjfiS5_IjLj3EEiiiiiiiiiiiliiliiiiil.private_seg_size, 32
	.set _ZL15flash_attn_tileILi256ELi256ELi16ELi1ELb0EEvPKcS1_S1_S1_S1_PKiPfP15HIP_vector_typeIfLj2EEffffjfiS5_IjLj3EEiiiiiiiiiiiliiliiiiil.uses_vcc, 1
	.set _ZL15flash_attn_tileILi256ELi256ELi16ELi1ELb0EEvPKcS1_S1_S1_S1_PKiPfP15HIP_vector_typeIfLj2EEffffjfiS5_IjLj3EEiiiiiiiiiiiliiliiiiil.uses_flat_scratch, 1
	.set _ZL15flash_attn_tileILi256ELi256ELi16ELi1ELb0EEvPKcS1_S1_S1_S1_PKiPfP15HIP_vector_typeIfLj2EEffffjfiS5_IjLj3EEiiiiiiiiiiiliiliiiiil.has_dyn_sized_stack, 0
	.set _ZL15flash_attn_tileILi256ELi256ELi16ELi1ELb0EEvPKcS1_S1_S1_S1_PKiPfP15HIP_vector_typeIfLj2EEffffjfiS5_IjLj3EEiiiiiiiiiiiliiliiiiil.has_recursion, 0
	.set _ZL15flash_attn_tileILi256ELi256ELi16ELi1ELb0EEvPKcS1_S1_S1_S1_PKiPfP15HIP_vector_typeIfLj2EEffffjfiS5_IjLj3EEiiiiiiiiiiiliiliiiiil.has_indirect_call, 0
	.section	.AMDGPU.csdata,"",@progbits
; Kernel info:
; codeLenInByte = 17720
; TotalNumSgprs: 49
; NumVgprs: 170
; ScratchSize: 32
; MemoryBound: 0
; FloatMode: 240
; IeeeMode: 1
; LDSByteSize: 26112 bytes/workgroup (compile time only)
; SGPRBlocks: 0
; VGPRBlocks: 10
; NumSGPRsForWavesPerEU: 49
; NumVGPRsForWavesPerEU: 170
; NamedBarCnt: 0
; Occupancy: 5
; WaveLimiterHint : 1
; COMPUTE_PGM_RSRC2:SCRATCH_EN: 1
; COMPUTE_PGM_RSRC2:USER_SGPR: 2
; COMPUTE_PGM_RSRC2:TRAP_HANDLER: 0
; COMPUTE_PGM_RSRC2:TGID_X_EN: 1
; COMPUTE_PGM_RSRC2:TGID_Y_EN: 1
; COMPUTE_PGM_RSRC2:TGID_Z_EN: 1
; COMPUTE_PGM_RSRC2:TIDIG_COMP_CNT: 1
	.section	.text._ZL33flash_attn_stream_k_fixup_uniformILi256ELi16ELi1EEvPfPK15HIP_vector_typeIfLj2EEiiiiiiS1_IjLj3EES5_S5_,"axG",@progbits,_ZL33flash_attn_stream_k_fixup_uniformILi256ELi16ELi1EEvPfPK15HIP_vector_typeIfLj2EEiiiiiiS1_IjLj3EES5_S5_,comdat
	.globl	_ZL33flash_attn_stream_k_fixup_uniformILi256ELi16ELi1EEvPfPK15HIP_vector_typeIfLj2EEiiiiiiS1_IjLj3EES5_S5_ ; -- Begin function _ZL33flash_attn_stream_k_fixup_uniformILi256ELi16ELi1EEvPfPK15HIP_vector_typeIfLj2EEiiiiiiS1_IjLj3EES5_S5_
	.p2align	8
	.type	_ZL33flash_attn_stream_k_fixup_uniformILi256ELi16ELi1EEvPfPK15HIP_vector_typeIfLj2EEiiiiiiS1_IjLj3EES5_S5_,@function
_ZL33flash_attn_stream_k_fixup_uniformILi256ELi16ELi1EEvPfPK15HIP_vector_typeIfLj2EEiiiiiiS1_IjLj3EES5_S5_: ; @_ZL33flash_attn_stream_k_fixup_uniformILi256ELi16ELi1EEvPfPK15HIP_vector_typeIfLj2EEiiiiiiS1_IjLj3EES5_S5_
; %bb.0:
	s_load_b256 s[4:11], s[0:1], 0x1c
	s_bfe_u32 s2, ttmp6, 0x40014
	s_lshr_b32 s3, ttmp7, 16
	s_add_co_i32 s2, s2, 1
	s_bfe_u32 s13, ttmp6, 0x40010
	s_mul_i32 s2, s3, s2
	s_bfe_u32 s12, ttmp6, 0x40008
	s_and_b32 s14, ttmp7, 0xffff
	s_add_co_i32 s13, s13, 1
	s_bfe_u32 s15, ttmp6, 0x4000c
	s_add_co_i32 s2, s12, s2
	s_mul_i32 s12, s14, s13
	s_bfe_u32 s13, ttmp6, 0x40004
	s_add_co_i32 s15, s15, 1
	s_add_co_i32 s13, s13, s12
	s_and_b32 s12, ttmp6, 15
	s_mul_i32 s15, ttmp9, s15
	s_getreg_b32 s20, hwreg(HW_REG_IB_STS2, 6, 4)
	s_add_co_i32 s12, s12, s15
	s_load_b128 s[16:19], s[0:1], 0x3c
	s_cmp_eq_u32 s20, 0
	s_cselect_b32 s12, ttmp9, s12
	s_cselect_b32 s13, s14, s13
	s_wait_kmcnt 0x0
	s_mul_hi_u32 s7, s7, s12
	s_cselect_b32 s14, s3, s2
	s_add_co_i32 s2, s12, s7
	s_delay_alu instid0(SALU_CYCLE_1) | instskip(NEXT) | instid1(SALU_CYCLE_1)
	s_lshr_b32 s7, s2, s8
	s_mul_i32 s2, s7, s9
	s_delay_alu instid0(SALU_CYCLE_1) | instskip(NEXT) | instid1(SALU_CYCLE_1)
	s_sub_co_i32 s8, s12, s2
	s_mul_hi_u32 s2, s8, s10
	s_delay_alu instid0(SALU_CYCLE_1) | instskip(SKIP_2) | instid1(SALU_CYCLE_1)
	s_add_co_i32 s9, s8, s2
	s_load_b64 s[2:3], s[0:1], 0x10
	s_lshr_b32 s15, s9, s11
	s_mul_i32 s9, s15, s16
	s_delay_alu instid0(SALU_CYCLE_1) | instskip(NEXT) | instid1(SALU_CYCLE_1)
	s_sub_co_i32 s8, s8, s9
	s_mul_hi_u32 s9, s8, s17
	s_delay_alu instid0(SALU_CYCLE_1) | instskip(NEXT) | instid1(SALU_CYCLE_1)
	s_add_co_i32 s9, s8, s9
	s_lshr_b32 s16, s9, s18
	s_delay_alu instid0(SALU_CYCLE_1) | instskip(NEXT) | instid1(SALU_CYCLE_1)
	s_mul_i32 s9, s16, s19
	s_sub_co_i32 s17, s8, s9
	s_delay_alu instid0(SALU_CYCLE_1) | instskip(NEXT) | instid1(SALU_CYCLE_1)
	s_lshl_b32 s8, s17, 4
	s_add_co_i32 s8, s8, s13
	s_wait_kmcnt 0x0
	s_cmp_lt_i32 s8, s2
	s_cselect_b32 s8, -1, 0
	s_add_co_i32 s9, s16, s14
	s_delay_alu instid0(SALU_CYCLE_1) | instskip(SKIP_1) | instid1(SALU_CYCLE_1)
	s_cmp_lt_i32 s9, s5
	s_cselect_b32 s9, -1, 0
	s_and_b32 s8, s8, s9
	s_delay_alu instid0(SALU_CYCLE_1)
	s_and_not1_b32 vcc_lo, exec_lo, s8
	s_cbranch_vccnz .LBB47_6
; %bb.1:
	s_mul_i32 s2, s7, s2
	s_load_b128 s[8:11], s[0:1], 0x0
	s_wait_xcnt 0x0
	s_add_co_i32 s0, s2, s13
	s_mul_i32 s15, s15, s5
	s_mul_i32 s0, s0, s3
	;; [unrolled: 1-line block ×3, first 2 shown]
	s_add_co_i32 s0, s0, s14
	s_lshl_b32 s1, s1, 12
	s_add_co_i32 s0, s0, s15
	s_mul_i32 s7, s6, s12
	s_add_co_i32 s0, s0, s16
	s_add_co_i32 s5, s7, s6
	s_lshl_b32 s0, s0, 8
	s_add_co_i32 s13, s13, s14
	s_add_co_i32 s1, s1, s0
	s_lshl_b32 s0, s5, 4
	v_or_b32_e32 v4, s1, v0
	s_add_co_i32 s0, s13, s0
	s_add_co_i32 s2, s5, -2
	s_add_co_i32 s0, s0, -16
	s_delay_alu instid0(SALU_CYCLE_1)
	s_ashr_i32 s1, s0, 31
	s_wait_kmcnt 0x0
	global_load_b32 v3, v4, s[8:9] scale_offset
	s_lshl_b64 s[0:1], s[0:1], 3
	v_ashrrev_i32_e32 v5, 31, v4
	s_add_nc_u64 s[0:1], s[10:11], s[0:1]
	s_cmp_lt_i32 s2, s7
	s_load_b32 s14, s[0:1], 0x4
	s_cbranch_scc1 .LBB47_4
; %bb.2:
	s_wait_xcnt 0x0
	s_load_b32 s0, s[0:1], 0x0
	s_add_co_i32 s12, s12, 1
	s_lshl_b32 s3, s13, 8
	s_wait_xcnt 0x0
	s_mul_i32 s1, s6, s12
	s_lshl_b32 s2, s4, 6
	s_lshl_b32 s6, s1, 12
	;; [unrolled: 1-line block ×3, first 2 shown]
	s_add_co_i32 s6, s3, s6
	s_ashr_i32 s3, s2, 31
	s_wait_kmcnt 0x0
	v_dual_mov_b32 v2, s14 :: v_dual_bitop2_b32 v0, s6, v0 bitop3:0x54
	s_add_co_i32 s1, s13, s1
	s_lshl_b32 s4, s4, 4
	s_lshl_b64 s[2:3], s[2:3], 2
	s_delay_alu instid0(VALU_DEP_1)
	v_add_nc_u32_e32 v0, 0xffffe000, v0
	s_add_co_i32 s4, s1, s4
	s_add_nc_u64 s[2:3], s[10:11], s[2:3]
	s_add_co_i32 s1, s5, -1
	s_sub_co_i32 s4, s4, 32
.LBB47_3:                               ; =>This Inner Loop Header: Depth=1
	global_load_b32 v7, v0, s[2:3] scale_offset
	s_ashr_i32 s5, s4, 31
	v_max_num_f32_e64 v1, s0, s0
	s_lshl_b64 s[12:13], s[4:5], 3
	s_delay_alu instid0(SALU_CYCLE_1) | instskip(SKIP_1) | instid1(VALU_DEP_1)
	s_add_nc_u64 s[12:13], s[10:11], s[12:13]
	s_load_b64 s[12:13], s[12:13], 0x0
	v_readfirstlane_b32 s5, v1
	v_add_nc_u32_e32 v0, 0xfffff000, v0
	s_wait_kmcnt 0x0
	v_max_num_f32_e64 v1, s12, s12
	s_delay_alu instid0(VALU_DEP_1) | instskip(SKIP_1) | instid1(SALU_CYCLE_3)
	v_readfirstlane_b32 s6, v1
	s_max_num_f32 s5, s5, s6
	s_sub_f32 s0, s0, s5
	s_sub_f32 s6, s12, s5
	s_delay_alu instid0(SALU_CYCLE_2) | instskip(NEXT) | instid1(SALU_CYCLE_2)
	s_mul_f32 s12, s0, 0x3fb8aa3b
	s_mul_f32 s14, s6, 0x3fb8aa3b
	s_delay_alu instid0(SALU_CYCLE_2)
	s_xor_b32 s15, s12, 0x80000000
	s_rndne_f32 s16, s12
	s_fmamk_f32 s15, s0, 0x3fb8aa3b, s15
	s_cmp_nlt_f32 s0, 0xc2ce8ed0
	s_rndne_f32 s17, s14
	s_sub_f32 s12, s12, s16
	s_fmamk_f32 s15, s0, 0x32a5705f, s15
	s_cselect_b32 vcc_lo, -1, 0
	s_cmp_ngt_f32 s0, 0x42b17218
	s_delay_alu instid0(SALU_CYCLE_1) | instskip(SKIP_2) | instid1(SALU_CYCLE_1)
	s_add_f32 s12, s12, s15
	s_cvt_i32_f32 s15, s16
	s_sub_f32 s16, s14, s17
	v_s_exp_f32 s12, s12
	v_nop
	s_delay_alu instid0(TRANS32_DEP_1) | instskip(SKIP_1) | instid1(VALU_DEP_1)
	v_ldexp_f32 v1, s12, s15
	s_cvt_i32_f32 s12, s17
	v_cndmask_b32_e32 v1, 0, v1, vcc_lo
	s_cselect_b32 vcc_lo, -1, 0
	s_cmp_ge_f32 s0, 0xc1a00000
	s_delay_alu instid0(VALU_DEP_1)
	v_cndmask_b32_e32 v1, 0x7f800000, v1, vcc_lo
	s_cselect_b32 vcc_lo, -1, 0
	s_xor_b32 s0, s14, 0x80000000
	s_cmp_nlt_f32 s6, 0xc2ce8ed0
	s_fmamk_f32 s0, s6, 0x3fb8aa3b, s0
	v_cndmask_b32_e32 v10, 0, v1, vcc_lo
	s_delay_alu instid0(SALU_CYCLE_2) | instskip(NEXT) | instid1(SALU_CYCLE_3)
	s_fmamk_f32 s0, s6, 0x32a5705f, s0
	s_add_f32 s0, s16, s0
	s_delay_alu instid0(SALU_CYCLE_3) | instskip(SKIP_1) | instid1(TRANS32_DEP_1)
	v_s_exp_f32 s0, s0
	v_nop
	v_ldexp_f32 v6, s0, s12
	s_cselect_b32 s0, -1, 0
	s_cmp_ngt_f32 s6, 0x42b17218
	s_delay_alu instid0(VALU_DEP_1) | instskip(SKIP_2) | instid1(VALU_DEP_1)
	v_cndmask_b32_e64 v6, 0, v6, s0
	s_cselect_b32 s0, -1, 0
	s_cmp_ge_f32 s6, 0xc1a00000
	v_cndmask_b32_e64 v8, 0x7f800000, v6, s0
	s_cselect_b32 s0, -1, 0
	v_mov_b32_e32 v6, s13
	s_add_co_i32 s1, s1, -1
	s_add_co_i32 s4, s4, -16
	v_cndmask_b32_e64 v8, 0, v8, s0
	s_cmp_le_i32 s1, s7
	s_mov_b32 s0, s5
	s_wait_loadcnt 0x0
	s_delay_alu instid0(VALU_DEP_1) | instskip(NEXT) | instid1(VALU_DEP_1)
	v_pk_mul_f32 v[6:7], v[6:7], v[8:9] op_sel_hi:[1,0]
	v_pk_fma_f32 v[2:3], v[2:3], v[10:11], v[6:7] op_sel_hi:[1,0,1]
	s_cbranch_scc0 .LBB47_3
	s_branch .LBB47_5
.LBB47_4:
	s_wait_kmcnt 0x0
	v_mov_b32_e32 v2, s14
.LBB47_5:
	v_lshl_add_u64 v[0:1], v[4:5], 2, s[8:9]
	s_wait_loadcnt 0x0
	s_delay_alu instid0(VALU_DEP_2) | instskip(NEXT) | instid1(VALU_DEP_1)
	v_div_scale_f32 v4, null, v2, v2, v3
	v_rcp_f32_e32 v5, v4
	v_nop
	s_delay_alu instid0(TRANS32_DEP_1) | instskip(NEXT) | instid1(VALU_DEP_1)
	v_fma_f32 v6, -v4, v5, 1.0
	v_fmac_f32_e32 v5, v6, v5
	v_div_scale_f32 v6, vcc_lo, v3, v2, v3
	s_delay_alu instid0(VALU_DEP_1) | instskip(NEXT) | instid1(VALU_DEP_1)
	v_mul_f32_e32 v7, v6, v5
	v_fma_f32 v8, -v4, v7, v6
	s_delay_alu instid0(VALU_DEP_1) | instskip(NEXT) | instid1(VALU_DEP_1)
	v_fmac_f32_e32 v7, v8, v5
	v_fma_f32 v4, -v4, v7, v6
	s_delay_alu instid0(VALU_DEP_1) | instskip(NEXT) | instid1(VALU_DEP_1)
	v_div_fmas_f32 v4, v4, v5, v7
	v_div_fixup_f32 v2, v4, v2, v3
	global_store_b32 v[0:1], v2, off
.LBB47_6:
	s_endpgm
	.section	.rodata,"a",@progbits
	.p2align	6, 0x0
	.amdhsa_kernel _ZL33flash_attn_stream_k_fixup_uniformILi256ELi16ELi1EEvPfPK15HIP_vector_typeIfLj2EEiiiiiiS1_IjLj3EES5_S5_
		.amdhsa_group_segment_fixed_size 0
		.amdhsa_private_segment_fixed_size 0
		.amdhsa_kernarg_size 76
		.amdhsa_user_sgpr_count 2
		.amdhsa_user_sgpr_dispatch_ptr 0
		.amdhsa_user_sgpr_queue_ptr 0
		.amdhsa_user_sgpr_kernarg_segment_ptr 1
		.amdhsa_user_sgpr_dispatch_id 0
		.amdhsa_user_sgpr_kernarg_preload_length 0
		.amdhsa_user_sgpr_kernarg_preload_offset 0
		.amdhsa_user_sgpr_private_segment_size 0
		.amdhsa_wavefront_size32 1
		.amdhsa_uses_dynamic_stack 0
		.amdhsa_enable_private_segment 0
		.amdhsa_system_sgpr_workgroup_id_x 1
		.amdhsa_system_sgpr_workgroup_id_y 1
		.amdhsa_system_sgpr_workgroup_id_z 1
		.amdhsa_system_sgpr_workgroup_info 0
		.amdhsa_system_vgpr_workitem_id 0
		.amdhsa_next_free_vgpr 12
		.amdhsa_next_free_sgpr 21
		.amdhsa_named_barrier_count 0
		.amdhsa_reserve_vcc 1
		.amdhsa_float_round_mode_32 0
		.amdhsa_float_round_mode_16_64 0
		.amdhsa_float_denorm_mode_32 3
		.amdhsa_float_denorm_mode_16_64 3
		.amdhsa_fp16_overflow 0
		.amdhsa_memory_ordered 1
		.amdhsa_forward_progress 1
		.amdhsa_inst_pref_size 9
		.amdhsa_round_robin_scheduling 0
		.amdhsa_exception_fp_ieee_invalid_op 0
		.amdhsa_exception_fp_denorm_src 0
		.amdhsa_exception_fp_ieee_div_zero 0
		.amdhsa_exception_fp_ieee_overflow 0
		.amdhsa_exception_fp_ieee_underflow 0
		.amdhsa_exception_fp_ieee_inexact 0
		.amdhsa_exception_int_div_zero 0
	.end_amdhsa_kernel
	.section	.text._ZL33flash_attn_stream_k_fixup_uniformILi256ELi16ELi1EEvPfPK15HIP_vector_typeIfLj2EEiiiiiiS1_IjLj3EES5_S5_,"axG",@progbits,_ZL33flash_attn_stream_k_fixup_uniformILi256ELi16ELi1EEvPfPK15HIP_vector_typeIfLj2EEiiiiiiS1_IjLj3EES5_S5_,comdat
.Lfunc_end47:
	.size	_ZL33flash_attn_stream_k_fixup_uniformILi256ELi16ELi1EEvPfPK15HIP_vector_typeIfLj2EEiiiiiiS1_IjLj3EES5_S5_, .Lfunc_end47-_ZL33flash_attn_stream_k_fixup_uniformILi256ELi16ELi1EEvPfPK15HIP_vector_typeIfLj2EEiiiiiiS1_IjLj3EES5_S5_
                                        ; -- End function
	.set _ZL33flash_attn_stream_k_fixup_uniformILi256ELi16ELi1EEvPfPK15HIP_vector_typeIfLj2EEiiiiiiS1_IjLj3EES5_S5_.num_vgpr, 12
	.set _ZL33flash_attn_stream_k_fixup_uniformILi256ELi16ELi1EEvPfPK15HIP_vector_typeIfLj2EEiiiiiiS1_IjLj3EES5_S5_.num_agpr, 0
	.set _ZL33flash_attn_stream_k_fixup_uniformILi256ELi16ELi1EEvPfPK15HIP_vector_typeIfLj2EEiiiiiiS1_IjLj3EES5_S5_.numbered_sgpr, 21
	.set _ZL33flash_attn_stream_k_fixup_uniformILi256ELi16ELi1EEvPfPK15HIP_vector_typeIfLj2EEiiiiiiS1_IjLj3EES5_S5_.num_named_barrier, 0
	.set _ZL33flash_attn_stream_k_fixup_uniformILi256ELi16ELi1EEvPfPK15HIP_vector_typeIfLj2EEiiiiiiS1_IjLj3EES5_S5_.private_seg_size, 0
	.set _ZL33flash_attn_stream_k_fixup_uniformILi256ELi16ELi1EEvPfPK15HIP_vector_typeIfLj2EEiiiiiiS1_IjLj3EES5_S5_.uses_vcc, 1
	.set _ZL33flash_attn_stream_k_fixup_uniformILi256ELi16ELi1EEvPfPK15HIP_vector_typeIfLj2EEiiiiiiS1_IjLj3EES5_S5_.uses_flat_scratch, 0
	.set _ZL33flash_attn_stream_k_fixup_uniformILi256ELi16ELi1EEvPfPK15HIP_vector_typeIfLj2EEiiiiiiS1_IjLj3EES5_S5_.has_dyn_sized_stack, 0
	.set _ZL33flash_attn_stream_k_fixup_uniformILi256ELi16ELi1EEvPfPK15HIP_vector_typeIfLj2EEiiiiiiS1_IjLj3EES5_S5_.has_recursion, 0
	.set _ZL33flash_attn_stream_k_fixup_uniformILi256ELi16ELi1EEvPfPK15HIP_vector_typeIfLj2EEiiiiiiS1_IjLj3EES5_S5_.has_indirect_call, 0
	.section	.AMDGPU.csdata,"",@progbits
; Kernel info:
; codeLenInByte = 1080
; TotalNumSgprs: 23
; NumVgprs: 12
; ScratchSize: 0
; MemoryBound: 0
; FloatMode: 240
; IeeeMode: 1
; LDSByteSize: 0 bytes/workgroup (compile time only)
; SGPRBlocks: 0
; VGPRBlocks: 0
; NumSGPRsForWavesPerEU: 23
; NumVGPRsForWavesPerEU: 12
; NamedBarCnt: 0
; Occupancy: 16
; WaveLimiterHint : 0
; COMPUTE_PGM_RSRC2:SCRATCH_EN: 0
; COMPUTE_PGM_RSRC2:USER_SGPR: 2
; COMPUTE_PGM_RSRC2:TRAP_HANDLER: 0
; COMPUTE_PGM_RSRC2:TGID_X_EN: 1
; COMPUTE_PGM_RSRC2:TGID_Y_EN: 1
; COMPUTE_PGM_RSRC2:TGID_Z_EN: 1
; COMPUTE_PGM_RSRC2:TIDIG_COMP_CNT: 0
	.section	.text._ZL33flash_attn_stream_k_fixup_generalILi256ELi16ELi1EEvPfPK15HIP_vector_typeIfLj2EEiiiiS1_IjLj3EES5_S5_S5_,"axG",@progbits,_ZL33flash_attn_stream_k_fixup_generalILi256ELi16ELi1EEvPfPK15HIP_vector_typeIfLj2EEiiiiS1_IjLj3EES5_S5_S5_,comdat
	.globl	_ZL33flash_attn_stream_k_fixup_generalILi256ELi16ELi1EEvPfPK15HIP_vector_typeIfLj2EEiiiiS1_IjLj3EES5_S5_S5_ ; -- Begin function _ZL33flash_attn_stream_k_fixup_generalILi256ELi16ELi1EEvPfPK15HIP_vector_typeIfLj2EEiiiiS1_IjLj3EES5_S5_S5_
	.p2align	8
	.type	_ZL33flash_attn_stream_k_fixup_generalILi256ELi16ELi1EEvPfPK15HIP_vector_typeIfLj2EEiiiiS1_IjLj3EES5_S5_S5_,@function
_ZL33flash_attn_stream_k_fixup_generalILi256ELi16ELi1EEvPfPK15HIP_vector_typeIfLj2EEiiiiS1_IjLj3EES5_S5_S5_: ; @_ZL33flash_attn_stream_k_fixup_generalILi256ELi16ELi1EEvPfPK15HIP_vector_typeIfLj2EEiiiiS1_IjLj3EES5_S5_S5_
; %bb.0:
	s_clause 0x1
	s_load_b128 s[4:7], s[0:1], 0x10
	s_load_b32 s16, s[0:1], 0x50
	s_bfe_u32 s2, ttmp6, 0x4000c
	s_and_b32 s3, ttmp6, 15
	s_add_co_i32 s2, s2, 1
	s_getreg_b32 s15, hwreg(HW_REG_IB_STS2, 6, 4)
	s_mul_i32 s2, ttmp9, s2
	s_mov_b32 s17, 0
	s_add_co_i32 s3, s3, s2
	s_cmp_eq_u32 s15, 0
	s_cselect_b32 s2, ttmp9, s3
	s_delay_alu instid0(SALU_CYCLE_1) | instskip(SKIP_3) | instid1(SALU_CYCLE_1)
	s_ashr_i32 s3, s2, 31
	s_wait_kmcnt 0x0
	s_ashr_i32 s19, s7, 31
	s_mov_b32 s18, s7
	s_mul_u64 s[8:9], s[18:19], s[2:3]
	s_delay_alu instid0(SALU_CYCLE_1) | instskip(NEXT) | instid1(SALU_CYCLE_1)
	s_and_b64 s[10:11], s[8:9], 0xffffffff00000000
	s_cmp_lg_u64 s[10:11], 0
	s_cbranch_scc0 .LBB48_21
; %bb.1:
	s_add_nc_u64 s[10:11], s[16:17], 0
	s_mov_b32 s23, s17
	s_xor_b64 s[10:11], s[10:11], 0
	s_mov_b32 s27, s17
	s_cvt_f32_u32 s3, s10
	s_cvt_f32_u32 s7, s11
	s_sub_nc_u64 s[20:21], 0, s[10:11]
	s_delay_alu instid0(SALU_CYCLE_2) | instskip(NEXT) | instid1(SALU_CYCLE_3)
	s_fmamk_f32 s3, s7, 0x4f800000, s3
	v_s_rcp_f32 s3, s3
	s_delay_alu instid0(TRANS32_DEP_1) | instskip(NEXT) | instid1(SALU_CYCLE_3)
	s_mul_f32 s3, s3, 0x5f7ffffc
	s_mul_f32 s7, s3, 0x2f800000
	s_delay_alu instid0(SALU_CYCLE_3) | instskip(NEXT) | instid1(SALU_CYCLE_3)
	s_trunc_f32 s7, s7
	s_fmamk_f32 s3, s7, 0xcf800000, s3
	s_cvt_u32_f32 s13, s7
	s_delay_alu instid0(SALU_CYCLE_2) | instskip(NEXT) | instid1(SALU_CYCLE_3)
	s_cvt_u32_f32 s12, s3
	s_mul_u64 s[24:25], s[20:21], s[12:13]
	s_delay_alu instid0(SALU_CYCLE_1)
	s_mul_hi_u32 s29, s12, s25
	s_mul_i32 s28, s12, s25
	s_mul_hi_u32 s22, s12, s24
	s_mul_i32 s7, s13, s24
	s_add_nc_u64 s[22:23], s[22:23], s[28:29]
	s_mul_hi_u32 s3, s13, s24
	s_mul_hi_u32 s14, s13, s25
	s_add_co_u32 s7, s22, s7
	s_add_co_ci_u32 s26, s23, s3
	s_mul_i32 s24, s13, s25
	s_add_co_ci_u32 s25, s14, 0
	s_delay_alu instid0(SALU_CYCLE_1) | instskip(SKIP_3) | instid1(SALU_CYCLE_1)
	s_add_nc_u64 s[22:23], s[26:27], s[24:25]
	s_mov_b32 s25, s17
	s_add_co_u32 s12, s12, s22
	s_cselect_b32 s3, -1, 0
	s_cmp_lg_u32 s3, 0
	s_add_co_ci_u32 s13, s13, s23
	s_mov_b32 s23, s17
	s_mul_u64 s[20:21], s[20:21], s[12:13]
	s_delay_alu instid0(SALU_CYCLE_1)
	s_mul_hi_u32 s27, s12, s21
	s_mul_i32 s26, s12, s21
	s_mul_hi_u32 s22, s12, s20
	s_mul_i32 s7, s13, s20
	s_add_nc_u64 s[22:23], s[22:23], s[26:27]
	s_mul_hi_u32 s3, s13, s20
	s_mul_hi_u32 s14, s13, s21
	s_add_co_u32 s7, s22, s7
	s_add_co_ci_u32 s24, s23, s3
	s_mul_i32 s20, s13, s21
	s_add_co_ci_u32 s21, s14, 0
	s_mov_b32 s23, s17
	s_add_nc_u64 s[20:21], s[24:25], s[20:21]
	s_delay_alu instid0(SALU_CYCLE_1) | instskip(SKIP_1) | instid1(SALU_CYCLE_1)
	s_add_co_u32 s3, s12, s20
	s_cselect_b32 s7, -1, 0
	s_cmp_lg_u32 s7, 0
	s_add_co_ci_u32 s7, s13, s21
	s_ashr_i32 s12, s9, 31
	s_delay_alu instid0(SALU_CYCLE_1) | instskip(NEXT) | instid1(SALU_CYCLE_1)
	s_mov_b32 s13, s12
	s_add_nc_u64 s[20:21], s[8:9], s[12:13]
	s_delay_alu instid0(SALU_CYCLE_1) | instskip(NEXT) | instid1(SALU_CYCLE_1)
	s_xor_b64 s[20:21], s[20:21], s[12:13]
	s_mul_hi_u32 s27, s20, s7
	s_mul_i32 s26, s20, s7
	s_mul_hi_u32 s22, s20, s3
	s_mul_hi_u32 s14, s21, s3
	s_mul_i32 s3, s21, s3
	s_add_nc_u64 s[22:23], s[22:23], s[26:27]
	s_mul_hi_u32 s9, s21, s7
	s_add_co_u32 s3, s22, s3
	s_add_co_ci_u32 s24, s23, s14
	s_mul_i32 s26, s21, s7
	s_add_co_ci_u32 s27, s9, 0
	s_delay_alu instid0(SALU_CYCLE_1) | instskip(NEXT) | instid1(SALU_CYCLE_1)
	s_add_nc_u64 s[22:23], s[24:25], s[26:27]
	s_and_b64 s[24:25], s[22:23], 0xffffffff00000000
	s_delay_alu instid0(SALU_CYCLE_1) | instskip(NEXT) | instid1(SALU_CYCLE_1)
	s_or_b32 s24, s24, s22
	s_mul_u64 s[22:23], s[10:11], s[24:25]
	s_add_nc_u64 s[26:27], s[24:25], 1
	s_sub_co_u32 s3, s20, s22
	s_cselect_b32 s7, -1, 0
	s_sub_co_i32 s9, s21, s23
	s_cmp_lg_u32 s7, 0
	s_add_nc_u64 s[28:29], s[24:25], 2
	s_sub_co_ci_u32 s9, s9, s11
	s_sub_co_u32 s14, s3, s10
	s_cselect_b32 s20, -1, 0
	s_delay_alu instid0(SALU_CYCLE_1) | instskip(SKIP_1) | instid1(SALU_CYCLE_1)
	s_cmp_lg_u32 s20, 0
	s_sub_co_ci_u32 s9, s9, 0
	s_cmp_ge_u32 s9, s11
	s_cselect_b32 s20, -1, 0
	s_cmp_ge_u32 s14, s10
	s_cselect_b32 s14, -1, 0
	s_cmp_eq_u32 s9, s11
	s_cselect_b32 s9, s14, s20
	s_delay_alu instid0(SALU_CYCLE_1) | instskip(SKIP_4) | instid1(SALU_CYCLE_1)
	s_cmp_lg_u32 s9, 0
	s_cselect_b32 s9, s28, s26
	s_cselect_b32 s14, s29, s27
	s_cmp_lg_u32 s7, 0
	s_sub_co_ci_u32 s7, s21, s23
	s_cmp_ge_u32 s7, s11
	s_cselect_b32 s20, -1, 0
	s_cmp_ge_u32 s3, s10
	s_cselect_b32 s3, -1, 0
	s_cmp_eq_u32 s7, s11
	s_cselect_b32 s3, s3, s20
	s_delay_alu instid0(SALU_CYCLE_1) | instskip(SKIP_4) | instid1(SALU_CYCLE_1)
	s_cmp_lg_u32 s3, 0
	s_mov_b32 s3, s17
	s_cselect_b32 s11, s14, s25
	s_cselect_b32 s10, s9, s24
	s_xor_b64 s[12:13], s[12:13], 0
	s_xor_b64 s[10:11], s[10:11], s[12:13]
	s_delay_alu instid0(SALU_CYCLE_1)
	s_sub_nc_u64 s[20:21], s[10:11], s[12:13]
	s_and_not1_b32 vcc_lo, exec_lo, s3
	s_cbranch_vccnz .LBB48_3
.LBB48_2:
	v_cvt_f32_u32_e32 v1, s16
	s_sub_co_i32 s7, 0, s16
	s_mov_b32 s21, 0
	s_delay_alu instid0(VALU_DEP_1) | instskip(SKIP_1) | instid1(TRANS32_DEP_1)
	v_rcp_iflag_f32_e32 v1, v1
	v_nop
	v_mul_f32_e32 v1, 0x4f7ffffe, v1
	s_delay_alu instid0(VALU_DEP_1) | instskip(NEXT) | instid1(VALU_DEP_1)
	v_cvt_u32_f32_e32 v1, v1
	v_readfirstlane_b32 s3, v1
	s_mul_i32 s7, s7, s3
	s_delay_alu instid0(SALU_CYCLE_1) | instskip(NEXT) | instid1(SALU_CYCLE_1)
	s_mul_hi_u32 s7, s3, s7
	s_add_co_i32 s3, s3, s7
	s_delay_alu instid0(SALU_CYCLE_1) | instskip(NEXT) | instid1(SALU_CYCLE_1)
	s_mul_hi_u32 s3, s8, s3
	s_mul_i32 s7, s3, s16
	s_delay_alu instid0(SALU_CYCLE_1)
	s_sub_co_i32 s7, s8, s7
	s_add_co_i32 s8, s3, 1
	s_sub_co_i32 s9, s7, s16
	s_cmp_ge_u32 s7, s16
	s_cselect_b32 s3, s8, s3
	s_cselect_b32 s7, s9, s7
	s_add_co_i32 s8, s3, 1
	s_cmp_ge_u32 s7, s16
	s_cselect_b32 s20, s8, s3
.LBB48_3:
	s_add_co_i32 s8, s2, 1
	s_delay_alu instid0(SALU_CYCLE_1) | instskip(NEXT) | instid1(SALU_CYCLE_1)
	s_ashr_i32 s9, s8, 31
	s_mul_u64 s[8:9], s[18:19], s[8:9]
	s_delay_alu instid0(SALU_CYCLE_1) | instskip(NEXT) | instid1(SALU_CYCLE_1)
	s_and_b64 s[10:11], s[8:9], 0xffffffff00000000
	s_cmp_lg_u64 s[10:11], 0
	s_cbranch_scc0 .LBB48_22
; %bb.4:
	s_add_nc_u64 s[10:11], s[16:17], 0
	s_delay_alu instid0(SALU_CYCLE_1) | instskip(SKIP_4) | instid1(SALU_CYCLE_2)
	s_xor_b64 s[12:13], s[10:11], 0
	s_mov_b32 s11, 0
	s_cvt_f32_u32 s3, s12
	s_cvt_f32_u32 s7, s13
	s_sub_nc_u64 s[24:25], 0, s[12:13]
	s_fmamk_f32 s3, s7, 0x4f800000, s3
	s_delay_alu instid0(SALU_CYCLE_3) | instskip(NEXT) | instid1(TRANS32_DEP_1)
	v_s_rcp_f32 s3, s3
	s_mul_f32 s3, s3, 0x5f7ffffc
	s_delay_alu instid0(SALU_CYCLE_3) | instskip(NEXT) | instid1(SALU_CYCLE_3)
	s_mul_f32 s7, s3, 0x2f800000
	s_trunc_f32 s7, s7
	s_delay_alu instid0(SALU_CYCLE_3) | instskip(SKIP_1) | instid1(SALU_CYCLE_2)
	s_fmamk_f32 s3, s7, 0xcf800000, s3
	s_cvt_u32_f32 s23, s7
	s_cvt_u32_f32 s22, s3
	s_delay_alu instid0(SALU_CYCLE_3) | instskip(NEXT) | instid1(SALU_CYCLE_1)
	s_mul_u64 s[26:27], s[24:25], s[22:23]
	s_mul_hi_u32 s29, s22, s27
	s_mul_i32 s28, s22, s27
	s_mul_hi_u32 s10, s22, s26
	s_mul_i32 s7, s23, s26
	s_add_nc_u64 s[28:29], s[10:11], s[28:29]
	s_mul_hi_u32 s3, s23, s26
	s_mul_hi_u32 s14, s23, s27
	s_add_co_u32 s7, s28, s7
	s_add_co_ci_u32 s10, s29, s3
	s_mul_i32 s26, s23, s27
	s_add_co_ci_u32 s27, s14, 0
	s_delay_alu instid0(SALU_CYCLE_1) | instskip(NEXT) | instid1(SALU_CYCLE_1)
	s_add_nc_u64 s[26:27], s[10:11], s[26:27]
	s_add_co_u32 s22, s22, s26
	s_cselect_b32 s3, -1, 0
	s_delay_alu instid0(SALU_CYCLE_1) | instskip(SKIP_1) | instid1(SALU_CYCLE_1)
	s_cmp_lg_u32 s3, 0
	s_add_co_ci_u32 s23, s23, s27
	s_mul_u64 s[24:25], s[24:25], s[22:23]
	s_delay_alu instid0(SALU_CYCLE_1)
	s_mul_hi_u32 s27, s22, s25
	s_mul_i32 s26, s22, s25
	s_mul_hi_u32 s10, s22, s24
	s_mul_i32 s7, s23, s24
	s_add_nc_u64 s[26:27], s[10:11], s[26:27]
	s_mul_hi_u32 s3, s23, s24
	s_mul_hi_u32 s14, s23, s25
	s_add_co_u32 s7, s26, s7
	s_add_co_ci_u32 s10, s27, s3
	s_mul_i32 s24, s23, s25
	s_add_co_ci_u32 s25, s14, 0
	s_delay_alu instid0(SALU_CYCLE_1) | instskip(NEXT) | instid1(SALU_CYCLE_1)
	s_add_nc_u64 s[24:25], s[10:11], s[24:25]
	s_add_co_u32 s3, s22, s24
	s_cselect_b32 s7, -1, 0
	s_delay_alu instid0(SALU_CYCLE_1) | instskip(SKIP_2) | instid1(SALU_CYCLE_1)
	s_cmp_lg_u32 s7, 0
	s_add_co_ci_u32 s7, s23, s25
	s_ashr_i32 s22, s9, 31
	s_mov_b32 s23, s22
	s_delay_alu instid0(SALU_CYCLE_1) | instskip(NEXT) | instid1(SALU_CYCLE_1)
	s_add_nc_u64 s[24:25], s[8:9], s[22:23]
	s_xor_b64 s[24:25], s[24:25], s[22:23]
	s_delay_alu instid0(SALU_CYCLE_1)
	s_mul_hi_u32 s27, s24, s7
	s_mul_i32 s26, s24, s7
	s_mul_hi_u32 s10, s24, s3
	s_mul_hi_u32 s14, s25, s3
	s_mul_i32 s3, s25, s3
	s_add_nc_u64 s[26:27], s[10:11], s[26:27]
	s_mul_hi_u32 s9, s25, s7
	s_add_co_u32 s3, s26, s3
	s_add_co_ci_u32 s10, s27, s14
	s_mul_i32 s28, s25, s7
	s_add_co_ci_u32 s29, s9, 0
	s_delay_alu instid0(SALU_CYCLE_1) | instskip(NEXT) | instid1(SALU_CYCLE_1)
	s_add_nc_u64 s[26:27], s[10:11], s[28:29]
	s_and_b64 s[28:29], s[26:27], 0xffffffff00000000
	s_delay_alu instid0(SALU_CYCLE_1) | instskip(NEXT) | instid1(SALU_CYCLE_1)
	s_or_b32 s28, s28, s26
	s_mul_u64 s[26:27], s[12:13], s[28:29]
	s_add_nc_u64 s[30:31], s[28:29], 1
	s_sub_co_u32 s3, s24, s26
	s_cselect_b32 s7, -1, 0
	s_sub_co_i32 s9, s25, s27
	s_cmp_lg_u32 s7, 0
	s_add_nc_u64 s[34:35], s[28:29], 2
	s_sub_co_ci_u32 s9, s9, s13
	s_sub_co_u32 s10, s3, s12
	s_cselect_b32 s14, -1, 0
	s_delay_alu instid0(SALU_CYCLE_1) | instskip(SKIP_1) | instid1(SALU_CYCLE_1)
	s_cmp_lg_u32 s14, 0
	s_sub_co_ci_u32 s9, s9, 0
	s_cmp_ge_u32 s9, s13
	s_cselect_b32 s14, -1, 0
	s_cmp_ge_u32 s10, s12
	s_cselect_b32 s10, -1, 0
	s_cmp_eq_u32 s9, s13
	s_cselect_b32 s9, s10, s14
	s_delay_alu instid0(SALU_CYCLE_1) | instskip(SKIP_4) | instid1(SALU_CYCLE_1)
	s_cmp_lg_u32 s9, 0
	s_cselect_b32 s9, s34, s30
	s_cselect_b32 s10, s35, s31
	s_cmp_lg_u32 s7, 0
	s_sub_co_ci_u32 s7, s25, s27
	s_cmp_ge_u32 s7, s13
	s_cselect_b32 s14, -1, 0
	s_cmp_ge_u32 s3, s12
	s_cselect_b32 s3, -1, 0
	s_cmp_eq_u32 s7, s13
	s_cselect_b32 s3, s3, s14
	s_delay_alu instid0(SALU_CYCLE_1) | instskip(SKIP_3) | instid1(SALU_CYCLE_1)
	s_cmp_lg_u32 s3, 0
	s_cselect_b32 s13, s10, s29
	s_cselect_b32 s12, s9, s28
	s_xor_b64 s[22:23], s[22:23], 0
	s_xor_b64 s[12:13], s[12:13], s[22:23]
	s_delay_alu instid0(SALU_CYCLE_1)
	s_sub_nc_u64 s[24:25], s[12:13], s[22:23]
	s_load_b96 s[12:14], s[0:1], 0x44
	s_cbranch_execnz .LBB48_6
.LBB48_5:
	v_cvt_f32_u32_e32 v1, s16
	s_sub_co_i32 s7, 0, s16
	s_delay_alu instid0(VALU_DEP_1) | instskip(SKIP_1) | instid1(TRANS32_DEP_1)
	v_rcp_iflag_f32_e32 v1, v1
	v_nop
	v_mul_f32_e32 v1, 0x4f7ffffe, v1
	s_delay_alu instid0(VALU_DEP_1) | instskip(NEXT) | instid1(VALU_DEP_1)
	v_cvt_u32_f32_e32 v1, v1
	v_readfirstlane_b32 s3, v1
	s_mul_i32 s7, s7, s3
	s_delay_alu instid0(SALU_CYCLE_1) | instskip(NEXT) | instid1(SALU_CYCLE_1)
	s_mul_hi_u32 s7, s3, s7
	s_add_co_i32 s3, s3, s7
	s_delay_alu instid0(SALU_CYCLE_1) | instskip(NEXT) | instid1(SALU_CYCLE_1)
	s_mul_hi_u32 s3, s8, s3
	s_mul_i32 s7, s3, s16
	s_delay_alu instid0(SALU_CYCLE_1)
	s_sub_co_i32 s7, s8, s7
	s_add_co_i32 s8, s3, 1
	s_sub_co_i32 s9, s7, s16
	s_cmp_ge_u32 s7, s16
	s_cselect_b32 s3, s8, s3
	s_cselect_b32 s7, s9, s7
	s_add_co_i32 s8, s3, 1
	s_cmp_ge_u32 s7, s16
	s_cselect_b32 s24, s8, s3
.LBB48_6:
	s_delay_alu instid0(SALU_CYCLE_1)
	s_cmp_eq_u32 s20, s24
	s_mov_b64 s[8:9], 0xffffffff
	s_cselect_b32 s3, -1, 0
	s_and_b64 s[8:9], s[20:21], s[8:9]
	s_mov_b32 s23, 0
	s_wait_kmcnt 0x0
	s_mov_b32 s22, s12
	s_mov_b32 s25, s23
	s_mul_u64 s[10:11], s[8:9], s[22:23]
	s_delay_alu instid0(SALU_CYCLE_1) | instskip(SKIP_2) | instid1(SALU_CYCLE_1)
	s_add_co_i32 s7, s11, s20
	s_mul_u64 s[10:11], s[24:25], s[22:23]
	s_lshr_b32 s12, s7, s13
	s_mul_i32 s7, s12, s14
	s_delay_alu instid0(SALU_CYCLE_1) | instskip(SKIP_2) | instid1(SALU_CYCLE_1)
	s_cmp_eq_u32 s7, s20
	s_cselect_b32 s7, -1, 0
	s_add_co_i32 s10, s11, s24
	s_lshr_b32 s10, s10, s13
	s_delay_alu instid0(SALU_CYCLE_1)
	s_cmp_eq_u32 s12, s10
	s_mul_i32 s10, s10, s14
	s_cselect_b32 s11, -1, 0
	s_cmp_lg_u32 s10, s24
	s_cselect_b32 s10, -1, 0
	s_or_b32 s3, s3, s7
	s_and_b32 s10, s11, s10
	s_delay_alu instid0(SALU_CYCLE_1) | instskip(NEXT) | instid1(SALU_CYCLE_1)
	s_or_b32 s3, s3, s10
	s_and_b32 vcc_lo, exec_lo, s3
	s_cbranch_vccnz .LBB48_24
; %bb.7:
	s_load_b256 s[24:31], s[0:1], 0x20
	s_bfe_u32 s7, ttmp6, 0x40014
	s_bfe_u32 s33, ttmp6, 0x40010
	s_lshr_b32 s3, ttmp7, 16
	s_add_co_i32 s7, s7, 1
	s_and_b32 s21, ttmp7, 0xffff
	s_add_co_i32 s33, s33, 1
	s_bfe_u32 s10, ttmp6, 0x40008
	s_mul_i32 s7, s3, s7
	s_bfe_u32 s34, ttmp6, 0x40004
	s_mul_i32 s33, s21, s33
	s_mov_b32 s11, s23
	s_add_co_i32 s7, s10, s7
	s_add_co_i32 s34, s34, s33
	s_cmp_eq_u32 s15, 0
	s_cselect_b32 s15, s21, s34
	s_cselect_b32 s3, s3, s7
	s_wait_kmcnt 0x0
	s_mov_b32 s10, s24
	s_delay_alu instid0(SALU_CYCLE_1) | instskip(SKIP_2) | instid1(SALU_CYCLE_1)
	s_mul_u64 s[8:9], s[8:9], s[10:11]
	s_load_b32 s8, s[0:1], 0x40
	s_add_co_i32 s7, s9, s20
	s_lshr_b32 s7, s7, s25
	s_delay_alu instid0(SALU_CYCLE_1) | instskip(NEXT) | instid1(SALU_CYCLE_1)
	s_mul_i32 s9, s7, s26
	s_sub_co_i32 s9, s20, s9
	s_delay_alu instid0(SALU_CYCLE_1) | instskip(NEXT) | instid1(SALU_CYCLE_1)
	s_mul_hi_u32 s10, s9, s27
	s_add_co_i32 s10, s9, s10
	s_delay_alu instid0(SALU_CYCLE_1) | instskip(NEXT) | instid1(SALU_CYCLE_1)
	s_lshr_b32 s21, s10, s28
	s_mul_i32 s10, s21, s29
	s_delay_alu instid0(SALU_CYCLE_1) | instskip(NEXT) | instid1(SALU_CYCLE_1)
	s_sub_co_i32 s10, s9, s10
	s_mul_hi_u32 s9, s10, s30
	s_delay_alu instid0(SALU_CYCLE_1) | instskip(NEXT) | instid1(SALU_CYCLE_1)
	s_add_co_i32 s9, s10, s9
	s_lshr_b32 s24, s9, s31
	s_mov_b32 s9, s23
	s_wait_kmcnt 0x0
	s_mul_i32 s8, s24, s8
	s_delay_alu instid0(SALU_CYCLE_1) | instskip(NEXT) | instid1(SALU_CYCLE_1)
	s_sub_co_i32 s8, s10, s8
	s_mul_u64 s[10:11], s[8:9], s[22:23]
	s_delay_alu instid0(SALU_CYCLE_1) | instskip(NEXT) | instid1(SALU_CYCLE_1)
	s_add_co_i32 s8, s8, s11
	s_lshr_b32 s25, s8, s13
	s_delay_alu instid0(SALU_CYCLE_1) | instskip(NEXT) | instid1(SALU_CYCLE_1)
	s_lshl_b32 s8, s25, 4
	s_add_co_i32 s8, s8, s15
	s_delay_alu instid0(SALU_CYCLE_1) | instskip(SKIP_2) | instid1(SALU_CYCLE_1)
	s_cmp_lt_i32 s8, s4
	s_cselect_b32 s8, -1, 0
	s_add_co_i32 s9, s24, s3
	s_cmp_lt_i32 s9, s6
	s_cselect_b32 s9, -1, 0
	s_delay_alu instid0(SALU_CYCLE_1) | instskip(NEXT) | instid1(SALU_CYCLE_1)
	s_and_b32 s8, s8, s9
	s_and_not1_b32 vcc_lo, exec_lo, s8
	s_cbranch_vccnz .LBB48_24
; %bb.8:
	s_mul_i32 s4, s7, s4
	s_load_b128 s[8:11], s[0:1], 0x0
	s_wait_xcnt 0x0
	s_add_co_i32 s0, s4, s15
	s_mul_i32 s21, s21, s6
	s_mul_i32 s0, s0, s5
	;; [unrolled: 1-line block ×3, first 2 shown]
	s_add_co_i32 s0, s0, s3
	s_lshl_b32 s1, s1, 12
	s_add_co_i32 s0, s0, s21
	s_add_co_i32 s15, s15, s3
	;; [unrolled: 1-line block ×3, first 2 shown]
	v_lshl_or_b32 v6, s15, 8, v0
	s_lshl_b32 s0, s0, 8
	v_cvt_f32_u32_e32 v4, s16
	s_add_co_i32 s1, s1, s0
	s_lshl_b32 s24, s16, 6
	v_or_b32_e32 v2, s1, v0
	s_add_nc_u64 s[0:1], s[16:17], 0
	v_rcp_iflag_f32_e32 v4, v4
	s_xor_b64 s[6:7], s[0:1], 0
	s_lshl_b32 s0, s2, 4
	s_cvt_f32_u32 s3, s6
	s_add_co_i32 s0, s0, s15
	s_cvt_f32_u32 s4, s7
	s_ashr_i32 s1, s0, 31
	s_mov_b32 s25, 0
	s_lshl_b64 s[0:1], s[0:1], 3
	s_fmamk_f32 s3, s4, 0x4f800000, s3
	s_wait_kmcnt 0x0
	s_add_nc_u64 s[0:1], s[10:11], s[0:1]
	s_add_co_i32 s36, s2, -1
	s_load_b64 s[28:29], s[0:1], 0x0
	v_s_rcp_f32 s3, s3
	s_wait_xcnt 0x0
	s_lshl_b64 s[0:1], s[24:25], 2
	s_sub_nc_u64 s[34:35], 0, s[6:7]
	s_add_nc_u64 s[26:27], s[10:11], s[0:1]
	v_mul_f32_e32 v4, 0x4f7ffffe, v4
	s_delay_alu instid0(TRANS32_DEP_1) | instskip(NEXT) | instid1(VALU_DEP_1)
	s_mul_f32 s3, s3, 0x5f7ffffc
	v_cvt_u32_f32_e32 v7, v4
	s_delay_alu instid0(SALU_CYCLE_2) | instskip(NEXT) | instid1(SALU_CYCLE_3)
	s_mul_f32 s4, s3, 0x2f800000
	s_trunc_f32 s4, s4
	s_wait_kmcnt 0x0
	v_mov_b32_e32 v0, s29
	global_load_b32 v1, v2, s[8:9] scale_offset
	v_ashrrev_i32_e32 v3, 31, v2
	s_fmamk_f32 s0, s4, 0xcf800000, s3
	s_cvt_u32_f32 s31, s4
	s_wait_xcnt 0x0
	s_delay_alu instid0(VALU_DEP_1)
	v_lshl_add_u64 v[2:3], v[2:3], 2, s[8:9]
	s_cvt_u32_f32 s30, s0
	s_mov_b64 s[8:9], 0xffffffff
.LBB48_9:                               ; =>This Inner Loop Header: Depth=1
	s_ashr_i32 s37, s36, 31
                                        ; implicit-def: $sgpr40_sgpr41
	s_delay_alu instid0(SALU_CYCLE_1) | instskip(NEXT) | instid1(SALU_CYCLE_1)
	s_mul_u64 s[0:1], s[36:37], s[18:19]
	s_and_b64 s[2:3], s[0:1], 0xffffffff00000000
	s_delay_alu instid0(SALU_CYCLE_1)
	s_cmp_lg_u64 s[2:3], 0
	s_mov_b32 s2, -1
	s_cbranch_scc0 .LBB48_11
; %bb.10:                               ;   in Loop: Header=BB48_9 Depth=1
	s_mul_u64 s[2:3], s[34:35], s[30:31]
	s_delay_alu instid0(SALU_CYCLE_1)
	s_mul_hi_u32 s5, s30, s3
	s_mul_i32 s4, s30, s3
	s_mul_hi_u32 s24, s30, s2
	s_mul_hi_u32 s17, s31, s2
	s_add_nc_u64 s[4:5], s[24:25], s[4:5]
	s_mul_i32 s2, s31, s2
	s_mul_hi_u32 s21, s31, s3
	s_add_co_u32 s2, s4, s2
	s_add_co_ci_u32 s24, s5, s17
	s_add_co_ci_u32 s5, s21, 0
	s_mul_i32 s4, s31, s3
	s_delay_alu instid0(SALU_CYCLE_1) | instskip(NEXT) | instid1(SALU_CYCLE_1)
	s_add_nc_u64 s[2:3], s[24:25], s[4:5]
	s_add_co_u32 s2, s30, s2
	s_cselect_b32 s4, -1, 0
	s_delay_alu instid0(SALU_CYCLE_1) | instskip(SKIP_1) | instid1(SALU_CYCLE_1)
	s_cmp_lg_u32 s4, 0
	s_add_co_ci_u32 s3, s31, s3
	s_mul_u64 s[4:5], s[34:35], s[2:3]
	s_delay_alu instid0(SALU_CYCLE_1)
	s_mul_hi_u32 s39, s2, s5
	s_mul_i32 s38, s2, s5
	s_mul_hi_u32 s24, s2, s4
	s_mul_hi_u32 s17, s3, s4
	s_mul_i32 s4, s3, s4
	s_add_nc_u64 s[38:39], s[24:25], s[38:39]
	s_mul_hi_u32 s21, s3, s5
	s_add_co_u32 s4, s38, s4
	s_add_co_ci_u32 s24, s39, s17
	s_mul_i32 s4, s3, s5
	s_add_co_ci_u32 s5, s21, 0
	s_delay_alu instid0(SALU_CYCLE_1) | instskip(NEXT) | instid1(SALU_CYCLE_1)
	s_add_nc_u64 s[4:5], s[24:25], s[4:5]
	s_add_co_u32 s17, s2, s4
	s_cselect_b32 s2, -1, 0
	s_delay_alu instid0(SALU_CYCLE_1) | instskip(SKIP_2) | instid1(SALU_CYCLE_1)
	s_cmp_lg_u32 s2, 0
	s_add_co_ci_u32 s21, s3, s5
	s_ashr_i32 s2, s1, 31
	s_mov_b32 s3, s2
	s_delay_alu instid0(SALU_CYCLE_1) | instskip(NEXT) | instid1(SALU_CYCLE_1)
	s_add_nc_u64 s[4:5], s[0:1], s[2:3]
	s_xor_b64 s[4:5], s[4:5], s[2:3]
	s_delay_alu instid0(SALU_CYCLE_1)
	s_mul_hi_u32 s39, s4, s21
	s_mul_i32 s38, s4, s21
	s_mul_hi_u32 s24, s4, s17
	s_mul_hi_u32 s29, s5, s17
	s_mul_i32 s17, s5, s17
	s_add_nc_u64 s[38:39], s[24:25], s[38:39]
	s_mul_hi_u32 s1, s5, s21
	s_add_co_u32 s17, s38, s17
	s_add_co_ci_u32 s24, s39, s29
	s_mul_i32 s40, s5, s21
	s_add_co_ci_u32 s41, s1, 0
	s_delay_alu instid0(SALU_CYCLE_1) | instskip(NEXT) | instid1(SALU_CYCLE_1)
	s_add_nc_u64 s[38:39], s[24:25], s[40:41]
	s_and_b64 s[40:41], s[38:39], 0xffffffff00000000
	s_delay_alu instid0(SALU_CYCLE_1) | instskip(NEXT) | instid1(SALU_CYCLE_1)
	s_or_b32 s40, s40, s38
	s_mul_u64 s[38:39], s[6:7], s[40:41]
	s_add_nc_u64 s[42:43], s[40:41], 1
	s_sub_co_u32 s1, s4, s38
	s_cselect_b32 s4, -1, 0
	s_sub_co_i32 s17, s5, s39
	s_cmp_lg_u32 s4, 0
	s_add_nc_u64 s[44:45], s[40:41], 2
	s_sub_co_ci_u32 s17, s17, s7
	s_sub_co_u32 s21, s1, s6
	s_cselect_b32 s24, -1, 0
	s_delay_alu instid0(SALU_CYCLE_1) | instskip(SKIP_1) | instid1(SALU_CYCLE_1)
	s_cmp_lg_u32 s24, 0
	s_sub_co_ci_u32 s17, s17, 0
	s_cmp_ge_u32 s17, s7
	s_cselect_b32 s24, -1, 0
	s_cmp_ge_u32 s21, s6
	s_cselect_b32 s21, -1, 0
	s_cmp_eq_u32 s17, s7
	s_cselect_b32 s17, s21, s24
	s_delay_alu instid0(SALU_CYCLE_1) | instskip(SKIP_4) | instid1(SALU_CYCLE_1)
	s_cmp_lg_u32 s17, 0
	s_cselect_b32 s17, s44, s42
	s_cselect_b32 s21, s45, s43
	s_cmp_lg_u32 s4, 0
	s_sub_co_ci_u32 s4, s5, s39
	s_cmp_ge_u32 s4, s7
	s_cselect_b32 s5, -1, 0
	s_cmp_ge_u32 s1, s6
	s_cselect_b32 s1, -1, 0
	s_cmp_eq_u32 s4, s7
	s_cselect_b32 s1, s1, s5
	s_delay_alu instid0(SALU_CYCLE_1) | instskip(SKIP_3) | instid1(SALU_CYCLE_1)
	s_cmp_lg_u32 s1, 0
	s_cselect_b32 s5, s21, s41
	s_cselect_b32 s4, s17, s40
	s_xor_b64 s[2:3], s[2:3], 0
	s_xor_b64 s[4:5], s[4:5], s[2:3]
	s_delay_alu instid0(SALU_CYCLE_1)
	s_sub_nc_u64 s[40:41], s[4:5], s[2:3]
	s_mov_b32 s2, 0
.LBB48_11:                              ;   in Loop: Header=BB48_9 Depth=1
	s_delay_alu instid0(SALU_CYCLE_1)
	s_and_not1_b32 vcc_lo, exec_lo, s2
	s_cbranch_vccnz .LBB48_13
; %bb.12:                               ;   in Loop: Header=BB48_9 Depth=1
	v_readfirstlane_b32 s1, v7
	s_sub_co_i32 s2, 0, s16
	s_delay_alu instid0(SALU_CYCLE_1) | instskip(NEXT) | instid1(SALU_CYCLE_1)
	s_mul_i32 s2, s2, s1
	s_mul_hi_u32 s2, s1, s2
	s_delay_alu instid0(SALU_CYCLE_1) | instskip(NEXT) | instid1(SALU_CYCLE_1)
	s_add_co_i32 s1, s1, s2
	s_mul_hi_u32 s1, s0, s1
	s_delay_alu instid0(SALU_CYCLE_1) | instskip(NEXT) | instid1(SALU_CYCLE_1)
	s_mul_i32 s2, s1, s16
	s_sub_co_i32 s0, s0, s2
	s_add_co_i32 s2, s1, 1
	s_sub_co_i32 s3, s0, s16
	s_cmp_ge_u32 s0, s16
	s_cselect_b32 s1, s2, s1
	s_cselect_b32 s0, s3, s0
	s_add_co_i32 s2, s1, 1
	s_cmp_ge_u32 s0, s16
	s_cselect_b32 s24, s2, s1
	s_delay_alu instid0(SALU_CYCLE_1)
	s_mov_b64 s[40:41], s[24:25]
.LBB48_13:                              ;   in Loop: Header=BB48_9 Depth=1
	s_delay_alu instid0(SALU_CYCLE_1)
	s_cmp_lg_u32 s20, s40
	s_mov_b32 s0, -1
                                        ; implicit-def: $vgpr4_vgpr5
                                        ; implicit-def: $sgpr24
                                        ; implicit-def: $sgpr17
                                        ; implicit-def: $sgpr21
                                        ; implicit-def: $sgpr29
	s_cbranch_scc0 .LBB48_18
; %bb.14:                               ;   in Loop: Header=BB48_9 Depth=1
	s_add_co_i32 s0, s36, s16
	v_max_num_f32_e64 v4, s28, s28
	s_lshl_b32 s0, s0, 4
	s_mov_b32 s29, s20
	s_add_co_i32 s0, s0, s15
	s_load_b64 s[38:39], s[10:11], s0 offset:0x0 scale_offset
	s_wait_xcnt 0x0
	v_readfirstlane_b32 s0, v4
	s_wait_kmcnt 0x0
	v_max_num_f32_e64 v5, s38, s38
	s_delay_alu instid0(VALU_DEP_1) | instskip(SKIP_1) | instid1(SALU_CYCLE_3)
	v_readfirstlane_b32 s1, v5
	s_max_num_f32 s17, s0, s1
	s_sub_f32 s33, s28, s17
	s_sub_f32 s37, s38, s17
	s_delay_alu instid0(SALU_CYCLE_2)
	s_cmp_nlt_f32 s33, 0xc2ce8ed0
	s_cselect_b32 s1, -1, 0
	s_cmp_ngt_f32 s33, 0x42b17218
	s_cselect_b32 s2, -1, 0
	s_cmp_ge_f32 s33, 0xc1a00000
	s_cselect_b32 s0, -1, 0
	s_cmp_nlt_f32 s37, 0xc2ce8ed0
	s_cselect_b32 s3, -1, 0
	s_cmp_ngt_f32 s37, 0x42b17218
	s_cselect_b32 s4, -1, 0
	s_cmp_ge_f32 s37, 0xc1a00000
	s_cselect_b32 s5, -1, 0
	s_and_b64 s[42:43], s[40:41], s[8:9]
	s_delay_alu instid0(SALU_CYCLE_1) | instskip(NEXT) | instid1(SALU_CYCLE_1)
	s_mul_u64 s[42:43], s[42:43], s[22:23]
	s_add_co_i32 s21, s43, s40
	s_delay_alu instid0(SALU_CYCLE_1) | instskip(NEXT) | instid1(SALU_CYCLE_1)
	s_lshr_b32 s21, s21, s13
	s_mul_i32 s24, s21, s14
	s_delay_alu instid0(SALU_CYCLE_1) | instskip(SKIP_3) | instid1(SALU_CYCLE_1)
	s_cmp_eq_u32 s24, s40
	s_cselect_b32 s24, -1, 0
	s_cmp_lt_u32 s21, s12
	s_cselect_b32 s21, -1, 0
	s_or_b32 s21, s21, s24
	s_mov_b32 s24, -1
	s_and_b32 vcc_lo, exec_lo, s21
	s_mov_b32 s21, s36
	s_cbranch_vccnz .LBB48_16
; %bb.15:                               ;   in Loop: Header=BB48_9 Depth=1
	s_add_co_i32 s21, s36, -1
	s_mov_b32 s24, 0
	s_mov_b32 s29, s40
.LBB48_16:                              ;   in Loop: Header=BB48_9 Depth=1
	v_lshl_add_u32 v4, s36, 12, v6
	s_mul_f32 s40, s33, 0x3fb8aa3b
	s_mul_f32 s38, s37, 0x3fb8aa3b
	s_delay_alu instid0(SALU_CYCLE_2)
	s_xor_b32 s42, s40, 0x80000000
	global_load_b32 v5, v4, s[26:27] scale_offset
	s_fmamk_f32 s42, s33, 0x3fb8aa3b, s42
	s_rndne_f32 s44, s40
	s_xor_b32 s41, s38, 0x80000000
	s_rndne_f32 s43, s38
	s_fmamk_f32 s33, s33, 0x32a5705f, s42
	s_sub_f32 s40, s40, s44
	s_fmamk_f32 s41, s37, 0x3fb8aa3b, s41
	s_sub_f32 s38, s38, s43
	s_delay_alu instid0(SALU_CYCLE_1) | instskip(NEXT) | instid1(SALU_CYCLE_1)
	s_add_f32 s33, s40, s33
	s_fmamk_f32 s37, s37, 0x32a5705f, s41
	s_cvt_i32_f32 s40, s44
	s_delay_alu instid0(SALU_CYCLE_1) | instskip(NEXT) | instid1(SALU_CYCLE_1)
	v_s_exp_f32 s33, s33
	s_add_f32 s37, s38, s37
	s_cvt_i32_f32 s38, s43
	s_delay_alu instid0(SALU_CYCLE_2) | instskip(NEXT) | instid1(TRANS32_DEP_2)
	v_s_exp_f32 s37, s37
	v_ldexp_f32 v8, s33, s40
	s_wait_xcnt 0x0
	s_delay_alu instid0(TRANS32_DEP_1) | instskip(NEXT) | instid1(VALU_DEP_2)
	v_ldexp_f32 v4, s37, s38
	v_cndmask_b32_e64 v8, 0, v8, s1
	s_delay_alu instid0(VALU_DEP_1) | instskip(NEXT) | instid1(VALU_DEP_1)
	v_cndmask_b32_e64 v9, 0x7f800000, v8, s2
	v_dual_cndmask_b32 v4, 0, v4, s3 :: v_dual_cndmask_b32 v10, 0, v9, s0
	s_delay_alu instid0(VALU_DEP_1) | instskip(NEXT) | instid1(VALU_DEP_1)
	v_cndmask_b32_e64 v4, 0x7f800000, v4, s4
	v_dual_cndmask_b32 v8, 0, v4, s5 :: v_dual_mov_b32 v4, s39
	s_wait_loadcnt 0x0
	s_delay_alu instid0(VALU_DEP_1) | instskip(NEXT) | instid1(VALU_DEP_1)
	v_pk_mul_f32 v[4:5], v[4:5], v[8:9] op_sel_hi:[1,0]
	v_pk_fma_f32 v[4:5], v[0:1], v[10:11], v[4:5] op_sel_hi:[1,0,1]
	s_cbranch_execz .LBB48_19
.LBB48_17:                              ;   in Loop: Header=BB48_9 Depth=1
	s_and_not1_b32 vcc_lo, exec_lo, s24
	s_cbranch_vccnz .LBB48_20
	s_branch .LBB48_23
.LBB48_18:                              ;   in Loop: Header=BB48_9 Depth=1
	s_and_not1_b32 vcc_lo, exec_lo, s0
	s_cbranch_vccnz .LBB48_17
.LBB48_19:                              ;   in Loop: Header=BB48_9 Depth=1
	s_wait_loadcnt 0x0
	v_mov_b64_e32 v[4:5], v[0:1]
	s_add_co_i32 s21, s36, -1
	s_mov_b32 s29, s20
	s_mov_b32 s17, s28
	s_cbranch_execz .LBB48_23
.LBB48_20:                              ;   in Loop: Header=BB48_9 Depth=1
	s_wait_loadcnt 0x0
	s_delay_alu instid0(VALU_DEP_1)
	v_mov_b64_e32 v[0:1], v[4:5]
	s_mov_b32 s20, s29
	s_mov_b32 s36, s21
	;; [unrolled: 1-line block ×3, first 2 shown]
	s_branch .LBB48_9
.LBB48_21:
                                        ; implicit-def: $sgpr20_sgpr21
	s_branch .LBB48_2
.LBB48_22:
                                        ; implicit-def: $sgpr24_sgpr25
	s_load_b96 s[12:14], s[0:1], 0x44
	s_branch .LBB48_5
.LBB48_23:
	s_delay_alu instid0(VALU_DEP_1) | instskip(SKIP_1) | instid1(VALU_DEP_1)
	v_div_scale_f32 v0, null, v4, v4, v5
	s_wait_loadcnt 0x0
	v_rcp_f32_e32 v1, v0
	v_nop
	s_delay_alu instid0(TRANS32_DEP_1) | instskip(NEXT) | instid1(VALU_DEP_1)
	v_fma_f32 v6, -v0, v1, 1.0
	v_fmac_f32_e32 v1, v6, v1
	v_div_scale_f32 v6, vcc_lo, v5, v4, v5
	s_delay_alu instid0(VALU_DEP_1) | instskip(NEXT) | instid1(VALU_DEP_1)
	v_mul_f32_e32 v7, v6, v1
	v_fma_f32 v8, -v0, v7, v6
	s_delay_alu instid0(VALU_DEP_1) | instskip(NEXT) | instid1(VALU_DEP_1)
	v_fmac_f32_e32 v7, v8, v1
	v_fma_f32 v0, -v0, v7, v6
	s_delay_alu instid0(VALU_DEP_1) | instskip(NEXT) | instid1(VALU_DEP_1)
	v_div_fmas_f32 v0, v0, v1, v7
	v_div_fixup_f32 v0, v0, v4, v5
	global_store_b32 v[2:3], v0, off
.LBB48_24:
	s_endpgm
	.section	.rodata,"a",@progbits
	.p2align	6, 0x0
	.amdhsa_kernel _ZL33flash_attn_stream_k_fixup_generalILi256ELi16ELi1EEvPfPK15HIP_vector_typeIfLj2EEiiiiS1_IjLj3EES5_S5_S5_
		.amdhsa_group_segment_fixed_size 0
		.amdhsa_private_segment_fixed_size 0
		.amdhsa_kernarg_size 336
		.amdhsa_user_sgpr_count 2
		.amdhsa_user_sgpr_dispatch_ptr 0
		.amdhsa_user_sgpr_queue_ptr 0
		.amdhsa_user_sgpr_kernarg_segment_ptr 1
		.amdhsa_user_sgpr_dispatch_id 0
		.amdhsa_user_sgpr_kernarg_preload_length 0
		.amdhsa_user_sgpr_kernarg_preload_offset 0
		.amdhsa_user_sgpr_private_segment_size 0
		.amdhsa_wavefront_size32 1
		.amdhsa_uses_dynamic_stack 0
		.amdhsa_enable_private_segment 0
		.amdhsa_system_sgpr_workgroup_id_x 1
		.amdhsa_system_sgpr_workgroup_id_y 1
		.amdhsa_system_sgpr_workgroup_id_z 1
		.amdhsa_system_sgpr_workgroup_info 0
		.amdhsa_system_vgpr_workitem_id 0
		.amdhsa_next_free_vgpr 12
		.amdhsa_next_free_sgpr 46
		.amdhsa_named_barrier_count 0
		.amdhsa_reserve_vcc 1
		.amdhsa_float_round_mode_32 0
		.amdhsa_float_round_mode_16_64 0
		.amdhsa_float_denorm_mode_32 3
		.amdhsa_float_denorm_mode_16_64 3
		.amdhsa_fp16_overflow 0
		.amdhsa_memory_ordered 1
		.amdhsa_forward_progress 1
		.amdhsa_inst_pref_size 27
		.amdhsa_round_robin_scheduling 0
		.amdhsa_exception_fp_ieee_invalid_op 0
		.amdhsa_exception_fp_denorm_src 0
		.amdhsa_exception_fp_ieee_div_zero 0
		.amdhsa_exception_fp_ieee_overflow 0
		.amdhsa_exception_fp_ieee_underflow 0
		.amdhsa_exception_fp_ieee_inexact 0
		.amdhsa_exception_int_div_zero 0
	.end_amdhsa_kernel
	.section	.text._ZL33flash_attn_stream_k_fixup_generalILi256ELi16ELi1EEvPfPK15HIP_vector_typeIfLj2EEiiiiS1_IjLj3EES5_S5_S5_,"axG",@progbits,_ZL33flash_attn_stream_k_fixup_generalILi256ELi16ELi1EEvPfPK15HIP_vector_typeIfLj2EEiiiiS1_IjLj3EES5_S5_S5_,comdat
.Lfunc_end48:
	.size	_ZL33flash_attn_stream_k_fixup_generalILi256ELi16ELi1EEvPfPK15HIP_vector_typeIfLj2EEiiiiS1_IjLj3EES5_S5_S5_, .Lfunc_end48-_ZL33flash_attn_stream_k_fixup_generalILi256ELi16ELi1EEvPfPK15HIP_vector_typeIfLj2EEiiiiS1_IjLj3EES5_S5_S5_
                                        ; -- End function
	.set _ZL33flash_attn_stream_k_fixup_generalILi256ELi16ELi1EEvPfPK15HIP_vector_typeIfLj2EEiiiiS1_IjLj3EES5_S5_S5_.num_vgpr, 12
	.set _ZL33flash_attn_stream_k_fixup_generalILi256ELi16ELi1EEvPfPK15HIP_vector_typeIfLj2EEiiiiS1_IjLj3EES5_S5_S5_.num_agpr, 0
	.set _ZL33flash_attn_stream_k_fixup_generalILi256ELi16ELi1EEvPfPK15HIP_vector_typeIfLj2EEiiiiS1_IjLj3EES5_S5_S5_.numbered_sgpr, 46
	.set _ZL33flash_attn_stream_k_fixup_generalILi256ELi16ELi1EEvPfPK15HIP_vector_typeIfLj2EEiiiiS1_IjLj3EES5_S5_S5_.num_named_barrier, 0
	.set _ZL33flash_attn_stream_k_fixup_generalILi256ELi16ELi1EEvPfPK15HIP_vector_typeIfLj2EEiiiiS1_IjLj3EES5_S5_S5_.private_seg_size, 0
	.set _ZL33flash_attn_stream_k_fixup_generalILi256ELi16ELi1EEvPfPK15HIP_vector_typeIfLj2EEiiiiS1_IjLj3EES5_S5_S5_.uses_vcc, 1
	.set _ZL33flash_attn_stream_k_fixup_generalILi256ELi16ELi1EEvPfPK15HIP_vector_typeIfLj2EEiiiiS1_IjLj3EES5_S5_S5_.uses_flat_scratch, 0
	.set _ZL33flash_attn_stream_k_fixup_generalILi256ELi16ELi1EEvPfPK15HIP_vector_typeIfLj2EEiiiiS1_IjLj3EES5_S5_S5_.has_dyn_sized_stack, 0
	.set _ZL33flash_attn_stream_k_fixup_generalILi256ELi16ELi1EEvPfPK15HIP_vector_typeIfLj2EEiiiiS1_IjLj3EES5_S5_S5_.has_recursion, 0
	.set _ZL33flash_attn_stream_k_fixup_generalILi256ELi16ELi1EEvPfPK15HIP_vector_typeIfLj2EEiiiiS1_IjLj3EES5_S5_S5_.has_indirect_call, 0
	.section	.AMDGPU.csdata,"",@progbits
; Kernel info:
; codeLenInByte = 3352
; TotalNumSgprs: 48
; NumVgprs: 12
; ScratchSize: 0
; MemoryBound: 0
; FloatMode: 240
; IeeeMode: 1
; LDSByteSize: 0 bytes/workgroup (compile time only)
; SGPRBlocks: 0
; VGPRBlocks: 0
; NumSGPRsForWavesPerEU: 48
; NumVGPRsForWavesPerEU: 12
; NamedBarCnt: 0
; Occupancy: 16
; WaveLimiterHint : 0
; COMPUTE_PGM_RSRC2:SCRATCH_EN: 0
; COMPUTE_PGM_RSRC2:USER_SGPR: 2
; COMPUTE_PGM_RSRC2:TRAP_HANDLER: 0
; COMPUTE_PGM_RSRC2:TGID_X_EN: 1
; COMPUTE_PGM_RSRC2:TGID_Y_EN: 1
; COMPUTE_PGM_RSRC2:TGID_Z_EN: 1
; COMPUTE_PGM_RSRC2:TIDIG_COMP_CNT: 0
	.section	.text._ZL15flash_attn_tileILi256ELi256ELi8ELi1ELb0EEvPKcS1_S1_S1_S1_PKiPfP15HIP_vector_typeIfLj2EEffffjfiS5_IjLj3EEiiiiiiiiiiiliiliiiiil,"axG",@progbits,_ZL15flash_attn_tileILi256ELi256ELi8ELi1ELb0EEvPKcS1_S1_S1_S1_PKiPfP15HIP_vector_typeIfLj2EEffffjfiS5_IjLj3EEiiiiiiiiiiiliiliiiiil,comdat
	.globl	_ZL15flash_attn_tileILi256ELi256ELi8ELi1ELb0EEvPKcS1_S1_S1_S1_PKiPfP15HIP_vector_typeIfLj2EEffffjfiS5_IjLj3EEiiiiiiiiiiiliiliiiiil ; -- Begin function _ZL15flash_attn_tileILi256ELi256ELi8ELi1ELb0EEvPKcS1_S1_S1_S1_PKiPfP15HIP_vector_typeIfLj2EEffffjfiS5_IjLj3EEiiiiiiiiiiiliiliiiiil
	.p2align	8
	.type	_ZL15flash_attn_tileILi256ELi256ELi8ELi1ELb0EEvPKcS1_S1_S1_S1_PKiPfP15HIP_vector_typeIfLj2EEffffjfiS5_IjLj3EEiiiiiiiiiiiliiliiiiil,@function
_ZL15flash_attn_tileILi256ELi256ELi8ELi1ELb0EEvPKcS1_S1_S1_S1_PKiPfP15HIP_vector_typeIfLj2EEffffjfiS5_IjLj3EEiiiiiiiiiiiliiliiiiil: ; @_ZL15flash_attn_tileILi256ELi256ELi8ELi1ELb0EEvPKcS1_S1_S1_S1_PKiPfP15HIP_vector_typeIfLj2EEffffjfiS5_IjLj3EEiiiiiiiiiiiliiliiiiil
; %bb.0:
	s_clause 0x1
	s_load_b128 s[20:23], s[0:1], 0x5c
	s_load_b64 s[2:3], s[0:1], 0x80
	s_bfe_u32 s6, ttmp6, 0x40014
	s_lshr_b32 s5, ttmp7, 16
	s_add_co_i32 s6, s6, 1
	s_bfe_u32 s7, ttmp6, 0x40008
	s_mul_i32 s6, s5, s6
	s_getreg_b32 s40, hwreg(HW_REG_IB_STS2, 6, 4)
	s_add_co_i32 s7, s7, s6
	s_load_b64 s[38:39], s[0:1], 0xb8
	s_mov_b32 s35, 0
	s_mov_b64 s[30:31], 0
	s_wait_kmcnt 0x0
	s_cvt_f32_u32 s4, s23
	s_sub_co_i32 s8, 0, s23
	s_delay_alu instid0(SALU_CYCLE_2) | instskip(SKIP_1) | instid1(TRANS32_DEP_1)
	v_rcp_iflag_f32_e32 v1, s4
	v_nop
	v_readfirstlane_b32 s4, v1
	s_mul_f32 s4, s4, 0x4f7ffffe
	s_delay_alu instid0(SALU_CYCLE_3) | instskip(NEXT) | instid1(SALU_CYCLE_3)
	s_cvt_u32_f32 s4, s4
	s_mul_i32 s8, s8, s4
	s_delay_alu instid0(SALU_CYCLE_1) | instskip(NEXT) | instid1(SALU_CYCLE_1)
	s_mul_hi_u32 s8, s4, s8
	s_add_co_i32 s4, s4, s8
	s_cmp_eq_u32 s40, 0
	s_cselect_b32 s5, s5, s7
	s_delay_alu instid0(SALU_CYCLE_1) | instskip(NEXT) | instid1(SALU_CYCLE_1)
	s_mul_hi_u32 s4, s5, s4
	s_mul_i32 s6, s4, s23
	s_add_co_i32 s7, s4, 1
	s_sub_co_i32 s6, s5, s6
	s_delay_alu instid0(SALU_CYCLE_1)
	s_sub_co_i32 s8, s6, s23
	s_cmp_ge_u32 s6, s23
	s_cselect_b32 s4, s7, s4
	s_cselect_b32 s6, s8, s6
	s_add_co_i32 s7, s4, 1
	s_cmp_ge_u32 s6, s23
	s_cselect_b32 s28, s7, s4
	s_abs_i32 s4, s3
	s_mul_i32 s8, s28, s23
	s_cvt_f32_u32 s6, s4
	s_sub_co_i32 s7, 0, s4
	s_abs_i32 s9, s23
	s_sub_co_i32 s33, s5, s8
	v_rcp_iflag_f32_e32 v1, s6
	s_xor_b32 s3, s23, s3
	s_delay_alu instid0(SALU_CYCLE_1) | instskip(SKIP_1) | instid1(TRANS32_DEP_1)
	s_ashr_i32 s3, s3, 31
	v_nop
	v_readfirstlane_b32 s6, v1
	s_mul_f32 s6, s6, 0x4f7ffffe
	s_delay_alu instid0(SALU_CYCLE_3) | instskip(NEXT) | instid1(SALU_CYCLE_3)
	s_cvt_u32_f32 s6, s6
	s_mul_i32 s7, s7, s6
	s_delay_alu instid0(SALU_CYCLE_1) | instskip(NEXT) | instid1(SALU_CYCLE_1)
	s_mul_hi_u32 s7, s6, s7
	s_add_co_i32 s6, s6, s7
	s_delay_alu instid0(SALU_CYCLE_1) | instskip(NEXT) | instid1(SALU_CYCLE_1)
	s_mul_hi_u32 s5, s9, s6
	s_mul_i32 s6, s5, s4
	s_add_co_i32 s7, s5, 1
	s_sub_co_i32 s6, s9, s6
	s_delay_alu instid0(SALU_CYCLE_1)
	s_sub_co_i32 s8, s6, s4
	s_cmp_ge_u32 s6, s4
	s_cselect_b32 s5, s7, s5
	s_cselect_b32 s6, s8, s6
	s_add_co_i32 s7, s5, 1
	s_cmp_ge_u32 s6, s4
	s_cselect_b32 s4, s7, s5
	s_abs_i32 s34, s33
	s_xor_b32 s4, s4, s3
	s_delay_alu instid0(SALU_CYCLE_1) | instskip(NEXT) | instid1(SALU_CYCLE_1)
	s_sub_co_i32 s29, s4, s3
	s_abs_i32 s3, s29
	s_delay_alu instid0(SALU_CYCLE_1) | instskip(SKIP_1) | instid1(SALU_CYCLE_2)
	s_cvt_f32_u32 s4, s3
	s_sub_co_i32 s25, 0, s3
	v_rcp_iflag_f32_e32 v1, s4
	s_load_b512 s[4:19], s[0:1], 0x0
	v_nop
	s_delay_alu instid0(TRANS32_DEP_1) | instskip(SKIP_1) | instid1(SALU_CYCLE_3)
	v_readfirstlane_b32 s24, v1
	s_mul_f32 s24, s24, 0x4f7ffffe
	s_cvt_u32_f32 s24, s24
	s_delay_alu instid0(SALU_CYCLE_3) | instskip(NEXT) | instid1(SALU_CYCLE_1)
	s_mul_i32 s25, s25, s24
	s_mul_hi_u32 s25, s24, s25
	s_delay_alu instid0(SALU_CYCLE_1)
	s_add_co_i32 s36, s24, s25
	s_wait_kmcnt 0x0
	s_cmp_eq_u64 s[10:11], 0
	s_cbranch_scc1 .LBB49_2
; %bb.1:
	s_abs_i32 s26, s38
	s_abs_i32 s27, s28
	s_cvt_f32_u32 s24, s26
	s_sub_co_i32 s25, 0, s26
	s_delay_alu instid0(SALU_CYCLE_2) | instskip(SKIP_1) | instid1(TRANS32_DEP_1)
	v_rcp_iflag_f32_e32 v1, s24
	v_nop
	v_readfirstlane_b32 s24, v1
	s_mul_f32 s24, s24, 0x4f7ffffe
	s_delay_alu instid0(SALU_CYCLE_3) | instskip(NEXT) | instid1(SALU_CYCLE_3)
	s_cvt_u32_f32 s24, s24
	s_mul_i32 s25, s25, s24
	s_delay_alu instid0(SALU_CYCLE_1) | instskip(NEXT) | instid1(SALU_CYCLE_1)
	s_mul_hi_u32 s25, s24, s25
	s_add_co_i32 s24, s24, s25
	s_delay_alu instid0(SALU_CYCLE_1) | instskip(SKIP_2) | instid1(SALU_CYCLE_1)
	s_mul_hi_u32 s30, s27, s24
	s_load_b64 s[24:25], s[0:1], 0xc8
	s_mul_i32 s30, s30, s26
	s_sub_co_i32 s27, s27, s30
	s_ashr_i32 s30, s28, 31
	s_sub_co_i32 s31, s27, s26
	s_cmp_ge_u32 s27, s26
	s_cselect_b32 s27, s31, s27
	s_delay_alu instid0(SALU_CYCLE_1) | instskip(SKIP_2) | instid1(SALU_CYCLE_1)
	s_sub_co_i32 s31, s27, s26
	s_cmp_ge_u32 s27, s26
	s_cselect_b32 s26, s31, s27
	s_xor_b32 s26, s26, s30
	s_delay_alu instid0(SALU_CYCLE_1) | instskip(NEXT) | instid1(SALU_CYCLE_1)
	s_sub_co_i32 s26, s26, s30
	s_ashr_i32 s27, s26, 31
	s_wait_kmcnt 0x0
	s_mul_u64 s[24:25], s[24:25], s[26:27]
	s_delay_alu instid0(SALU_CYCLE_1)
	s_add_nc_u64 s[30:31], s[10:11], s[24:25]
.LBB49_2:
	s_clause 0x1
	s_load_b128 s[24:27], s[0:1], 0x40
	s_load_b32 s10, s[0:1], 0x50
	v_mov_b32_e32 v61, 1.0
	s_mov_b32 s37, s35
	s_wait_kmcnt 0x0
	s_cmp_le_f32 s25, 0
	s_cbranch_scc1 .LBB49_4
; %bb.3:
	v_sub_co_u32 v1, s10, s33, s10
	s_and_b32 s25, s10, exec_lo
	s_cselect_b32 s25, s26, s27
	s_add_co_i32 s26, s33, 1
	v_readfirstlane_b32 s11, v1
	s_lshl_b32 s11, s11, 1
	s_delay_alu instid0(SALU_CYCLE_1) | instskip(SKIP_4) | instid1(SALU_CYCLE_3)
	s_or_b32 s11, s11, 1
	s_and_b32 s10, s10, exec_lo
	s_cselect_b32 s10, s26, s11
	s_cmp_neq_f32 s25, 1.0
	s_cvt_f32_i32 s10, s10
	s_cselect_b32 s11, s10, 1.0
	s_delay_alu instid0(SALU_CYCLE_1) | instskip(SKIP_1) | instid1(SALU_CYCLE_1)
	s_cmp_neq_f32 s11, 0
	s_cselect_b32 s10, s25, 1.0
	v_cvt_f64_f32_e64 v[2:3], |s10|
	s_delay_alu instid0(VALU_DEP_1) | instskip(SKIP_1) | instid1(VALU_DEP_1)
	v_frexp_exp_i32_f64_e32 v1, v[2:3]
	v_frexp_mant_f32_e64 v2, |s10|
	v_readfirstlane_b32 s25, v2
	s_cmp_lt_f32 s25, 0x3f2aaaab
	s_cselect_b32 vcc_lo, -1, 0
	s_delay_alu instid0(SALU_CYCLE_1) | instskip(SKIP_1) | instid1(SALU_CYCLE_1)
	s_and_b32 s26, vcc_lo, exec_lo
	s_cselect_b32 s26, 2.0, 1.0
	s_mul_f32 s25, s25, s26
	s_delay_alu instid0(SALU_CYCLE_3) | instskip(SKIP_1) | instid1(SALU_CYCLE_2)
	s_add_f32 s26, s25, 1.0
	s_add_f32 s38, s25, -1.0
	v_s_rcp_f32 s27, s26
	s_add_f32 s43, s26, -1.0
	v_subrev_co_ci_u32_e64 v1, null, 0, v1, vcc_lo
	s_delay_alu instid0(SALU_CYCLE_2) | instskip(NEXT) | instid1(TRANS32_DEP_1)
	s_sub_f32 s25, s25, s43
	s_mul_f32 s41, s38, s27
	v_cvt_f32_i32_e32 v1, v1
	s_delay_alu instid0(SALU_CYCLE_2) | instskip(NEXT) | instid1(SALU_CYCLE_3)
	s_mul_f32 s42, s26, s41
	v_dual_mov_b32 v3, s38 :: v_dual_mov_b32 v4, s42
	s_xor_b32 s44, s42, 0x80000000
	s_delay_alu instid0(SALU_CYCLE_1) | instskip(NEXT) | instid1(SALU_CYCLE_3)
	s_fmac_f32 s44, s41, s26
	s_fmac_f32 s44, s41, s25
	s_delay_alu instid0(SALU_CYCLE_3) | instskip(NEXT) | instid1(SALU_CYCLE_3)
	s_add_f32 s25, s42, s44
	v_dual_mov_b32 v6, s44 :: v_dual_mov_b32 v7, s25
	s_sub_f32 s26, s38, s25
	s_delay_alu instid0(SALU_CYCLE_3) | instskip(NEXT) | instid1(VALU_DEP_1)
	v_dual_mov_b32 v2, s25 :: v_dual_mov_b32 v5, s26
	v_pk_add_f32 v[2:3], v[2:3], v[4:5] neg_lo:[0,1] neg_hi:[0,1]
	s_delay_alu instid0(VALU_DEP_1) | instskip(NEXT) | instid1(VALU_DEP_1)
	v_pk_add_f32 v[2:3], v[2:3], v[6:7] neg_lo:[0,1] neg_hi:[0,1]
	v_readfirstlane_b32 s25, v3
	s_delay_alu instid0(VALU_DEP_2) | instskip(SKIP_1) | instid1(SALU_CYCLE_3)
	v_readfirstlane_b32 s38, v2
	s_add_f32 s25, s38, s25
	s_add_f32 s25, s26, s25
	s_delay_alu instid0(SALU_CYCLE_3) | instskip(NEXT) | instid1(SALU_CYCLE_3)
	s_mul_f32 s25, s27, s25
	s_add_f32 s26, s41, s25
	s_delay_alu instid0(SALU_CYCLE_3) | instskip(SKIP_1) | instid1(SALU_CYCLE_2)
	s_sub_f32 s27, s26, s41
	s_mul_f32 s38, s26, s26
	s_sub_f32 s25, s25, s27
	s_delay_alu instid0(SALU_CYCLE_2) | instskip(NEXT) | instid1(SALU_CYCLE_1)
	s_xor_b32 s27, s38, 0x80000000
	s_fmac_f32 s27, s26, s26
	s_delay_alu instid0(SALU_CYCLE_1) | instskip(NEXT) | instid1(SALU_CYCLE_3)
	s_add_f32 s41, s25, s25
	s_fmac_f32 s27, s26, s41
	s_mov_b32 s41, 0x3e76c4e1
	s_delay_alu instid0(SALU_CYCLE_2) | instskip(NEXT) | instid1(SALU_CYCLE_3)
	s_add_f32 s42, s38, s27
	s_fmaak_f32 s41, s42, s41, 0x3e91f4c4
	s_sub_f32 s38, s42, s38
	s_delay_alu instid0(SALU_CYCLE_2) | instskip(NEXT) | instid1(SALU_CYCLE_2)
	s_fmaak_f32 s41, s42, s41, 0x3ecccdef
	s_sub_f32 s38, s27, s38
	s_delay_alu instid0(SALU_CYCLE_2) | instskip(NEXT) | instid1(SALU_CYCLE_3)
	s_mul_f32 s43, s42, s41
	s_xor_b32 s44, s43, 0x80000000
	s_delay_alu instid0(SALU_CYCLE_1) | instskip(NEXT) | instid1(SALU_CYCLE_3)
	s_fmac_f32 s44, s42, s41
	s_fmac_f32 s44, s38, s41
	s_delay_alu instid0(SALU_CYCLE_3) | instskip(NEXT) | instid1(SALU_CYCLE_3)
	s_add_f32 s41, s43, s44
	s_sub_f32 s27, s41, s43
	s_add_f32 s45, s41, 0x3f2aaaaa
	s_delay_alu instid0(SALU_CYCLE_2) | instskip(NEXT) | instid1(SALU_CYCLE_2)
	s_sub_f32 s27, s44, s27
	s_add_f32 s43, s45, 0xbf2aaaaa
	s_delay_alu instid0(SALU_CYCLE_2) | instskip(NEXT) | instid1(SALU_CYCLE_2)
	s_add_f32 s27, s27, 0x31739010
	s_sub_f32 s43, s41, s43
	s_delay_alu instid0(SALU_CYCLE_2) | instskip(NEXT) | instid1(SALU_CYCLE_2)
	v_mov_b64_e32 v[2:3], s[26:27]
	v_mov_b64_e32 v[4:5], s[42:43]
	s_delay_alu instid0(VALU_DEP_1) | instskip(SKIP_2) | instid1(VALU_DEP_3)
	v_pk_mul_f32 v[6:7], v[2:3], v[4:5]
	v_pk_add_f32 v[2:3], v[2:3], v[4:5]
	v_mov_b32_e32 v9, s45
	v_xor_b32_e32 v8, 0x80000000, v6
	s_delay_alu instid0(VALU_DEP_3) | instskip(NEXT) | instid1(VALU_DEP_2)
	v_mov_b32_e32 v7, v3
	v_fmac_f32_e64 v8, s42, s26
	s_delay_alu instid0(VALU_DEP_1) | instskip(NEXT) | instid1(VALU_DEP_1)
	v_fmac_f32_e64 v8, s42, s25
	v_fmac_f32_e64 v8, s38, s26
	s_delay_alu instid0(VALU_DEP_1) | instskip(NEXT) | instid1(VALU_DEP_1)
	v_pk_add_f32 v[4:5], v[6:7], v[8:9]
	v_dual_mov_b32 v2, v5 :: v_dual_sub_f32 v7, s45, v5
	v_mul_f32_e32 v12, 0x3f317218, v1
	s_delay_alu instid0(VALU_DEP_2) | instskip(NEXT) | instid1(VALU_DEP_3)
	v_pk_mul_f32 v[10:11], v[4:5], v[2:3]
	v_add_f32_e32 v3, v3, v7
	s_delay_alu instid0(VALU_DEP_3) | instskip(NEXT) | instid1(VALU_DEP_3)
	v_xor_b32_e32 v7, 0x80000000, v12
	v_xor_b32_e32 v2, 0x80000000, v10
	s_delay_alu instid0(VALU_DEP_2) | instskip(NEXT) | instid1(VALU_DEP_2)
	v_dual_sub_f32 v6, v4, v6 :: v_dual_fmac_f32 v7, 0x3f317218, v1
	v_fmac_f32_e32 v2, v4, v5
	s_delay_alu instid0(VALU_DEP_2) | instskip(NEXT) | instid1(VALU_DEP_2)
	v_sub_f32_e32 v6, v8, v6
	v_fmac_f32_e32 v2, v4, v3
	s_delay_alu instid0(VALU_DEP_1) | instskip(SKIP_3) | instid1(VALU_DEP_2)
	v_fmac_f32_e32 v2, v6, v5
	v_fmamk_f32 v4, v1, 0xb102e308, v7
	v_ldexp_f32 v5, s26, 1
	v_ldexp_f32 v1, s25, 1
	v_dual_add_f32 v13, v10, v2 :: v_dual_mov_b32 v11, v5
	s_delay_alu instid0(VALU_DEP_1) | instskip(SKIP_1) | instid1(VALU_DEP_2)
	v_pk_add_f32 v[6:7], v[12:13], v[4:5]
	v_dual_mov_b32 v8, v13 :: v_dual_mov_b32 v3, v13
	v_dual_mov_b32 v9, v7 :: v_dual_mov_b32 v5, v6
	v_mov_b32_e32 v14, v7
	s_delay_alu instid0(VALU_DEP_2) | instskip(NEXT) | instid1(VALU_DEP_1)
	v_pk_add_f32 v[8:9], v[8:9], v[10:11] neg_lo:[0,1] neg_hi:[0,1]
	v_pk_add_f32 v[2:3], v[2:3], v[8:9] neg_lo:[0,1] neg_hi:[0,1]
	s_delay_alu instid0(VALU_DEP_1) | instskip(NEXT) | instid1(VALU_DEP_1)
	v_add_f32_e32 v1, v1, v2
	v_add_f32_e32 v13, v1, v3
	s_delay_alu instid0(VALU_DEP_1) | instskip(SKIP_1) | instid1(VALU_DEP_2)
	v_pk_add_f32 v[2:3], v[6:7], v[12:13]
	v_pk_add_f32 v[8:9], v[6:7], v[12:13] neg_lo:[0,1] neg_hi:[0,1]
	v_mov_b32_e32 v9, v3
	s_delay_alu instid0(VALU_DEP_1) | instskip(SKIP_2) | instid1(VALU_DEP_3)
	v_pk_add_f32 v[10:11], v[4:5], v[8:9]
	v_pk_add_f32 v[4:5], v[4:5], v[8:9] neg_lo:[0,1] neg_hi:[0,1]
	v_dual_mov_b32 v16, v3 :: v_dual_mov_b32 v5, v6
	v_dual_mov_b32 v12, v11 :: v_dual_mov_b32 v17, v11
	s_delay_alu instid0(VALU_DEP_3) | instskip(NEXT) | instid1(VALU_DEP_2)
	v_readfirstlane_b32 s25, v4
	v_pk_add_f32 v[8:9], v[12:13], v[6:7] neg_lo:[0,1] neg_hi:[0,1]
	s_delay_alu instid0(VALU_DEP_2) | instskip(NEXT) | instid1(VALU_DEP_2)
	v_dual_mov_b32 v4, v13 :: v_dual_mov_b32 v10, s25
	v_dual_mov_b32 v15, v8 :: v_dual_mov_b32 v1, v8
	s_delay_alu instid0(VALU_DEP_1) | instskip(NEXT) | instid1(VALU_DEP_2)
	v_pk_add_f32 v[6:7], v[16:17], v[14:15] neg_lo:[0,1] neg_hi:[0,1]
	v_pk_add_f32 v[2:3], v[2:3], v[0:1] neg_lo:[0,1] neg_hi:[0,1]
	v_mov_b32_e32 v2, s25
	s_delay_alu instid0(VALU_DEP_3) | instskip(NEXT) | instid1(VALU_DEP_1)
	v_pk_add_f32 v[4:5], v[4:5], v[6:7] neg_lo:[0,1] neg_hi:[0,1]
	v_pk_add_f32 v[2:3], v[2:3], v[4:5]
	s_delay_alu instid0(VALU_DEP_1) | instskip(NEXT) | instid1(VALU_DEP_2)
	v_readfirstlane_b32 s26, v2
	v_mov_b32_e32 v6, v3
	s_delay_alu instid0(VALU_DEP_1) | instskip(NEXT) | instid1(VALU_DEP_3)
	v_pk_add_f32 v[6:7], v[2:3], v[6:7]
	v_mov_b32_e32 v2, s26
	s_delay_alu instid0(VALU_DEP_2) | instskip(SKIP_1) | instid1(VALU_DEP_2)
	v_pk_add_f32 v[8:9], v[12:13], v[6:7]
	v_mov_b32_e32 v5, v6
	v_readfirstlane_b32 s27, v8
	s_delay_alu instid0(VALU_DEP_1) | instskip(NEXT) | instid1(VALU_DEP_1)
	v_mov_b32_e32 v3, s27
	v_pk_add_f32 v[2:3], v[2:3], v[10:11] neg_lo:[0,1] neg_hi:[0,1]
	s_delay_alu instid0(VALU_DEP_1) | instskip(NEXT) | instid1(VALU_DEP_2)
	v_readfirstlane_b32 s38, v2
	v_pk_add_f32 v[2:3], v[4:5], v[2:3] neg_lo:[0,1] neg_hi:[0,1]
	s_sub_f32 s26, s26, s38
	s_delay_alu instid0(VALU_DEP_1) | instskip(NEXT) | instid1(SALU_CYCLE_2)
	v_readfirstlane_b32 s38, v2
	s_sub_f32 s25, s25, s26
	v_readfirstlane_b32 s26, v3
	s_delay_alu instid0(SALU_CYCLE_2) | instskip(NEXT) | instid1(SALU_CYCLE_3)
	s_add_f32 s25, s38, s25
	s_add_f32 s25, s25, s26
	s_delay_alu instid0(SALU_CYCLE_3) | instskip(NEXT) | instid1(SALU_CYCLE_3)
	s_add_f32 s26, s27, s25
	s_mul_f32 s38, s11, s26
	s_sub_f32 s27, s26, s27
	s_delay_alu instid0(SALU_CYCLE_2) | instskip(NEXT) | instid1(SALU_CYCLE_2)
	s_xor_b32 s41, s38, 0x80000000
	s_sub_f32 s25, s25, s27
	s_fmac_f32 s41, s11, s26
	s_delay_alu instid0(SALU_CYCLE_3) | instskip(SKIP_1) | instid1(SALU_CYCLE_2)
	s_fmac_f32 s41, s11, s25
	v_cmp_class_f32_e64 s25, s38, 0x204
	s_add_f32 s26, s38, s41
	s_and_b32 s25, s25, exec_lo
	s_delay_alu instid0(SALU_CYCLE_2) | instskip(SKIP_1) | instid1(SALU_CYCLE_1)
	s_sub_f32 s25, s26, s38
	s_cselect_b32 s26, s38, s26
	s_and_b32 s27, s26, 0x7fffffff
	s_delay_alu instid0(SALU_CYCLE_1) | instskip(SKIP_1) | instid1(SALU_CYCLE_2)
	s_sub_f32 s25, s41, s25
	s_cmp_neq_f32 s27, 0x7f800000
	s_cselect_b32 s25, s25, 0
	s_cmp_eq_f32 s26, 0x42b17218
	s_cselect_b32 s27, 0x37000000, 0
	s_delay_alu instid0(SALU_CYCLE_1) | instskip(SKIP_1) | instid1(SALU_CYCLE_2)
	s_sub_f32 s26, s26, s27
	s_add_f32 s25, s27, s25
	s_mul_f32 s38, s26, 0x3fb8aa3b
	s_delay_alu instid0(SALU_CYCLE_3) | instskip(SKIP_3) | instid1(SALU_CYCLE_1)
	s_xor_b32 s41, s38, 0x80000000
	s_rndne_f32 s42, s38
	s_fmamk_f32 s41, s26, 0x3fb8aa3b, s41
	s_cmp_nlt_f32 s26, 0xc2ce8ed0
	s_sub_f32 s38, s38, s42
	s_delay_alu instid0(SALU_CYCLE_1)
	s_fmamk_f32 s41, s26, 0x32a5705f, s41
	s_cselect_b32 vcc_lo, -1, 0
	s_cmp_ngt_f32 s26, 0x42b17218
	s_trunc_f32 s26, s11
	s_add_f32 s38, s38, s41
	s_cvt_i32_f32 s41, s42
	s_delay_alu instid0(SALU_CYCLE_2)
	v_s_exp_f32 s38, s38
	v_nop
	s_delay_alu instid0(TRANS32_DEP_1) | instid1(SALU_CYCLE_1)
	v_ldexp_f32 v1, s38, s41
	s_mul_f32 s38, s11, 0.5
	s_delay_alu instid0(VALU_DEP_1) | instskip(SKIP_3) | instid1(VALU_DEP_1)
	v_cndmask_b32_e32 v1, 0, v1, vcc_lo
	s_cselect_b32 vcc_lo, -1, 0
	s_cmp_eq_f32 s26, s11
	s_trunc_f32 s41, s38
	v_cndmask_b32_e32 v1, 0x7f800000, v1, vcc_lo
	s_cselect_b32 s42, -1, 0
	s_delay_alu instid0(SALU_CYCLE_1) | instskip(NEXT) | instid1(VALU_DEP_1)
	s_cmp_neq_f32 s41, s38
	v_fma_f32 v2, s25, v1, v1
	v_cmp_class_f32_e64 vcc_lo, v1, 0x204
	s_cselect_b32 s27, -1, 0
	s_delay_alu instid0(SALU_CYCLE_1)
	s_and_b32 s25, s42, s27
	v_cndmask_b32_e32 v1, v2, v1, vcc_lo
	s_and_b32 s27, s25, exec_lo
	s_cselect_b32 s27, s10, 1.0
	s_cmp_eq_f32 s26, s11
	v_cmp_class_f32_e64 s26, s10, 0x204
	v_bfi_b32 v1, 0x7fffffff, v1, s27
	s_cselect_b32 vcc_lo, -1, 0
	s_cmp_lt_f32 s10, 0
	s_delay_alu instid0(VALU_DEP_1) | instskip(SKIP_2) | instid1(VALU_DEP_1)
	v_cndmask_b32_e32 v2, 0x7fc00000, v1, vcc_lo
	s_cselect_b32 vcc_lo, -1, 0
	s_cmp_eq_f32 s10, 0
	v_cndmask_b32_e32 v1, v1, v2, vcc_lo
	s_cselect_b32 s27, -1, 0
	s_delay_alu instid0(SALU_CYCLE_1) | instskip(SKIP_2) | instid1(SALU_CYCLE_1)
	s_or_b32 vcc_lo, s27, s26
	s_cmp_lt_f32 s11, 0
	s_cselect_b32 s11, -1, 0
	s_xor_b32 s11, s11, s27
	s_delay_alu instid0(SALU_CYCLE_1)
	s_and_b32 s11, s11, exec_lo
	s_cselect_b32 s11, 0, 0x7f800000
	s_and_b32 s25, s25, exec_lo
	s_cselect_b32 s25, s10, 0
	s_cmp_o_f32 s10, s10
	v_mov_b32_e32 v2, s25
	s_delay_alu instid0(VALU_DEP_1) | instskip(NEXT) | instid1(VALU_DEP_1)
	v_bfi_b32 v2, 0x7fffffff, s11, v2
	v_cndmask_b32_e32 v1, v1, v2, vcc_lo
	s_cselect_b32 vcc_lo, -1, 0
	s_delay_alu instid0(VALU_DEP_1)
	v_cndmask_b32_e32 v61, 0x7fc00000, v1, vcc_lo
.LBB49_4:
	s_bfe_u32 s11, ttmp6, 0x4000c
	v_bfe_u32 v60, v0, 10, 10
	s_add_co_i32 s11, s11, 1
	s_and_b32 s25, ttmp6, 15
	s_mul_i32 s26, ttmp9, s11
	s_ashr_i32 s10, s33, 31
	s_ashr_i32 s11, s29, 31
	s_add_co_i32 s25, s25, s26
	s_cmp_eq_u32 s40, 0
	v_lshlrev_b32_e32 v54, 1, v60
	s_cselect_b32 s25, ttmp9, s25
	s_load_b96 s[44:46], s[0:1], 0x70
	s_lshl_b32 s38, s25, 3
	v_and_b32_e32 v57, 0x3ff, v0
	v_dual_mov_b32 v13, 0 :: v_dual_add_nc_u32 v56, s38, v54
	s_delay_alu instid0(VALU_DEP_2) | instskip(NEXT) | instid1(VALU_DEP_2)
	v_lshlrev_b32_e32 v12, 4, v57
	v_mul_hi_u32 v1, v56, s20
	v_dual_lshlrev_b32 v59, 3, v57 :: v_dual_lshlrev_b32 v55, 2, v57
	s_delay_alu instid0(VALU_DEP_2)
	v_dual_add_nc_u32 v1, v56, v1 :: v_dual_bitop2_b32 v52, 1, v54 bitop3:0x54
	s_wait_kmcnt 0x0
	s_mul_i32 s26, s28, s46
	s_mul_i32 s42, s33, s45
	s_ashr_i32 s27, s26, 31
	v_dual_lshrrev_b32 v1, s21, v1 :: v_dual_add_nc_u32 v53, s38, v52
	s_ashr_i32 s43, s42, 31
	s_add_nc_u64 s[4:5], s[4:5], s[26:27]
	s_ashr_i32 s45, s44, 31
	s_delay_alu instid0(VALU_DEP_1)
	v_mul_lo_u32 v1, v1, s22
	v_mul_hi_u32 v2, v53, s20
	v_mov_b32_e32 v19, v13
	s_add_nc_u64 s[4:5], s[4:5], s[42:43]
	s_lshr_b64 s[26:27], s[44:45], 2
	v_add_nc_u64_e32 v[4:5], s[4:5], v[12:13]
	s_mul_u64 s[4:5], s[34:35], s[36:37]
	s_mov_b32 s37, 0
	s_cmp_eq_u64 s[14:15], 0
	s_delay_alu instid0(VALU_DEP_3) | instskip(NEXT) | instid1(VALU_DEP_1)
	v_dual_sub_nc_u32 v18, v56, v1 :: v_dual_add_nc_u32 v0, v53, v2
	v_lshrrev_b32_e32 v0, s21, v0
	s_delay_alu instid0(VALU_DEP_1) | instskip(NEXT) | instid1(VALU_DEP_3)
	v_mul_lo_u32 v2, v0, s22
	v_mul_u64_e32 v[0:1], s[26:27], v[18:19]
	s_delay_alu instid0(VALU_DEP_2) | instskip(NEXT) | instid1(VALU_DEP_1)
	v_sub_nc_u32_e32 v12, v53, v2
	v_mul_u64_e32 v[6:7], s[26:27], v[12:13]
	v_add_nc_u32_e32 v12, 0x4200, v59
	s_delay_alu instid0(VALU_DEP_4)
	v_lshl_add_u64 v[20:21], v[0:1], 2, v[4:5]
	global_load_b128 v[0:3], v[20:21], off
	v_lshl_add_u64 v[22:23], v[6:7], 2, v[4:5]
	s_clause 0x2
	global_load_b128 v[4:7], v[20:21], off offset:512
	global_load_b128 v[8:11], v[22:23], off
	global_load_b128 v[14:17], v[22:23], off offset:512
	s_wait_loadcnt 0x3
	v_fma_mixlo_f16 v0, s24, v0, 0
	v_fma_mixlo_f16 v1, s24, v1, 0
	v_lshlrev_b32_e32 v19, 10, v60
	v_fma_mixlo_f16 v2, s24, v2, 0
	v_fma_mixlo_f16 v3, s24, v3, 0
	v_and_b32_e32 v0, 0xffff, v0
	v_lshlrev_b32_e32 v1, 16, v1
	s_delay_alu instid0(VALU_DEP_4) | instskip(NEXT) | instid1(VALU_DEP_2)
	v_and_b32_e32 v2, 0xffff, v2
	v_or_b32_e32 v0, v1, v0
	s_wait_loadcnt 0x2
	v_fma_mixlo_f16 v4, s24, v4, 0
	v_fma_mixlo_f16 v5, s24, v5, 0
	;; [unrolled: 1-line block ×4, first 2 shown]
	s_wait_loadcnt 0x1
	v_fma_mixlo_f16 v8, s24, v8, 0
	v_fma_mixlo_f16 v9, s24, v9, 0
	s_wait_loadcnt 0x0
	v_fma_mixlo_f16 v14, s24, v14, 0
	v_fma_mixlo_f16 v15, s24, v15, 0
	v_dual_add_nc_u32 v20, v12, v19 :: v_dual_lshlrev_b32 v5, 16, v5
	v_fma_mixlo_f16 v11, s24, v11, 0
	v_dual_lshlrev_b32 v3, 16, v3 :: v_dual_lshlrev_b32 v9, 16, v9
	v_and_b32_e32 v4, 0xffff, v4
	v_fma_mixlo_f16 v10, s24, v10, 0
	v_fma_mixlo_f16 v16, s24, v16, 0
	;; [unrolled: 1-line block ×3, first 2 shown]
	v_lshlrev_b32_e32 v7, 16, v7
	v_and_b32_e32 v6, 0xffff, v6
	v_and_b32_e32 v8, 0xffff, v8
	v_lshlrev_b32_e32 v15, 16, v15
	v_and_b32_e32 v14, 0xffff, v14
	v_lshlrev_b32_e32 v11, 16, v11
	v_or3_b32 v1, v3, v2, 0
	v_or_b32_e32 v2, v5, v4
	v_and_b32_e32 v10, 0xffff, v10
	v_lshlrev_b32_e32 v17, 16, v17
	v_and_b32_e32 v16, 0xffff, v16
	v_or3_b32 v3, v7, v6, 0
	v_or_b32_e32 v4, v9, v8
	v_or_b32_e32 v6, v15, v14
	v_or3_b32 v0, 0, 0, v0
	v_or3_b32 v2, 0, 0, v2
	v_lshl_add_u32 v12, v52, 9, v12
	v_or3_b32 v5, v11, v10, 0
	v_or3_b32 v7, v17, v16, 0
	v_or3_b32 v4, 0, 0, v4
	v_or3_b32 v6, 0, 0, v6
	ds_store_2addr_b64 v20, v[0:1], v[2:3] offset1:32
	ds_store_2addr_b64 v12, v[4:5], v[6:7] offset1:32
	s_wait_dscnt 0x0
	s_barrier_signal -1
	s_barrier_wait -1
	s_cbranch_scc1 .LBB49_6
; %bb.5:
	s_load_b32 s2, s[0:1], 0xd0
	s_wait_kmcnt 0x0
	s_mul_i32 s2, s2, s28
	s_delay_alu instid0(SALU_CYCLE_1)
	s_add_co_i32 s2, s2, s25
	s_load_b32 s2, s[14:15], s2 offset:0x0 scale_offset
.LBB49_6:
	s_wait_xcnt 0x0
	s_clause 0x2
	s_load_b64 s[14:15], s[0:1], 0x8c
	s_load_b128 s[24:27], s[0:1], 0x98
	s_load_b64 s[42:43], s[0:1], 0xa8
	s_mul_i32 s4, s5, s3
	s_mov_b32 s36, s20
	s_sub_co_i32 s34, s34, s4
	s_ashr_i32 s39, s39, 1
	s_ashr_i32 s29, s28, 31
	s_xor_b32 s20, s10, s11
	s_add_co_i32 s35, s5, 1
	s_sub_co_i32 s41, s34, s3
	v_mul_u32_u24_e32 v62, 0x210, v57
	v_mbcnt_lo_u32_b32 v58, -1, 0
	s_wait_kmcnt 0x0
	s_ashr_i32 s4, s14, 2
	s_ashr_i32 s14, s26, 2
	s_cmp_ge_u32 s34, s3
	s_mul_u64 s[10:11], s[24:25], s[28:29]
	s_cselect_b32 s5, s35, s5
	s_add_nc_u64 s[6:7], s[6:7], s[10:11]
	s_cselect_b32 s10, s41, s34
	s_add_co_i32 s11, s5, 1
	s_cmp_ge_u32 s10, s3
	v_mul_lo_u32 v22, s4, v60
	s_cselect_b32 s3, s11, s5
	v_mul_lo_u32 v16, s14, v60
	s_bfe_u32 s10, ttmp6, 0x40010
	s_xor_b32 s3, s3, s20
	s_and_b32 s5, ttmp7, 0xffff
	s_add_co_i32 s10, s10, 1
	s_sub_co_i32 s3, s3, s20
	s_bfe_u32 s11, ttmp6, 0x40004
	s_mul_i32 s20, s5, s10
	s_mul_i32 s10, s3, s15
	;; [unrolled: 1-line block ×3, first 2 shown]
	s_add_co_i32 s3, s11, s20
	s_ashr_i32 s11, s10, 31
	s_ashr_i32 s35, s34, 31
	s_cmp_eq_u32 s40, 0
	s_mul_u64 s[24:25], s[42:43], s[28:29]
	s_cselect_b32 s20, s5, s3
	v_dual_lshlrev_b32 v14, 2, v55 :: v_dual_ashrrev_i32 v23, 31, v22
	v_ashrrev_i32_e32 v17, 31, v16
	s_sub_co_i32 s3, s2, 32
	s_lshl_b32 s26, s20, 5
	s_add_nc_u64 s[8:9], s[8:9], s[24:25]
	s_add_nc_u64 s[6:7], s[6:7], s[10:11]
	s_cmp_ge_i32 s26, s3
	s_add_nc_u64 s[34:35], s[8:9], s[34:35]
	s_cbranch_scc1 .LBB49_15
; %bb.7:
	v_dual_mov_b32 v15, 0 :: v_dual_bitop2_b32 v2, 1, v56 bitop3:0x54
	s_ashr_i32 s5, s4, 31
	s_lshl_b32 s8, s4, 2
	s_cmp_lg_u64 s[30:31], 0
	s_delay_alu instid0(VALU_DEP_1) | instskip(SKIP_2) | instid1(SALU_CYCLE_1)
	v_dual_mov_b32 v3, v15 :: v_dual_add_nc_u32 v66, 0x4200, v19
	s_cselect_b32 s10, -1, 0
	s_lshl_b32 s9, s14, 2
	v_dual_add_nc_u32 v24, s8, v22 :: v_dual_add_nc_u32 v26, s9, v16
	s_delay_alu instid0(VALU_DEP_2) | instskip(SKIP_2) | instid1(VALU_DEP_4)
	v_mul_u64_e32 v[0:1], s[36:37], v[2:3]
	v_mul_lo_u32 v67, v18, s39
	v_mad_u32_u24 v65, 0x210, v60, v14
	v_dual_add_nc_u32 v28, s8, v24 :: v_dual_add_nc_u32 v30, s9, v26
	v_lshl_add_u32 v69, v60, 9, v14
	v_lshl_add_u32 v68, v60, 7, 0x5200
	v_dual_mov_b32 v0, 0xfeffffff :: v_dual_mov_b32 v13, v15
	s_delay_alu instid0(VALU_DEP_4) | instskip(SKIP_3) | instid1(VALU_DEP_4)
	v_dual_add_nc_u32 v32, s8, v28 :: v_dual_add_nc_u32 v34, s9, v30
	v_ashrrev_i32_e32 v27, 31, v26
	v_mbcnt_lo_u32_b32 v70, -1, 0
	v_dual_mov_b32 v12, v15 :: v_dual_add_nc_u32 v71, 0x840, v65
	v_add_nc_u32_e32 v36, s8, v32
	v_dual_mov_b32 v5, v15 :: v_dual_add_nc_u32 v72, 0x1080, v65
	v_dual_mov_b32 v4, v15 :: v_dual_add_nc_u32 v73, 0x18c0, v65
	v_dual_mov_b32 v63, v15 :: v_dual_add_nc_u32 v74, 0x2100, v65
	v_dual_mov_b32 v6, v15 :: v_dual_add_nc_u32 v75, 0x2940, v65
	v_dual_mov_b32 v7, v15 :: v_dual_add_nc_u32 v76, 0x3180, v65
	v_dual_mov_b32 v8, v15 :: v_dual_add_nc_u32 v77, 0x39c0, v65
	v_dual_mov_b32 v9, v15 :: v_dual_add_nc_u32 v78, 0x800, v69
	v_dual_mov_b32 v64, v15 :: v_dual_add_nc_u32 v79, 0x1000, v69
	v_dual_add_nc_u32 v1, v2, v1 :: v_dual_ashrrev_i32 v25, 31, v24
	v_add_nc_u32_e32 v38, s9, v34
	v_add_nc_u32_e32 v80, 0x1800, v69
	;; [unrolled: 1-line block ×3, first 2 shown]
	s_delay_alu instid0(VALU_DEP_4) | instskip(NEXT) | instid1(VALU_DEP_4)
	v_dual_lshrrev_b32 v1, s21, v1 :: v_dual_add_nc_u32 v40, s8, v36
	v_dual_add_nc_u32 v42, s9, v38 :: v_dual_ashrrev_i32 v37, 31, v36
	v_ashrrev_i32_e32 v39, 31, v38
	s_delay_alu instid0(VALU_DEP_3) | instskip(NEXT) | instid1(VALU_DEP_3)
	v_mul_lo_u32 v1, v1, s22
	v_dual_add_nc_u32 v44, s8, v40 :: v_dual_add_nc_u32 v46, s9, v42
	v_add_nc_u32_e32 v82, 0x2800, v69
	v_add_nc_u32_e32 v83, 0x3000, v69
	;; [unrolled: 1-line block ×3, first 2 shown]
	s_delay_alu instid0(VALU_DEP_4) | instskip(SKIP_4) | instid1(VALU_DEP_3)
	v_dual_add_nc_u32 v48, s8, v44 :: v_dual_add_nc_u32 v50, s9, v46
	v_dual_ashrrev_i32 v29, 31, v28 :: v_dual_ashrrev_i32 v31, 31, v30
	v_dual_ashrrev_i32 v45, 31, v44 :: v_dual_sub_nc_u32 v1, v2, v1
	v_dual_ashrrev_i32 v33, 31, v32 :: v_dual_ashrrev_i32 v35, 31, v34
	v_dual_ashrrev_i32 v41, 31, v40 :: v_dual_ashrrev_i32 v43, 31, v42
	v_mul_lo_u32 v85, v1, s39
	v_dual_ashrrev_i32 v47, 31, v46 :: v_dual_ashrrev_i32 v49, 31, v48
	v_ashrrev_i32_e32 v51, 31, v50
	v_mov_b32_e32 v1, 0xfeffffff
	s_add_nc_u64 s[8:9], s[0:1], 0xd0
	s_ashr_i32 s15, s14, 31
.LBB49_8:                               ; =>This Inner Loop Header: Depth=1
	s_ashr_i32 s27, s26, 31
	s_and_not1_b32 vcc_lo, exec_lo, s10
	s_mul_u64 s[24:25], s[26:27], s[4:5]
	s_delay_alu instid0(SALU_CYCLE_1) | instskip(NEXT) | instid1(SALU_CYCLE_1)
	s_lshl_b64 s[24:25], s[24:25], 2
	s_add_nc_u64 s[24:25], s[6:7], s[24:25]
	s_delay_alu instid0(SALU_CYCLE_1)
	v_lshl_add_u64 v[2:3], v[22:23], 2, s[24:25]
	v_lshl_add_u64 v[10:11], v[24:25], 2, s[24:25]
	;; [unrolled: 1-line block ×6, first 2 shown]
	v_add_nc_u64_e32 v[2:3], v[2:3], v[14:15]
	v_lshl_add_u64 v[92:93], v[44:45], 2, s[24:25]
	v_lshl_add_u64 v[94:95], v[48:49], 2, s[24:25]
	v_add_nc_u64_e32 v[10:11], v[10:11], v[14:15]
	v_add_nc_u64_e32 v[20:21], v[20:21], v[14:15]
	;; [unrolled: 1-line block ×7, first 2 shown]
	s_clause 0x7
	global_load_b128 v[86:89], v[2:3], off
	global_load_b128 v[90:93], v[10:11], off
	;; [unrolled: 1-line block ×8, first 2 shown]
	s_wait_xcnt 0x7
	v_dual_mov_b32 v2, 0 :: v_dual_add_nc_u32 v3, s26, v57
	s_wait_xcnt 0x6
	v_mov_b32_e32 v10, 0
	s_wait_loadcnt 0x7
	ds_store_b128 v65, v[86:89]
	s_wait_loadcnt 0x6
	ds_store_b128 v71, v[90:93]
	s_wait_loadcnt 0x5
	ds_store_b128 v72, v[94:97]
	s_wait_loadcnt 0x4
	ds_store_b128 v73, v[98:101]
	s_wait_loadcnt 0x3
	ds_store_b128 v74, v[102:105]
	s_wait_loadcnt 0x2
	ds_store_b128 v75, v[106:109]
	s_wait_loadcnt 0x1
	ds_store_b128 v76, v[110:113]
	s_wait_loadcnt 0x0
	ds_store_b128 v77, v[114:117]
	s_wait_dscnt 0x0
	s_barrier_signal -1
	s_barrier_wait -1
	ds_load_b128 v[90:93], v62
	ds_load_b128 v[94:97], v66
	ds_load_b128 v[98:101], v66 offset:512
	v_mov_b32_e32 v89, 0
	s_wait_dscnt 0x1
	;;#ASMSTART
	v_dot2_f32_f16 v2, v90, v94, v2
	;;#ASMEND
	;;#ASMSTART
	v_dot2_f32_f16 v2, v91, v95, v2
	;;#ASMEND
	;;#ASMSTART
	v_dot2_f32_f16 v2, v92, v96, v2
	;;#ASMEND
	;;#ASMSTART
	v_dot2_f32_f16 v2, v93, v97, v2
	;;#ASMEND
	s_wait_dscnt 0x0
	;;#ASMSTART
	v_dot2_f32_f16 v89, v90, v98, v89
	;;#ASMEND
	;;#ASMSTART
	v_dot2_f32_f16 v89, v91, v99, v89
	;;#ASMEND
	;;#ASMSTART
	v_dot2_f32_f16 v89, v92, v100, v89
	;;#ASMEND
	;;#ASMSTART
	v_dot2_f32_f16 v89, v93, v101, v89
	;;#ASMEND
	ds_load_b128 v[90:93], v62 offset:16
	ds_load_b128 v[94:97], v66 offset:16
	ds_load_b128 v[98:101], v66 offset:528
	s_wait_dscnt 0x1
	;;#ASMSTART
	v_dot2_f32_f16 v2, v90, v94, v2
	;;#ASMEND
	;;#ASMSTART
	v_dot2_f32_f16 v2, v91, v95, v2
	;;#ASMEND
	;;#ASMSTART
	v_dot2_f32_f16 v2, v92, v96, v2
	;;#ASMEND
	;;#ASMSTART
	v_dot2_f32_f16 v2, v93, v97, v2
	;;#ASMEND
	s_wait_dscnt 0x0
	;;#ASMSTART
	v_dot2_f32_f16 v89, v90, v98, v89
	;;#ASMEND
	;;#ASMSTART
	v_dot2_f32_f16 v89, v91, v99, v89
	;;#ASMEND
	;;#ASMSTART
	v_dot2_f32_f16 v89, v92, v100, v89
	;;#ASMEND
	;;#ASMSTART
	v_dot2_f32_f16 v89, v93, v101, v89
	;;#ASMEND
	ds_load_b128 v[90:93], v62 offset:32
	ds_load_b128 v[94:97], v66 offset:32
	ds_load_b128 v[98:101], v66 offset:544
	;; [unrolled: 29-line block ×31, first 2 shown]
	s_wait_dscnt 0x1
	;;#ASMSTART
	v_dot2_f32_f16 v2, v90, v94, v2
	;;#ASMEND
	;;#ASMSTART
	v_dot2_f32_f16 v2, v91, v95, v2
	;;#ASMEND
	;;#ASMSTART
	v_dot2_f32_f16 v2, v92, v96, v2
	;;#ASMEND
	;;#ASMSTART
	v_dot2_f32_f16 v2, v93, v97, v2
	;;#ASMEND
	s_wait_dscnt 0x0
	;;#ASMSTART
	v_dot2_f32_f16 v89, v90, v98, v89
	;;#ASMEND
	;;#ASMSTART
	v_dot2_f32_f16 v89, v91, v99, v89
	;;#ASMEND
	;; [unrolled: 3-line block ×4, first 2 shown]
	s_cbranch_vccnz .LBB49_10
; %bb.9:                                ;   in Loop: Header=BB49_8 Depth=1
	v_add_nc_u32_e32 v10, v3, v67
	global_load_u16 v10, v10, s[30:31] scale_offset
	s_wait_loadcnt 0x0
	v_cvt_f32_f16_e32 v10, v10
	s_delay_alu instid0(VALU_DEP_1)
	v_mul_f32_e32 v10, v61, v10
.LBB49_10:                              ;   in Loop: Header=BB49_8 Depth=1
	v_dual_max_num_f32 v20, v0, v0 :: v_dual_bitop2_b32 v11, 16, v70 bitop3:0x14
	s_delay_alu instid0(VALU_DEP_2) | instskip(SKIP_1) | instid1(VALU_DEP_3)
	v_add_f32_e32 v2, v2, v10
	v_xor_b32_e32 v21, 8, v70
	v_cmp_gt_i32_e32 vcc_lo, 32, v11
	v_cndmask_b32_e32 v10, v70, v11, vcc_lo
	s_delay_alu instid0(VALU_DEP_3) | instskip(NEXT) | instid1(VALU_DEP_2)
	v_cmp_gt_i32_e32 vcc_lo, 32, v21
	v_lshlrev_b32_e32 v10, 2, v10
	v_add_f32_e32 v11, 0x40051340, v2
	s_delay_alu instid0(VALU_DEP_1) | instskip(SKIP_3) | instid1(VALU_DEP_1)
	v_max_num_f32_e32 v20, v20, v11
	ds_bpermute_b32 v11, v10, v20
	s_wait_dscnt 0x0
	v_dual_cndmask_b32 v21, v70, v21 :: v_dual_max_num_f32 v86, v11, v11
	v_dual_max_num_f32 v20, v20, v86 :: v_dual_lshlrev_b32 v11, 2, v21
	ds_bpermute_b32 v21, v11, v20
	s_wait_dscnt 0x0
	v_dual_max_num_f32 v87, v21, v21 :: v_dual_bitop2_b32 v86, 4, v70 bitop3:0x14
	s_delay_alu instid0(VALU_DEP_1) | instskip(NEXT) | instid1(VALU_DEP_2)
	v_cmp_gt_i32_e32 vcc_lo, 32, v86
	v_dual_max_num_f32 v20, v20, v87 :: v_dual_cndmask_b32 v86, v70, v86, vcc_lo
	v_xor_b32_e32 v87, 2, v70
	s_delay_alu instid0(VALU_DEP_1) | instskip(NEXT) | instid1(VALU_DEP_3)
	v_cmp_gt_i32_e32 vcc_lo, 32, v87
	v_dual_lshlrev_b32 v21, 2, v86 :: v_dual_cndmask_b32 v87, v70, v87, vcc_lo
	ds_bpermute_b32 v86, v21, v20
	s_wait_dscnt 0x0
	v_dual_max_num_f32 v88, v86, v86 :: v_dual_lshlrev_b32 v86, 2, v87
	s_delay_alu instid0(VALU_DEP_1) | instskip(SKIP_3) | instid1(VALU_DEP_1)
	v_max_num_f32_e32 v20, v20, v88
	ds_bpermute_b32 v87, v86, v20
	s_wait_dscnt 0x0
	v_dual_max_num_f32 v90, v87, v87 :: v_dual_bitop2_b32 v88, 1, v70 bitop3:0x14
	v_cmp_gt_i32_e32 vcc_lo, 32, v88
	s_delay_alu instid0(VALU_DEP_2) | instskip(SKIP_1) | instid1(VALU_DEP_1)
	v_dual_max_num_f32 v20, v20, v90 :: v_dual_cndmask_b32 v88, v70, v88, vcc_lo
	s_and_not1_b32 vcc_lo, exec_lo, s10
	v_lshlrev_b32_e32 v87, 2, v88
	ds_bpermute_b32 v88, v87, v20
	s_cbranch_vccnz .LBB49_12
; %bb.11:                               ;   in Loop: Header=BB49_8 Depth=1
	v_add_nc_u32_e32 v3, v3, v85
	global_load_u16 v3, v3, s[30:31] scale_offset
	s_wait_loadcnt 0x0
	v_cvt_f32_f16_e32 v3, v3
	s_delay_alu instid0(VALU_DEP_1)
	v_mul_f32_e32 v3, v61, v3
	s_branch .LBB49_13
.LBB49_12:                              ;   in Loop: Header=BB49_8 Depth=1
	v_mov_b32_e32 v3, 0
.LBB49_13:                              ;   in Loop: Header=BB49_8 Depth=1
	s_wait_dscnt 0x0
	s_delay_alu instid0(VALU_DEP_1) | instskip(SKIP_2) | instid1(SALU_CYCLE_1)
	v_dual_max_num_f32 v88, v88, v88 :: v_dual_add_f32 v3, v89, v3
	v_dual_max_num_f32 v20, v20, v20 :: v_dual_max_num_f32 v89, v1, v1
	s_mul_u64 s[24:25], s[26:27], s[14:15]
	s_lshl_b64 s[24:25], s[24:25], 2
	s_delay_alu instid0(VALU_DEP_1) | instskip(SKIP_4) | instid1(VALU_DEP_1)
	v_max_num_f32_e32 v20, v20, v88
	v_add_f32_e32 v88, 0x40051340, v3
	s_add_nc_u64 s[24:25], s[34:35], s[24:25]
	s_barrier_signal -1
	s_barrier_wait -1
	v_max_num_f32_e32 v88, v89, v88
	v_dual_sub_f32 v2, v2, v20 :: v_dual_sub_f32 v0, v0, v20
	ds_bpermute_b32 v10, v10, v88
	v_cmp_ngt_f32_e32 vcc_lo, 0xc2ce8ed0, v0
	s_wait_dscnt 0x0
	v_max_num_f32_e32 v10, v10, v10
	s_delay_alu instid0(VALU_DEP_1) | instskip(SKIP_3) | instid1(VALU_DEP_1)
	v_max_num_f32_e32 v10, v88, v10
	ds_bpermute_b32 v11, v11, v10
	s_wait_dscnt 0x0
	v_max_num_f32_e32 v11, v11, v11
	v_max_num_f32_e32 v10, v10, v11
	ds_bpermute_b32 v11, v21, v10
	s_wait_dscnt 0x0
	v_max_num_f32_e32 v11, v11, v11
	s_delay_alu instid0(VALU_DEP_1) | instskip(SKIP_3) | instid1(VALU_DEP_1)
	v_max_num_f32_e32 v10, v10, v11
	ds_bpermute_b32 v11, v86, v10
	s_wait_dscnt 0x0
	v_max_num_f32_e32 v11, v11, v11
	v_max_num_f32_e32 v10, v10, v11
	ds_bpermute_b32 v11, v87, v10
	s_wait_dscnt 0x0
	v_max_num_f32_e32 v11, v11, v11
	s_delay_alu instid0(VALU_DEP_1) | instskip(NEXT) | instid1(VALU_DEP_1)
	v_dual_max_num_f32 v21, v10, v11 :: v_dual_mul_f32 v10, 0x3fb8aa3b, v0
	v_sub_f32_e32 v1, v1, v21
	s_delay_alu instid0(VALU_DEP_2) | instskip(SKIP_2) | instid1(VALU_DEP_2)
	v_fma_f32 v11, 0x3fb8aa3b, v0, -v10
	v_rndne_f32_e32 v86, v10
	v_sub_f32_e32 v3, v3, v21
	v_dual_fmac_f32 v11, 0x32a5705f, v0 :: v_dual_sub_f32 v10, v10, v86
	s_delay_alu instid0(VALU_DEP_1) | instskip(SKIP_1) | instid1(VALU_DEP_2)
	v_add_f32_e32 v10, v10, v11
	v_cvt_i32_f32_e32 v11, v86
	v_exp_f32_e32 v10, v10
	v_nop
	s_delay_alu instid0(TRANS32_DEP_1) | instskip(NEXT) | instid1(VALU_DEP_1)
	v_ldexp_f32 v10, v10, v11
	v_cndmask_b32_e32 v10, 0, v10, vcc_lo
	v_cmp_nlt_f32_e32 vcc_lo, 0x42b17218, v0
	s_delay_alu instid0(VALU_DEP_2) | instskip(SKIP_2) | instid1(VALU_DEP_2)
	v_cndmask_b32_e32 v0, 0x7f800000, v10, vcc_lo
	v_mul_f32_e32 v10, 0x3fb8aa3b, v2
	v_cmp_ngt_f32_e32 vcc_lo, 0xc2ce8ed0, v2
	v_fma_f32 v11, 0x3fb8aa3b, v2, -v10
	v_rndne_f32_e32 v86, v10
	s_delay_alu instid0(VALU_DEP_2) | instskip(NEXT) | instid1(VALU_DEP_2)
	v_fmac_f32_e32 v11, 0x32a5705f, v2
	v_sub_f32_e32 v10, v10, v86
	s_delay_alu instid0(VALU_DEP_1) | instskip(SKIP_1) | instid1(VALU_DEP_2)
	v_add_f32_e32 v10, v10, v11
	v_cvt_i32_f32_e32 v11, v86
	v_exp_f32_e32 v10, v10
	v_nop
	s_delay_alu instid0(TRANS32_DEP_1) | instskip(NEXT) | instid1(VALU_DEP_1)
	v_ldexp_f32 v10, v10, v11
	v_cndmask_b32_e32 v10, 0, v10, vcc_lo
	v_cmp_nlt_f32_e32 vcc_lo, 0x42b17218, v2
	s_delay_alu instid0(VALU_DEP_2) | instskip(SKIP_2) | instid1(VALU_DEP_2)
	v_cndmask_b32_e32 v2, 0x7f800000, v10, vcc_lo
	v_cvt_f16_f32_e32 v10, v0
	v_cmp_ngt_f32_e32 vcc_lo, 0xc2ce8ed0, v1
	v_and_b32_e32 v10, 0xffff, v10
	s_delay_alu instid0(VALU_DEP_1) | instskip(NEXT) | instid1(VALU_DEP_1)
	v_mul_u32_u24_e32 v89, 0x10001, v10
	v_pk_mul_f16 v86, v7, v89
	v_mul_f32_e32 v7, 0x3fb8aa3b, v1
	v_pk_mul_f16 v88, v9, v89
	v_pk_mul_f16 v87, v8, v89
	s_delay_alu instid0(VALU_DEP_3) | instskip(SKIP_1) | instid1(VALU_DEP_2)
	v_fma_f32 v8, 0x3fb8aa3b, v1, -v7
	v_rndne_f32_e32 v9, v7
	v_fmac_f32_e32 v8, 0x32a5705f, v1
	s_delay_alu instid0(VALU_DEP_2) | instskip(NEXT) | instid1(VALU_DEP_1)
	v_sub_f32_e32 v7, v7, v9
	v_add_f32_e32 v7, v7, v8
	v_cvt_i32_f32_e32 v8, v9
	s_delay_alu instid0(VALU_DEP_2) | instskip(SKIP_1) | instid1(TRANS32_DEP_1)
	v_exp_f32_e32 v7, v7
	v_nop
	v_ldexp_f32 v7, v7, v8
	s_delay_alu instid0(VALU_DEP_1) | instskip(SKIP_1) | instid1(VALU_DEP_2)
	v_cndmask_b32_e32 v7, 0, v7, vcc_lo
	v_cmp_nlt_f32_e32 vcc_lo, 0x42b17218, v1
	v_cndmask_b32_e32 v1, 0x7f800000, v7, vcc_lo
	v_mul_f32_e32 v7, 0x3fb8aa3b, v3
	v_cmp_ngt_f32_e32 vcc_lo, 0xc2ce8ed0, v3
	s_delay_alu instid0(VALU_DEP_2) | instskip(SKIP_1) | instid1(VALU_DEP_1)
	v_fma_f32 v8, 0x3fb8aa3b, v3, -v7
	v_rndne_f32_e32 v9, v7
	v_dual_fmac_f32 v8, 0x32a5705f, v3 :: v_dual_sub_f32 v7, v7, v9
	s_delay_alu instid0(VALU_DEP_1) | instskip(SKIP_1) | instid1(VALU_DEP_2)
	v_add_f32_e32 v7, v7, v8
	v_cvt_i32_f32_e32 v8, v9
	v_exp_f32_e32 v7, v7
	v_nop
	s_delay_alu instid0(TRANS32_DEP_1) | instskip(NEXT) | instid1(VALU_DEP_1)
	v_ldexp_f32 v7, v7, v8
	v_cndmask_b32_e32 v7, 0, v7, vcc_lo
	v_cmp_nlt_f32_e32 vcc_lo, 0x42b17218, v3
	s_delay_alu instid0(VALU_DEP_2) | instskip(NEXT) | instid1(VALU_DEP_1)
	v_cndmask_b32_e32 v3, 0x7f800000, v7, vcc_lo
	v_pk_fma_f32 v[12:13], v[12:13], v[0:1], v[2:3]
	v_cvt_f16_f32_e32 v0, v1
	v_cvt_pk_f16_f32 v1, v2, v3
	v_lshl_add_u64 v[2:3], v[26:27], 2, s[24:25]
	s_delay_alu instid0(VALU_DEP_3) | instskip(NEXT) | instid1(VALU_DEP_1)
	v_and_b32_e32 v0, 0xffff, v0
	v_mul_u32_u24_e32 v93, 0x10001, v0
	v_add_nc_u32_e32 v0, v68, v55
	s_delay_alu instid0(VALU_DEP_2)
	v_pk_mul_f16 v91, v5, v93
	v_pk_mul_f16 v90, v4, v93
	v_add_nc_u64_e32 v[4:5], v[2:3], v[14:15]
	v_lshl_add_u64 v[2:3], v[30:31], 2, s[24:25]
	v_pk_mul_f16 v92, v6, v93
	ds_store_b32 v0, v1
	v_lshl_add_u64 v[0:1], v[16:17], 2, s[24:25]
	v_add_nc_u64_e32 v[6:7], v[2:3], v[14:15]
	v_lshl_add_u64 v[2:3], v[34:35], 2, s[24:25]
	s_delay_alu instid0(VALU_DEP_3) | instskip(NEXT) | instid1(VALU_DEP_2)
	v_add_nc_u64_e32 v[0:1], v[0:1], v[14:15]
	v_add_nc_u64_e32 v[8:9], v[2:3], v[14:15]
	v_lshl_add_u64 v[2:3], v[38:39], 2, s[24:25]
	s_delay_alu instid0(VALU_DEP_1) | instskip(SKIP_1) | instid1(VALU_DEP_1)
	v_add_nc_u64_e32 v[10:11], v[2:3], v[14:15]
	v_lshl_add_u64 v[2:3], v[42:43], 2, s[24:25]
	v_add_nc_u64_e32 v[94:95], v[2:3], v[14:15]
	v_lshl_add_u64 v[2:3], v[46:47], 2, s[24:25]
	s_delay_alu instid0(VALU_DEP_1) | instskip(SKIP_1) | instid1(VALU_DEP_1)
	v_add_nc_u64_e32 v[96:97], v[2:3], v[14:15]
	v_lshl_add_u64 v[2:3], v[50:51], 2, s[24:25]
	v_add_nc_u64_e32 v[98:99], v[2:3], v[14:15]
	global_load_b128 v[0:3], v[0:1], off
	s_wait_loadcnt 0x0
	ds_store_b128 v69, v[0:3]
	global_load_b128 v[0:3], v[4:5], off
	s_wait_loadcnt 0x0
	ds_store_b128 v78, v[0:3]
	;; [unrolled: 3-line block ×8, first 2 shown]
	s_wait_dscnt 0x0
	s_barrier_signal -1
	s_barrier_wait -1
	ds_load_2addr_b64 v[94:97], v59 offset1:32
	ds_load_b128 v[98:101], v68
	ds_load_b128 v[8:11], v68 offset:16
	ds_load_b128 v[4:7], v68 offset:32
	;; [unrolled: 1-line block ×3, first 2 shown]
	s_wait_dscnt 0x3
	v_lshrrev_b32_e32 v102, 16, v98
	v_and_b32_e32 v98, 0xffff, v98
	s_delay_alu instid0(VALU_DEP_2) | instskip(NEXT) | instid1(VALU_DEP_2)
	v_mul_u32_u24_e32 v102, 0x10001, v102
	v_mul_u32_u24_e32 v98, 0x10001, v98
	s_delay_alu instid0(VALU_DEP_2) | instskip(NEXT) | instid1(VALU_DEP_2)
	v_pk_fma_f16 v92, v95, v102, v92
	v_pk_mul_f16 v103, v94, v98
	v_pk_fma_f16 v91, v96, v102, v91
	v_pk_fma_f16 v90, v97, v102, v90
	s_delay_alu instid0(VALU_DEP_3) | instskip(SKIP_3) | instid1(VALU_DEP_3)
	v_pk_fma_f16 v64, v64, v89, v103
	v_pk_mul_f16 v89, v94, v102
	v_pk_fma_f16 v94, v96, v98, v87
	v_lshrrev_b32_e32 v96, 16, v99
	v_pk_fma_f16 v63, v63, v93, v89
	v_pk_fma_f16 v93, v95, v98, v88
	v_pk_fma_f16 v95, v97, v98, v86
	ds_load_2addr_b64 v[86:89], v59 offset0:64 offset1:96
	v_and_b32_e32 v97, 0xffff, v99
	v_mul_u32_u24_e32 v96, 0x10001, v96
	s_delay_alu instid0(VALU_DEP_2) | instskip(SKIP_1) | instid1(VALU_DEP_1)
	v_mul_u32_u24_e32 v97, 0x10001, v97
	s_wait_dscnt 0x0
	v_pk_fma_f16 v64, v86, v97, v64
	s_delay_alu instid0(VALU_DEP_3)
	v_pk_fma_f16 v63, v86, v96, v63
	v_pk_fma_f16 v93, v87, v97, v93
	;; [unrolled: 1-line block ×7, first 2 shown]
	ds_load_2addr_b64 v[86:89], v59 offset0:128 offset1:160
	v_lshrrev_b32_e32 v96, 16, v100
	v_and_b32_e32 v97, 0xffff, v100
	s_delay_alu instid0(VALU_DEP_2) | instskip(NEXT) | instid1(VALU_DEP_2)
	v_mul_u32_u24_e32 v96, 0x10001, v96
	v_mul_u32_u24_e32 v97, 0x10001, v97
	s_wait_dscnt 0x0
	s_delay_alu instid0(VALU_DEP_1) | instskip(NEXT) | instid1(VALU_DEP_3)
	v_pk_fma_f16 v64, v86, v97, v64
	v_pk_fma_f16 v63, v86, v96, v63
	;; [unrolled: 1-line block ×8, first 2 shown]
	ds_load_2addr_b64 v[86:89], v59 offset0:192 offset1:224
	v_lshrrev_b32_e32 v96, 16, v101
	v_and_b32_e32 v97, 0xffff, v101
	s_delay_alu instid0(VALU_DEP_2) | instskip(NEXT) | instid1(VALU_DEP_2)
	v_mul_u32_u24_e32 v96, 0x10001, v96
	v_mul_u32_u24_e32 v97, 0x10001, v97
	s_wait_dscnt 0x0
	s_delay_alu instid0(VALU_DEP_2)
	v_pk_fma_f16 v63, v86, v96, v63
	v_pk_fma_f16 v92, v87, v96, v92
	;; [unrolled: 1-line block ×4, first 2 shown]
	v_add_nc_u32_e32 v96, 0x800, v59
	v_pk_fma_f16 v64, v86, v97, v64
	v_pk_fma_f16 v93, v87, v97, v93
	;; [unrolled: 1-line block ×4, first 2 shown]
	ds_load_2addr_b64 v[86:89], v96 offset1:32
	v_lshrrev_b32_e32 v97, 16, v8
	v_and_b32_e32 v8, 0xffff, v8
	s_delay_alu instid0(VALU_DEP_2) | instskip(NEXT) | instid1(VALU_DEP_2)
	v_mul_u32_u24_e32 v97, 0x10001, v97
	v_mul_u32_u24_e32 v8, 0x10001, v8
	s_wait_dscnt 0x0
	s_delay_alu instid0(VALU_DEP_1) | instskip(NEXT) | instid1(VALU_DEP_3)
	v_pk_fma_f16 v64, v86, v8, v64
	v_pk_fma_f16 v63, v86, v97, v63
	;; [unrolled: 1-line block ×8, first 2 shown]
	ds_load_2addr_b64 v[86:89], v96 offset0:64 offset1:96
	v_lshrrev_b32_e32 v95, 16, v9
	v_and_b32_e32 v9, 0xffff, v9
	s_delay_alu instid0(VALU_DEP_2) | instskip(NEXT) | instid1(VALU_DEP_2)
	v_mul_u32_u24_e32 v95, 0x10001, v95
	v_mul_u32_u24_e32 v9, 0x10001, v9
	s_wait_dscnt 0x0
	s_delay_alu instid0(VALU_DEP_1) | instskip(NEXT) | instid1(VALU_DEP_3)
	v_pk_fma_f16 v64, v86, v9, v64
	v_pk_fma_f16 v63, v86, v95, v63
	;; [unrolled: 1-line block ×8, first 2 shown]
	ds_load_2addr_b64 v[86:89], v96 offset0:128 offset1:160
	v_lshrrev_b32_e32 v90, 16, v10
	v_and_b32_e32 v10, 0xffff, v10
	s_delay_alu instid0(VALU_DEP_1) | instskip(SKIP_1) | instid1(VALU_DEP_1)
	v_mul_u32_u24_e32 v10, 0x10001, v10
	s_wait_dscnt 0x0
	v_pk_fma_f16 v64, v86, v10, v64
	v_pk_fma_f16 v93, v87, v10, v93
	;; [unrolled: 1-line block ×4, first 2 shown]
	v_lshrrev_b32_e32 v10, 16, v11
	v_mul_u32_u24_e32 v90, 0x10001, v90
	v_and_b32_e32 v11, 0xffff, v11
	s_delay_alu instid0(VALU_DEP_3) | instskip(NEXT) | instid1(VALU_DEP_3)
	v_mul_u32_u24_e32 v10, 0x10001, v10
	v_pk_fma_f16 v63, v86, v90, v63
	v_pk_fma_f16 v92, v87, v90, v92
	v_pk_fma_f16 v91, v88, v90, v91
	v_pk_fma_f16 v9, v89, v90, v9
	ds_load_2addr_b64 v[86:89], v96 offset0:192 offset1:224
	v_mul_u32_u24_e32 v11, 0x10001, v11
	s_wait_dscnt 0x0
	s_delay_alu instid0(VALU_DEP_1)
	v_pk_fma_f16 v64, v86, v11, v64
	v_pk_fma_f16 v63, v86, v10, v63
	;; [unrolled: 1-line block ×4, first 2 shown]
	v_add_nc_u32_e32 v92, 0x1000, v59
	v_pk_fma_f16 v90, v88, v11, v94
	v_pk_fma_f16 v88, v88, v10, v91
	;; [unrolled: 1-line block ×4, first 2 shown]
	ds_load_2addr_b64 v[8:11], v92 offset1:32
	v_lshrrev_b32_e32 v93, 16, v4
	v_and_b32_e32 v4, 0xffff, v4
	s_delay_alu instid0(VALU_DEP_1) | instskip(SKIP_1) | instid1(VALU_DEP_1)
	v_mul_u32_u24_e32 v4, 0x10001, v4
	s_wait_dscnt 0x0
	v_pk_fma_f16 v64, v8, v4, v64
	v_pk_fma_f16 v86, v9, v4, v86
	;; [unrolled: 1-line block ×4, first 2 shown]
	v_lshrrev_b32_e32 v91, 16, v5
	v_mul_u32_u24_e32 v93, 0x10001, v93
	v_and_b32_e32 v5, 0xffff, v5
	s_delay_alu instid0(VALU_DEP_3) | instskip(NEXT) | instid1(VALU_DEP_3)
	v_mul_u32_u24_e32 v91, 0x10001, v91
	v_pk_fma_f16 v63, v8, v93, v63
	v_pk_fma_f16 v87, v9, v93, v87
	;; [unrolled: 1-line block ×4, first 2 shown]
	ds_load_2addr_b64 v[8:11], v92 offset0:64 offset1:96
	v_mul_u32_u24_e32 v5, 0x10001, v5
	s_wait_dscnt 0x0
	s_delay_alu instid0(VALU_DEP_1)
	v_pk_fma_f16 v64, v8, v5, v64
	v_pk_fma_f16 v63, v8, v91, v63
	;; [unrolled: 1-line block ×8, first 2 shown]
	ds_load_2addr_b64 v[8:11], v92 offset0:128 offset1:160
	v_lshrrev_b32_e32 v89, 16, v6
	v_and_b32_e32 v6, 0xffff, v6
	s_delay_alu instid0(VALU_DEP_1) | instskip(SKIP_1) | instid1(VALU_DEP_1)
	v_mul_u32_u24_e32 v6, 0x10001, v6
	s_wait_dscnt 0x0
	v_pk_fma_f16 v64, v8, v6, v64
	v_pk_fma_f16 v86, v9, v6, v86
	v_pk_fma_f16 v90, v10, v6, v90
	v_pk_fma_f16 v4, v11, v6, v4
	v_lshrrev_b32_e32 v6, 16, v7
	v_mul_u32_u24_e32 v89, 0x10001, v89
	v_and_b32_e32 v7, 0xffff, v7
	s_delay_alu instid0(VALU_DEP_3) | instskip(NEXT) | instid1(VALU_DEP_3)
	v_mul_u32_u24_e32 v6, 0x10001, v6
	v_pk_fma_f16 v63, v8, v89, v63
	v_pk_fma_f16 v87, v9, v89, v87
	;; [unrolled: 1-line block ×4, first 2 shown]
	ds_load_2addr_b64 v[8:11], v92 offset0:192 offset1:224
	v_mul_u32_u24_e32 v7, 0x10001, v7
	v_lshrrev_b32_e32 v89, 16, v0
	v_and_b32_e32 v0, 0xffff, v0
	s_delay_alu instid0(VALU_DEP_1)
	v_mul_u32_u24_e32 v0, 0x10001, v0
	s_wait_dscnt 0x0
	v_pk_fma_f16 v64, v8, v7, v64
	v_pk_fma_f16 v8, v8, v6, v63
	;; [unrolled: 1-line block ×5, first 2 shown]
	v_add_nc_u32_e32 v88, 0x1800, v59
	v_pk_fma_f16 v9, v9, v6, v87
	v_pk_fma_f16 v87, v11, v7, v4
	;; [unrolled: 1-line block ×3, first 2 shown]
	ds_load_2addr_b64 v[4:7], v88 offset1:32
	s_wait_dscnt 0x0
	v_pk_fma_f16 v64, v4, v0, v64
	v_pk_fma_f16 v63, v5, v0, v63
	;; [unrolled: 1-line block ×4, first 2 shown]
	v_lshrrev_b32_e32 v87, 16, v1
	v_mul_u32_u24_e32 v89, 0x10001, v89
	v_and_b32_e32 v1, 0xffff, v1
	s_delay_alu instid0(VALU_DEP_3) | instskip(NEXT) | instid1(VALU_DEP_3)
	v_mul_u32_u24_e32 v87, 0x10001, v87
	v_pk_fma_f16 v8, v4, v89, v8
	v_pk_fma_f16 v9, v5, v89, v9
	;; [unrolled: 1-line block ×4, first 2 shown]
	ds_load_2addr_b64 v[4:7], v88 offset0:64 offset1:96
	v_mul_u32_u24_e32 v1, 0x10001, v1
	s_wait_dscnt 0x0
	s_delay_alu instid0(VALU_DEP_1)
	v_pk_fma_f16 v64, v4, v1, v64
	v_pk_fma_f16 v8, v4, v87, v8
	;; [unrolled: 1-line block ×8, first 2 shown]
	ds_load_2addr_b64 v[4:7], v88 offset0:128 offset1:160
	v_lshrrev_b32_e32 v11, 16, v2
	v_and_b32_e32 v2, 0xffff, v2
	s_delay_alu instid0(VALU_DEP_1) | instskip(SKIP_1) | instid1(VALU_DEP_1)
	v_mul_u32_u24_e32 v2, 0x10001, v2
	s_wait_dscnt 0x0
	v_pk_fma_f16 v64, v4, v2, v64
	v_pk_fma_f16 v63, v5, v2, v63
	;; [unrolled: 1-line block ×4, first 2 shown]
	v_lshrrev_b32_e32 v2, 16, v3
	v_mul_u32_u24_e32 v11, 0x10001, v11
	v_and_b32_e32 v3, 0xffff, v3
	s_delay_alu instid0(VALU_DEP_3) | instskip(NEXT) | instid1(VALU_DEP_3)
	v_mul_u32_u24_e32 v2, 0x10001, v2
	v_pk_fma_f16 v8, v4, v11, v8
	v_pk_fma_f16 v9, v5, v11, v9
	;; [unrolled: 1-line block ×4, first 2 shown]
	ds_load_2addr_b64 v[4:7], v88 offset0:192 offset1:224
	v_mul_u32_u24_e32 v3, 0x10001, v3
	v_add_nc_u32_e32 v88, 0x2000, v59
	s_wait_dscnt 0x0
	s_delay_alu instid0(VALU_DEP_2)
	v_pk_fma_f16 v11, v4, v3, v64
	v_pk_fma_f16 v8, v4, v2, v8
	;; [unrolled: 1-line block ×8, first 2 shown]
	ds_load_2addr_b64 v[0:3], v88 offset1:32
	ds_load_b128 v[4:7], v68 offset:64
	s_wait_dscnt 0x0
	v_lshrrev_b32_e32 v89, 16, v4
	v_and_b32_e32 v4, 0xffff, v4
	s_delay_alu instid0(VALU_DEP_2) | instskip(NEXT) | instid1(VALU_DEP_2)
	v_mul_u32_u24_e32 v89, 0x10001, v89
	v_mul_u32_u24_e32 v4, 0x10001, v4
	s_delay_alu instid0(VALU_DEP_2) | instskip(NEXT) | instid1(VALU_DEP_2)
	v_pk_fma_f16 v8, v0, v89, v8
	v_pk_fma_f16 v11, v0, v4, v11
	;; [unrolled: 1-line block ×8, first 2 shown]
	ds_load_2addr_b64 v[0:3], v88 offset0:64 offset1:96
	v_lshrrev_b32_e32 v87, 16, v5
	v_and_b32_e32 v5, 0xffff, v5
	s_delay_alu instid0(VALU_DEP_2) | instskip(NEXT) | instid1(VALU_DEP_2)
	v_mul_u32_u24_e32 v87, 0x10001, v87
	v_mul_u32_u24_e32 v5, 0x10001, v5
	s_wait_dscnt 0x0
	s_delay_alu instid0(VALU_DEP_1) | instskip(NEXT) | instid1(VALU_DEP_3)
	v_pk_fma_f16 v11, v0, v5, v11
	v_pk_fma_f16 v8, v0, v87, v8
	;; [unrolled: 1-line block ×8, first 2 shown]
	ds_load_2addr_b64 v[0:3], v88 offset0:128 offset1:160
	v_lshrrev_b32_e32 v86, 16, v6
	v_and_b32_e32 v6, 0xffff, v6
	s_delay_alu instid0(VALU_DEP_1) | instskip(SKIP_1) | instid1(VALU_DEP_1)
	v_mul_u32_u24_e32 v6, 0x10001, v6
	s_wait_dscnt 0x0
	v_pk_fma_f16 v11, v0, v6, v11
	v_pk_fma_f16 v63, v1, v6, v63
	;; [unrolled: 1-line block ×4, first 2 shown]
	v_lshrrev_b32_e32 v6, 16, v7
	v_mul_u32_u24_e32 v86, 0x10001, v86
	v_and_b32_e32 v7, 0xffff, v7
	s_delay_alu instid0(VALU_DEP_3) | instskip(NEXT) | instid1(VALU_DEP_3)
	v_mul_u32_u24_e32 v6, 0x10001, v6
	v_pk_fma_f16 v8, v0, v86, v8
	v_pk_fma_f16 v9, v1, v86, v9
	;; [unrolled: 1-line block ×4, first 2 shown]
	ds_load_2addr_b64 v[0:3], v88 offset0:192 offset1:224
	v_mul_u32_u24_e32 v7, 0x10001, v7
	v_add_nc_u32_e32 v88, 0x2800, v59
	s_wait_dscnt 0x0
	s_delay_alu instid0(VALU_DEP_2)
	v_pk_fma_f16 v11, v0, v7, v11
	v_pk_fma_f16 v8, v0, v6, v8
	v_pk_fma_f16 v63, v1, v7, v63
	v_pk_fma_f16 v9, v1, v6, v9
	v_pk_fma_f16 v64, v2, v7, v64
	v_pk_fma_f16 v10, v2, v6, v10
	v_pk_fma_f16 v86, v3, v7, v4
	v_pk_fma_f16 v87, v3, v6, v5
	ds_load_2addr_b64 v[0:3], v88 offset1:32
	ds_load_b128 v[4:7], v68 offset:80
	s_wait_dscnt 0x0
	v_lshrrev_b32_e32 v89, 16, v4
	v_and_b32_e32 v4, 0xffff, v4
	s_delay_alu instid0(VALU_DEP_2) | instskip(NEXT) | instid1(VALU_DEP_2)
	v_mul_u32_u24_e32 v89, 0x10001, v89
	v_mul_u32_u24_e32 v4, 0x10001, v4
	s_delay_alu instid0(VALU_DEP_2) | instskip(NEXT) | instid1(VALU_DEP_2)
	v_pk_fma_f16 v8, v0, v89, v8
	v_pk_fma_f16 v11, v0, v4, v11
	;; [unrolled: 1-line block ×8, first 2 shown]
	ds_load_2addr_b64 v[0:3], v88 offset0:64 offset1:96
	v_lshrrev_b32_e32 v87, 16, v5
	v_and_b32_e32 v5, 0xffff, v5
	s_delay_alu instid0(VALU_DEP_2) | instskip(NEXT) | instid1(VALU_DEP_2)
	v_mul_u32_u24_e32 v87, 0x10001, v87
	v_mul_u32_u24_e32 v5, 0x10001, v5
	s_wait_dscnt 0x0
	s_delay_alu instid0(VALU_DEP_1) | instskip(NEXT) | instid1(VALU_DEP_3)
	v_pk_fma_f16 v11, v0, v5, v11
	v_pk_fma_f16 v8, v0, v87, v8
	v_pk_fma_f16 v63, v1, v5, v63
	v_pk_fma_f16 v9, v1, v87, v9
	v_pk_fma_f16 v64, v2, v5, v64
	v_pk_fma_f16 v10, v2, v87, v10
	v_pk_fma_f16 v4, v3, v5, v4
	v_pk_fma_f16 v5, v3, v87, v86
	ds_load_2addr_b64 v[0:3], v88 offset0:128 offset1:160
	v_lshrrev_b32_e32 v86, 16, v6
	v_and_b32_e32 v6, 0xffff, v6
	s_delay_alu instid0(VALU_DEP_1) | instskip(SKIP_1) | instid1(VALU_DEP_1)
	v_mul_u32_u24_e32 v6, 0x10001, v6
	s_wait_dscnt 0x0
	v_pk_fma_f16 v11, v0, v6, v11
	v_pk_fma_f16 v63, v1, v6, v63
	;; [unrolled: 1-line block ×4, first 2 shown]
	v_lshrrev_b32_e32 v6, 16, v7
	v_mul_u32_u24_e32 v86, 0x10001, v86
	v_and_b32_e32 v7, 0xffff, v7
	s_delay_alu instid0(VALU_DEP_3) | instskip(NEXT) | instid1(VALU_DEP_3)
	v_mul_u32_u24_e32 v6, 0x10001, v6
	v_pk_fma_f16 v8, v0, v86, v8
	v_pk_fma_f16 v9, v1, v86, v9
	;; [unrolled: 1-line block ×4, first 2 shown]
	ds_load_2addr_b64 v[0:3], v88 offset0:192 offset1:224
	v_mul_u32_u24_e32 v7, 0x10001, v7
	v_add_nc_u32_e32 v88, 0x3000, v59
	s_wait_dscnt 0x0
	s_delay_alu instid0(VALU_DEP_2)
	v_pk_fma_f16 v11, v0, v7, v11
	v_pk_fma_f16 v8, v0, v6, v8
	;; [unrolled: 1-line block ×8, first 2 shown]
	ds_load_2addr_b64 v[0:3], v88 offset1:32
	ds_load_b128 v[4:7], v68 offset:96
	s_wait_dscnt 0x0
	v_lshrrev_b32_e32 v89, 16, v4
	v_and_b32_e32 v4, 0xffff, v4
	s_delay_alu instid0(VALU_DEP_2) | instskip(NEXT) | instid1(VALU_DEP_2)
	v_mul_u32_u24_e32 v89, 0x10001, v89
	v_mul_u32_u24_e32 v4, 0x10001, v4
	s_delay_alu instid0(VALU_DEP_2) | instskip(NEXT) | instid1(VALU_DEP_2)
	v_pk_fma_f16 v8, v0, v89, v8
	v_pk_fma_f16 v11, v0, v4, v11
	v_pk_fma_f16 v63, v1, v4, v63
	v_pk_fma_f16 v9, v1, v89, v9
	v_pk_fma_f16 v64, v2, v4, v64
	v_pk_fma_f16 v10, v2, v89, v10
	v_pk_fma_f16 v4, v3, v4, v86
	v_pk_fma_f16 v86, v3, v89, v87
	ds_load_2addr_b64 v[0:3], v88 offset0:64 offset1:96
	v_lshrrev_b32_e32 v87, 16, v5
	v_and_b32_e32 v5, 0xffff, v5
	s_delay_alu instid0(VALU_DEP_2) | instskip(NEXT) | instid1(VALU_DEP_2)
	v_mul_u32_u24_e32 v87, 0x10001, v87
	v_mul_u32_u24_e32 v5, 0x10001, v5
	s_wait_dscnt 0x0
	s_delay_alu instid0(VALU_DEP_1) | instskip(NEXT) | instid1(VALU_DEP_3)
	v_pk_fma_f16 v11, v0, v5, v11
	v_pk_fma_f16 v8, v0, v87, v8
	;; [unrolled: 1-line block ×8, first 2 shown]
	ds_load_2addr_b64 v[0:3], v88 offset0:128 offset1:160
	v_lshrrev_b32_e32 v86, 16, v6
	v_and_b32_e32 v6, 0xffff, v6
	s_delay_alu instid0(VALU_DEP_1) | instskip(SKIP_1) | instid1(VALU_DEP_1)
	v_mul_u32_u24_e32 v6, 0x10001, v6
	s_wait_dscnt 0x0
	v_pk_fma_f16 v11, v0, v6, v11
	v_pk_fma_f16 v63, v1, v6, v63
	;; [unrolled: 1-line block ×4, first 2 shown]
	v_lshrrev_b32_e32 v6, 16, v7
	v_mul_u32_u24_e32 v86, 0x10001, v86
	v_and_b32_e32 v7, 0xffff, v7
	s_delay_alu instid0(VALU_DEP_3) | instskip(NEXT) | instid1(VALU_DEP_3)
	v_mul_u32_u24_e32 v6, 0x10001, v6
	v_pk_fma_f16 v8, v0, v86, v8
	v_pk_fma_f16 v87, v1, v86, v9
	v_pk_fma_f16 v89, v2, v86, v10
	v_pk_fma_f16 v5, v3, v86, v5
	ds_load_2addr_b64 v[0:3], v88 offset0:192 offset1:224
	v_mul_u32_u24_e32 v7, 0x10001, v7
	s_wait_dscnt 0x0
	v_pk_fma_f16 v10, v0, v6, v8
	v_add_nc_u32_e32 v8, 0x3800, v59
	s_delay_alu instid0(VALU_DEP_3)
	v_pk_fma_f16 v9, v0, v7, v11
	v_pk_fma_f16 v11, v1, v7, v63
	;; [unrolled: 1-line block ×7, first 2 shown]
	ds_load_2addr_b64 v[0:3], v8 offset1:32
	ds_load_b128 v[4:7], v68 offset:112
	s_wait_dscnt 0x0
	v_lshrrev_b32_e32 v89, 16, v4
	v_and_b32_e32 v4, 0xffff, v4
	s_delay_alu instid0(VALU_DEP_2) | instskip(NEXT) | instid1(VALU_DEP_2)
	v_mul_u32_u24_e32 v89, 0x10001, v89
	v_mul_u32_u24_e32 v4, 0x10001, v4
	s_delay_alu instid0(VALU_DEP_2) | instskip(NEXT) | instid1(VALU_DEP_2)
	v_pk_fma_f16 v10, v0, v89, v10
	v_pk_fma_f16 v9, v0, v4, v9
	;; [unrolled: 1-line block ×8, first 2 shown]
	ds_load_2addr_b64 v[0:3], v8 offset0:64 offset1:96
	v_lshrrev_b32_e32 v88, 16, v5
	v_and_b32_e32 v5, 0xffff, v5
	s_delay_alu instid0(VALU_DEP_2) | instskip(NEXT) | instid1(VALU_DEP_2)
	v_mul_u32_u24_e32 v88, 0x10001, v88
	v_mul_u32_u24_e32 v5, 0x10001, v5
	s_wait_dscnt 0x0
	s_delay_alu instid0(VALU_DEP_1) | instskip(NEXT) | instid1(VALU_DEP_3)
	v_pk_fma_f16 v9, v0, v5, v9
	v_pk_fma_f16 v10, v0, v88, v10
	;; [unrolled: 1-line block ×8, first 2 shown]
	ds_load_2addr_b64 v[0:3], v8 offset0:128 offset1:160
	v_lshrrev_b32_e32 v87, 16, v6
	v_and_b32_e32 v6, 0xffff, v6
	s_delay_alu instid0(VALU_DEP_2) | instskip(NEXT) | instid1(VALU_DEP_2)
	v_mul_u32_u24_e32 v87, 0x10001, v87
	v_mul_u32_u24_e32 v6, 0x10001, v6
	s_wait_dscnt 0x0
	s_delay_alu instid0(VALU_DEP_1) | instskip(NEXT) | instid1(VALU_DEP_3)
	v_pk_fma_f16 v9, v0, v6, v9
	v_pk_fma_f16 v10, v0, v87, v10
	;; [unrolled: 1-line block ×8, first 2 shown]
	ds_load_2addr_b64 v[0:3], v8 offset0:192 offset1:224
	s_wait_dscnt 0x0
	s_barrier_signal -1
	s_barrier_wait -1
	s_load_b32 s11, s[8:9], 0x4
	v_lshrrev_b32_e32 v5, 16, v7
	v_and_b32_e32 v6, 0xffff, v7
	s_delay_alu instid0(VALU_DEP_2) | instskip(NEXT) | instid1(VALU_DEP_2)
	v_mul_u32_u24_e32 v90, 0x10001, v5
	v_mul_u32_u24_e32 v7, 0x10001, v6
	s_delay_alu instid0(VALU_DEP_1) | instskip(NEXT) | instid1(VALU_DEP_3)
	v_pk_fma_f16 v64, v0, v7, v9
	v_pk_fma_f16 v63, v0, v90, v10
	;; [unrolled: 1-line block ×5, first 2 shown]
	s_wait_kmcnt 0x0
	s_lshl_b32 s11, s11, 5
	v_pk_fma_f16 v5, v2, v90, v86
	v_pk_fma_f16 v7, v3, v7, v4
	;; [unrolled: 1-line block ×3, first 2 shown]
	s_add_co_i32 s26, s11, s26
	s_delay_alu instid0(SALU_CYCLE_1)
	s_cmp_lt_i32 s26, s3
	s_cbranch_scc0 .LBB49_16
; %bb.14:                               ;   in Loop: Header=BB49_8 Depth=1
	v_dual_mov_b32 v0, v20 :: v_dual_mov_b32 v1, v21
	s_branch .LBB49_8
.LBB49_15:
	v_mov_b64_e32 v[20:21], 0xfefffffffeffffff
	v_dual_mov_b32 v64, 0 :: v_dual_mov_b32 v12, 0
	v_dual_mov_b32 v9, 0 :: v_dual_mov_b32 v8, 0
	;; [unrolled: 1-line block ×4, first 2 shown]
	v_mov_b32_e32 v4, 0
.LBB49_16:
	s_cmp_gt_i32 s2, s26
	s_cbranch_scc1 .LBB49_19
; %bb.17:
	v_mbcnt_lo_u32_b32 v0, -1, 0
	v_mov_b32_e32 v31, 32
	s_delay_alu instid0(VALU_DEP_2)
	v_xor_b32_e32 v28, 16, v0
	v_xor_b32_e32 v29, 8, v0
	;; [unrolled: 1-line block ×5, first 2 shown]
	s_cbranch_execz .LBB49_20
; %bb.18:
	v_mov_b32_e32 v58, v0
	s_branch .LBB49_30
.LBB49_19:
                                        ; implicit-def: $vgpr0
                                        ; implicit-def: $vgpr31
                                        ; implicit-def: $vgpr28
                                        ; implicit-def: $vgpr29
                                        ; implicit-def: $vgpr30
                                        ; implicit-def: $vgpr32
                                        ; implicit-def: $vgpr33
.LBB49_20:
	s_ashr_i32 s27, s26, 31
	s_ashr_i32 s5, s4, 31
	s_mov_b32 s40, 0
	s_mul_u64 s[8:9], s[26:27], s[4:5]
	v_dual_mov_b32 v0, 0 :: v_dual_lshlrev_b32 v1, 20, v58
	s_lshl_b64 s[8:9], s[8:9], 2
	s_mov_b32 s41, s40
	s_add_nc_u64 s[10:11], s[6:7], s[8:9]
	s_mov_b32 s42, s40
	v_dual_mov_b32 v15, 0 :: v_dual_mov_b32 v28, s40
	v_lshl_add_u64 v[2:3], v[22:23], 2, s[10:11]
	v_add_nc_u64_e32 v[0:1], src_flat_scratch_base_lo, v[0:1]
	s_sub_co_i32 s15, s2, s26
	v_dual_mov_b32 v29, s41 :: v_dual_mov_b32 v30, s42
	s_delay_alu instid0(VALU_DEP_3)
	v_add_nc_u64_e32 v[2:3], v[2:3], v[14:15]
	v_cmp_gt_i32_e64 s9, s15, v60
	s_clause 0x1
	scratch_store_b32 off, v15, off
	scratch_store_b96 off, v[28:30], off offset:4
	s_lshl_b32 s2, s4, 2
	s_cmp_lg_u64 s[30:31], 0
	v_dual_add_nc_u32 v10, s2, v22 :: v_dual_cndmask_b32 v3, v1, v3, s9
	v_cndmask_b32_e64 v2, v0, v2, s9
	s_cselect_b32 s24, -1, 0
	v_dual_add_nc_u32 v35, 16, v60 :: v_dual_add_nc_u32 v36, 20, v60
	v_add_nc_u32_e32 v37, 24, v60
	flat_load_b128 v[24:27], v[2:3]
	s_wait_xcnt 0x0
	v_add_nc_u32_e32 v2, 4, v60
	v_mad_u32_u24 v3, 0x210, v60, v14
	s_clause 0x1
	scratch_store_b32 off, v15, off
	scratch_store_b96 off, v[28:30], off offset:4
	v_cmp_gt_i32_e64 s5, s15, v35
	v_cmp_gt_i32_e64 s4, s15, v36
	;; [unrolled: 1-line block ×3, first 2 shown]
	v_ashrrev_i32_e32 v11, 31, v10
	v_cmp_gt_i32_e64 s3, s15, v37
	v_add_nc_u32_e32 v38, 28, v60
	s_delay_alu instid0(VALU_DEP_3) | instskip(SKIP_1) | instid1(VALU_DEP_2)
	v_lshl_add_u64 v[22:23], v[10:11], 2, s[10:11]
	v_add_nc_u32_e32 v11, 12, v60
	v_add_nc_u64_e32 v[22:23], v[22:23], v[14:15]
	s_delay_alu instid0(VALU_DEP_2) | instskip(NEXT) | instid1(VALU_DEP_2)
	v_cmp_gt_i32_e64 s6, s15, v11
	v_dual_cndmask_b32 v23, v1, v23, s8 :: v_dual_cndmask_b32 v22, v0, v22, s8
	s_wait_loadcnt_dscnt 0x0
	ds_store_b128 v3, v[24:27]
	v_dual_add_nc_u32 v26, s2, v10 :: v_dual_add_nc_u32 v10, 8, v60
	flat_load_b128 v[22:25], v[22:23]
	s_clause 0x1
	scratch_store_b32 off, v15, off
	scratch_store_b96 off, v[28:30], off offset:4
	v_cmp_gt_i32_e64 s7, s15, v10
	v_ashrrev_i32_e32 v27, 31, v26
	s_delay_alu instid0(VALU_DEP_1) | instskip(NEXT) | instid1(VALU_DEP_1)
	v_lshl_add_u64 v[32:33], v[26:27], 2, s[10:11]
	v_add_nc_u64_e32 v[32:33], v[32:33], v[14:15]
	s_delay_alu instid0(VALU_DEP_1) | instskip(SKIP_1) | instid1(VALU_DEP_1)
	v_dual_cndmask_b32 v33, v1, v33, s7 :: v_dual_cndmask_b32 v32, v0, v32, s7
	v_add_nc_u32_e32 v26, s2, v26
	v_ashrrev_i32_e32 v27, 31, v26
	s_wait_loadcnt_dscnt 0x0
	ds_store_b128 v3, v[22:25] offset:2112
	flat_load_b128 v[22:25], v[32:33]
	s_wait_xcnt 0x0
	v_lshl_add_u64 v[32:33], v[26:27], 2, s[10:11]
	s_clause 0x1
	scratch_store_b32 off, v15, off
	scratch_store_b96 off, v[28:30], off offset:4
	v_add_nc_u32_e32 v26, s2, v26
	v_add_nc_u64_e32 v[32:33], v[32:33], v[14:15]
	s_delay_alu instid0(VALU_DEP_1) | instskip(NEXT) | instid1(VALU_DEP_2)
	v_dual_ashrrev_i32 v27, 31, v26 :: v_dual_cndmask_b32 v33, v1, v33, s6
	v_cndmask_b32_e64 v32, v0, v32, s6
	s_wait_loadcnt_dscnt 0x0
	ds_store_b128 v3, v[22:25] offset:4224
	flat_load_b128 v[22:25], v[32:33]
	s_wait_xcnt 0x0
	v_lshl_add_u64 v[32:33], v[26:27], 2, s[10:11]
	s_clause 0x1
	scratch_store_b32 off, v15, off
	scratch_store_b96 off, v[28:30], off offset:4
	v_add_nc_u32_e32 v26, s2, v26
	v_add_nc_u64_e32 v[32:33], v[32:33], v[14:15]
	s_delay_alu instid0(VALU_DEP_1) | instskip(NEXT) | instid1(VALU_DEP_2)
	v_dual_ashrrev_i32 v27, 31, v26 :: v_dual_cndmask_b32 v33, v1, v33, s5
	v_cndmask_b32_e64 v32, v0, v32, s5
	s_wait_loadcnt_dscnt 0x0
	ds_store_b128 v3, v[22:25] offset:6336
	flat_load_b128 v[22:25], v[32:33]
	s_wait_xcnt 0x0
	v_lshl_add_u64 v[32:33], v[26:27], 2, s[10:11]
	s_clause 0x1
	scratch_store_b32 off, v15, off
	scratch_store_b96 off, v[28:30], off offset:4
	v_add_nc_u32_e32 v26, s2, v26
	v_add_nc_u64_e32 v[32:33], v[32:33], v[14:15]
	s_delay_alu instid0(VALU_DEP_1) | instskip(NEXT) | instid1(VALU_DEP_2)
	v_dual_ashrrev_i32 v27, 31, v26 :: v_dual_cndmask_b32 v33, v1, v33, s4
	v_cndmask_b32_e64 v32, v0, v32, s4
	s_wait_loadcnt_dscnt 0x0
	ds_store_b128 v3, v[22:25] offset:8448
	flat_load_b128 v[22:25], v[32:33]
	s_wait_xcnt 0x0
	v_lshl_add_u64 v[32:33], v[26:27], 2, s[10:11]
	s_clause 0x1
	scratch_store_b32 off, v15, off
	scratch_store_b96 off, v[28:30], off offset:4
	v_add_nc_u32_e32 v26, s2, v26
	v_cmp_gt_i32_e64 s2, s15, v38
	v_add_nc_u64_e32 v[32:33], v[32:33], v[14:15]
	s_delay_alu instid0(VALU_DEP_1) | instskip(NEXT) | instid1(VALU_DEP_2)
	v_dual_ashrrev_i32 v27, 31, v26 :: v_dual_cndmask_b32 v33, v1, v33, s3
	v_cndmask_b32_e64 v32, v0, v32, s3
	s_delay_alu instid0(VALU_DEP_2) | instskip(SKIP_1) | instid1(VALU_DEP_2)
	v_lshl_add_u64 v[26:27], v[26:27], 2, s[10:11]
	v_cmp_gt_i32_e64 s10, s15, v57
	v_add_nc_u64_e32 v[26:27], v[26:27], v[14:15]
	s_delay_alu instid0(VALU_DEP_1)
	v_dual_cndmask_b32 v1, v1, v27, s2 :: v_dual_cndmask_b32 v0, v0, v26, s2
	s_wait_loadcnt_dscnt 0x0
	ds_store_b128 v3, v[22:25] offset:10560
	flat_load_b128 v[22:25], v[32:33]
	s_clause 0x1
	scratch_store_b32 off, v15, off
	scratch_store_b96 off, v[28:30], off offset:4
	s_wait_loadcnt_dscnt 0x0
	ds_store_b128 v3, v[22:25] offset:12672
	flat_load_b128 v[22:25], v[0:1]
	s_wait_xcnt 0x0
	v_dual_mov_b32 v0, v15 :: v_dual_mov_b32 v1, v15
	s_wait_loadcnt_dscnt 0x0
	ds_store_b128 v3, v[22:25] offset:14784
	s_wait_storecnt_dscnt 0x0
	s_barrier_signal -1
	s_barrier_wait -1
	ds_load_b128 v[22:25], v62
	ds_load_b128 v[26:29], v19 offset:16896
	ds_load_b128 v[30:33], v19 offset:17408
	v_mov_b32_e32 v3, v20
	s_wait_dscnt 0x1
	;;#ASMSTART
	v_dot2_f32_f16 v0, v22, v26, v0
	;;#ASMEND
	;;#ASMSTART
	v_dot2_f32_f16 v0, v23, v27, v0
	;;#ASMEND
	;;#ASMSTART
	v_dot2_f32_f16 v0, v24, v28, v0
	;;#ASMEND
	;;#ASMSTART
	v_dot2_f32_f16 v0, v25, v29, v0
	;;#ASMEND
	s_wait_dscnt 0x0
	;;#ASMSTART
	v_dot2_f32_f16 v1, v22, v30, v1
	;;#ASMEND
	;;#ASMSTART
	v_dot2_f32_f16 v1, v23, v31, v1
	;;#ASMEND
	;;#ASMSTART
	v_dot2_f32_f16 v1, v24, v32, v1
	;;#ASMEND
	;;#ASMSTART
	v_dot2_f32_f16 v1, v25, v33, v1
	;;#ASMEND
	ds_load_b128 v[22:25], v62 offset:16
	ds_load_b128 v[26:29], v19 offset:16912
	ds_load_b128 v[30:33], v19 offset:17424
	s_wait_dscnt 0x1
	;;#ASMSTART
	v_dot2_f32_f16 v0, v22, v26, v0
	;;#ASMEND
	;;#ASMSTART
	v_dot2_f32_f16 v0, v23, v27, v0
	;;#ASMEND
	;;#ASMSTART
	v_dot2_f32_f16 v0, v24, v28, v0
	;;#ASMEND
	;;#ASMSTART
	v_dot2_f32_f16 v0, v25, v29, v0
	;;#ASMEND
	s_wait_dscnt 0x0
	;;#ASMSTART
	v_dot2_f32_f16 v1, v22, v30, v1
	;;#ASMEND
	;;#ASMSTART
	v_dot2_f32_f16 v1, v23, v31, v1
	;;#ASMEND
	;;#ASMSTART
	v_dot2_f32_f16 v1, v24, v32, v1
	;;#ASMEND
	;;#ASMSTART
	v_dot2_f32_f16 v1, v25, v33, v1
	;;#ASMEND
	ds_load_b128 v[22:25], v62 offset:32
	ds_load_b128 v[26:29], v19 offset:16928
	ds_load_b128 v[30:33], v19 offset:17440
	;; [unrolled: 29-line block ×31, first 2 shown]
	s_wait_dscnt 0x1
	;;#ASMSTART
	v_dot2_f32_f16 v0, v24, v28, v0
	;;#ASMEND
	v_add_nc_u32_e32 v19, s26, v57
	v_cndmask_b32_e64 v22, 0, 1, s24
	;;#ASMSTART
	v_dot2_f32_f16 v0, v25, v29, v0
	;;#ASMEND
	;;#ASMSTART
	v_dot2_f32_f16 v0, v26, v30, v0
	;;#ASMEND
	;;#ASMSTART
	v_dot2_f32_f16 v0, v27, v31, v0
	;;#ASMEND
	s_wait_dscnt 0x0
	;;#ASMSTART
	v_dot2_f32_f16 v1, v24, v40, v1
	;;#ASMEND
	;;#ASMSTART
	v_dot2_f32_f16 v1, v25, v41, v1
	;;#ASMEND
	;; [unrolled: 3-line block ×4, first 2 shown]
	s_and_saveexec_b32 s11, s10
	s_cbranch_execz .LBB49_24
; %bb.21:
	s_and_not1_b32 vcc_lo, exec_lo, s24
	s_cbranch_vccnz .LBB49_23
; %bb.22:
	v_mad_u32 v3, v18, s39, v19
	global_load_u16 v3, v3, s[30:31] scale_offset
	s_wait_loadcnt 0x0
	v_cvt_f32_f16_e32 v3, v3
	s_delay_alu instid0(VALU_DEP_1)
	v_mul_f32_e32 v15, v61, v3
.LBB49_23:
	s_delay_alu instid0(VALU_DEP_1) | instskip(SKIP_1) | instid1(VALU_DEP_2)
	v_add_f32_e32 v0, v0, v15
	v_max_num_f32_e32 v15, v20, v20
	v_add_f32_e32 v3, 0x40051340, v0
	s_delay_alu instid0(VALU_DEP_1)
	v_max_num_f32_e32 v3, v15, v3
.LBB49_24:
	s_or_b32 exec_lo, exec_lo, s11
	v_xor_b32_e32 v28, 16, v58
	v_xor_b32_e32 v30, 4, v58
	;; [unrolled: 1-line block ×3, first 2 shown]
	v_dual_mov_b32 v31, 32 :: v_dual_bitop2_b32 v33, 1, v58 bitop3:0x14
	s_delay_alu instid0(VALU_DEP_4) | instskip(SKIP_1) | instid1(VALU_DEP_1)
	v_cmp_gt_i32_e32 vcc_lo, 32, v28
	v_dual_cndmask_b32 v15, v58, v28, vcc_lo :: v_dual_bitop2_b32 v29, 8, v58 bitop3:0x14
	v_cmp_gt_i32_e32 vcc_lo, 32, v29
	s_delay_alu instid0(VALU_DEP_2)
	v_dual_lshlrev_b32 v15, 2, v15 :: v_dual_cndmask_b32 v23, v58, v29, vcc_lo
	v_cmp_gt_i32_e32 vcc_lo, 32, v30
	ds_bpermute_b32 v18, v15, v3
	v_dual_max_num_f32 v3, v3, v3 :: v_dual_cndmask_b32 v24, v58, v30
	v_cmp_gt_i32_e32 vcc_lo, 32, v32
	v_dual_lshlrev_b32 v23, 2, v23 :: v_dual_cndmask_b32 v25, v58, v32, vcc_lo
	s_delay_alu instid0(VALU_DEP_3) | instskip(SKIP_1) | instid1(VALU_DEP_3)
	v_lshlrev_b32_e32 v24, 2, v24
	v_cmp_gt_i32_e32 vcc_lo, 32, v33
	v_lshlrev_b32_e32 v25, 2, v25
	v_cndmask_b32_e32 v26, v58, v33, vcc_lo
	s_wait_dscnt 0x0
	v_max_num_f32_e32 v18, v18, v18
	s_delay_alu instid0(VALU_DEP_2) | instskip(NEXT) | instid1(VALU_DEP_2)
	v_lshlrev_b32_e32 v26, 2, v26
	v_max_num_f32_e32 v3, v3, v18
	ds_bpermute_b32 v18, v23, v3
	s_wait_dscnt 0x0
	v_max_num_f32_e32 v18, v18, v18
	s_delay_alu instid0(VALU_DEP_1) | instskip(SKIP_3) | instid1(VALU_DEP_1)
	v_max_num_f32_e32 v3, v3, v18
	ds_bpermute_b32 v18, v24, v3
	s_wait_dscnt 0x0
	v_max_num_f32_e32 v18, v18, v18
	v_max_num_f32_e32 v3, v3, v18
	ds_bpermute_b32 v18, v25, v3
	s_wait_dscnt 0x0
	v_max_num_f32_e32 v18, v18, v18
	s_delay_alu instid0(VALU_DEP_1) | instskip(SKIP_3) | instid1(VALU_DEP_1)
	v_max_num_f32_e32 v3, v3, v18
	ds_bpermute_b32 v18, v26, v3
	s_wait_dscnt 0x0
	v_max_num_f32_e32 v18, v18, v18
	v_dual_max_num_f32 v18, v3, v18 :: v_dual_mov_b32 v3, v21
	s_and_saveexec_b32 s11, s10
	s_cbranch_execz .LBB49_29
; %bb.25:
	v_cmp_ne_u32_e32 vcc_lo, 1, v22
	s_cbranch_vccnz .LBB49_27
; %bb.26:
	v_dual_mov_b32 v41, 0 :: v_dual_bitop2_b32 v40, 1, v56 bitop3:0x54
	s_delay_alu instid0(VALU_DEP_1) | instskip(NEXT) | instid1(VALU_DEP_1)
	v_mul_u64_e32 v[42:43], s[36:37], v[40:41]
	v_add_nc_u32_e32 v3, v40, v43
	s_delay_alu instid0(VALU_DEP_1) | instskip(NEXT) | instid1(VALU_DEP_1)
	v_lshrrev_b32_e32 v3, s21, v3
	v_mul_lo_u32 v3, v3, s22
	s_delay_alu instid0(VALU_DEP_1) | instskip(NEXT) | instid1(VALU_DEP_1)
	v_sub_nc_u32_e32 v3, v40, v3
	v_mad_u32 v3, v3, s39, v19
	global_load_u16 v3, v3, s[30:31] scale_offset
	s_wait_loadcnt 0x0
	v_cvt_f32_f16_e32 v3, v3
	s_delay_alu instid0(VALU_DEP_1)
	v_mul_f32_e32 v3, v61, v3
	s_branch .LBB49_28
.LBB49_27:
	v_mov_b32_e32 v3, 0
.LBB49_28:
	v_max_num_f32_e32 v19, v21, v21
	s_delay_alu instid0(VALU_DEP_2) | instskip(NEXT) | instid1(VALU_DEP_1)
	v_add_f32_e32 v1, v1, v3
	v_add_f32_e32 v3, 0x40051340, v1
	s_delay_alu instid0(VALU_DEP_1)
	v_max_num_f32_e32 v3, v19, v3
.LBB49_29:
	s_or_b32 exec_lo, exec_lo, s11
	ds_bpermute_b32 v15, v15, v3
	v_dual_max_num_f32 v3, v3, v3 :: v_dual_sub_f32 v0, v0, v18
	v_cmp_gt_u32_e32 vcc_lo, s15, v57
	s_mov_b32 s24, 0
	s_wait_dscnt 0x0
	s_mov_b32 s25, s24
	s_barrier_signal -1
	s_barrier_wait -1
	s_ashr_i32 s15, s14, 31
	v_lshl_add_u32 v51, v2, 9, v14
	v_lshl_add_u32 v49, v10, 9, v14
	;; [unrolled: 1-line block ×7, first 2 shown]
	v_dual_max_num_f32 v15, v15, v15 :: v_dual_lshlrev_b32 v34, 7, v60
	s_delay_alu instid0(VALU_DEP_1) | instskip(SKIP_3) | instid1(VALU_DEP_1)
	v_max_num_f32_e32 v3, v3, v15
	ds_bpermute_b32 v15, v23, v3
	s_wait_dscnt 0x0
	v_max_num_f32_e32 v15, v15, v15
	v_max_num_f32_e32 v3, v3, v15
	ds_bpermute_b32 v15, v24, v3
	s_wait_dscnt 0x0
	v_max_num_f32_e32 v15, v15, v15
	s_delay_alu instid0(VALU_DEP_1) | instskip(SKIP_3) | instid1(VALU_DEP_1)
	v_max_num_f32_e32 v3, v3, v15
	ds_bpermute_b32 v15, v25, v3
	s_wait_dscnt 0x0
	v_max_num_f32_e32 v15, v15, v15
	v_max_num_f32_e32 v3, v3, v15
	ds_bpermute_b32 v15, v26, v3
	s_wait_dscnt 0x0
	v_max_num_f32_e32 v15, v15, v15
	s_delay_alu instid0(VALU_DEP_1) | instskip(NEXT) | instid1(VALU_DEP_1)
	v_dual_max_num_f32 v19, v3, v15 :: v_dual_sub_f32 v3, v20, v18
	v_sub_f32_e32 v1, v1, v19
	s_delay_alu instid0(VALU_DEP_2) | instskip(SKIP_1) | instid1(VALU_DEP_2)
	v_mul_f32_e32 v15, 0x3fb8aa3b, v3
	v_cmp_ngt_f32_e64 s10, 0xc2ce8ed0, v3
	v_fma_f32 v20, 0x3fb8aa3b, v3, -v15
	v_rndne_f32_e32 v22, v15
	s_delay_alu instid0(VALU_DEP_1) | instskip(NEXT) | instid1(VALU_DEP_1)
	v_dual_fmac_f32 v20, 0x32a5705f, v3 :: v_dual_sub_f32 v15, v15, v22
	v_add_f32_e32 v15, v15, v20
	v_cvt_i32_f32_e32 v20, v22
	s_delay_alu instid0(VALU_DEP_2) | instskip(SKIP_1) | instid1(TRANS32_DEP_1)
	v_exp_f32_e32 v15, v15
	v_nop
	v_ldexp_f32 v15, v15, v20
	s_delay_alu instid0(VALU_DEP_1) | instskip(SKIP_1) | instid1(VALU_DEP_1)
	v_cndmask_b32_e64 v15, 0, v15, s10
	v_cmp_nlt_f32_e64 s10, 0x42b17218, v3
	v_cndmask_b32_e64 v3, 0x7f800000, v15, s10
	v_mul_f32_e32 v15, 0x3fb8aa3b, v0
	v_cmp_ngt_f32_e64 s10, 0xc2ce8ed0, v0
	s_delay_alu instid0(VALU_DEP_2) | instskip(SKIP_1) | instid1(VALU_DEP_1)
	v_fma_f32 v20, 0x3fb8aa3b, v0, -v15
	v_rndne_f32_e32 v22, v15
	v_dual_fmac_f32 v20, 0x32a5705f, v0 :: v_dual_sub_f32 v15, v15, v22
	s_delay_alu instid0(VALU_DEP_1) | instskip(SKIP_1) | instid1(VALU_DEP_2)
	v_add_f32_e32 v15, v15, v20
	v_cvt_i32_f32_e32 v20, v22
	v_exp_f32_e32 v15, v15
	v_nop
	s_delay_alu instid0(TRANS32_DEP_1) | instskip(NEXT) | instid1(VALU_DEP_1)
	v_ldexp_f32 v15, v15, v20
	v_cndmask_b32_e64 v15, 0, v15, s10
	v_cmp_nlt_f32_e64 s10, 0x42b17218, v0
	s_delay_alu instid0(VALU_DEP_1) | instskip(NEXT) | instid1(VALU_DEP_1)
	v_cndmask_b32_e64 v0, 0x7f800000, v15, s10
	v_dual_mov_b32 v15, 0 :: v_dual_cndmask_b32 v0, 0, v0
	s_delay_alu instid0(VALU_DEP_1) | instskip(SKIP_1) | instid1(VALU_DEP_1)
	v_fma_f32 v12, v12, v3, v0
	v_cvt_f16_f32_e32 v3, v3
	v_and_b32_e32 v3, 0xffff, v3
	s_delay_alu instid0(VALU_DEP_1) | instskip(SKIP_1) | instid1(VALU_DEP_2)
	v_mul_u32_u24_e32 v42, 0x10001, v3
	v_sub_f32_e32 v3, v21, v19
	v_pk_mul_f16 v39, v7, v42
	s_delay_alu instid0(VALU_DEP_2) | instskip(SKIP_3) | instid1(VALU_DEP_4)
	v_mul_f32_e32 v7, 0x3fb8aa3b, v3
	v_pk_mul_f16 v41, v9, v42
	v_pk_mul_f16 v40, v8, v42
	v_cmp_ngt_f32_e64 s10, 0xc2ce8ed0, v3
	v_fma_f32 v8, 0x3fb8aa3b, v3, -v7
	v_rndne_f32_e32 v9, v7
	s_delay_alu instid0(VALU_DEP_1) | instskip(NEXT) | instid1(VALU_DEP_1)
	v_dual_fmac_f32 v8, 0x32a5705f, v3 :: v_dual_sub_f32 v7, v7, v9
	v_add_f32_e32 v7, v7, v8
	v_cvt_i32_f32_e32 v8, v9
	s_delay_alu instid0(VALU_DEP_2) | instskip(SKIP_1) | instid1(TRANS32_DEP_1)
	v_exp_f32_e32 v7, v7
	v_nop
	v_ldexp_f32 v7, v7, v8
	s_delay_alu instid0(VALU_DEP_1) | instskip(SKIP_1) | instid1(VALU_DEP_1)
	v_cndmask_b32_e64 v7, 0, v7, s10
	v_cmp_nlt_f32_e64 s10, 0x42b17218, v3
	v_cndmask_b32_e64 v3, 0x7f800000, v7, s10
	v_mul_f32_e32 v7, 0x3fb8aa3b, v1
	v_cmp_ngt_f32_e64 s10, 0xc2ce8ed0, v1
	s_delay_alu instid0(VALU_DEP_2) | instskip(SKIP_1) | instid1(VALU_DEP_2)
	v_fma_f32 v8, 0x3fb8aa3b, v1, -v7
	v_rndne_f32_e32 v9, v7
	v_fmac_f32_e32 v8, 0x32a5705f, v1
	s_delay_alu instid0(VALU_DEP_2) | instskip(NEXT) | instid1(VALU_DEP_1)
	v_sub_f32_e32 v7, v7, v9
	v_add_f32_e32 v7, v7, v8
	v_cvt_i32_f32_e32 v8, v9
	s_delay_alu instid0(VALU_DEP_2) | instskip(SKIP_1) | instid1(TRANS32_DEP_1)
	v_exp_f32_e32 v7, v7
	v_nop
	v_ldexp_f32 v7, v7, v8
	s_delay_alu instid0(VALU_DEP_1) | instskip(SKIP_1) | instid1(VALU_DEP_1)
	v_cndmask_b32_e64 v7, 0, v7, s10
	v_cmp_nlt_f32_e64 s10, 0x42b17218, v1
	v_cndmask_b32_e64 v1, 0x7f800000, v7, s10
	s_mul_u64 s[10:11], s[26:27], s[14:15]
	s_lshl_b32 s14, s14, 2
	s_lshl_b64 s[10:11], s[10:11], 2
	s_mov_b32 s26, s24
	v_cndmask_b32_e32 v1, 0, v1, vcc_lo
	s_add_nc_u64 s[10:11], s[34:35], s[10:11]
	s_delay_alu instid0(VALU_DEP_1) | instskip(SKIP_2) | instid1(VALU_DEP_2)
	v_fma_f32 v13, v13, v3, v1
	v_cvt_f16_f32_e32 v3, v3
	v_cvt_pk_f16_f32 v0, v0, v1
	v_and_b32_e32 v3, 0xffff, v3
	s_delay_alu instid0(VALU_DEP_1) | instskip(SKIP_1) | instid1(VALU_DEP_2)
	v_mul_u32_u24_e32 v46, 0x10001, v3
	v_add3_u32 v3, 0x5200, v34, v55
	v_pk_mul_f16 v44, v5, v46
	ds_store_b32 v3, v0
	v_mbcnt_lo_u32_b32 v0, -1, 0
	v_pk_mul_f16 v43, v4, v46
	v_pk_mul_f16 v45, v6, v46
	s_delay_alu instid0(VALU_DEP_3) | instskip(NEXT) | instid1(VALU_DEP_1)
	v_dual_mov_b32 v0, 0 :: v_dual_lshlrev_b32 v1, 20, v0
	v_add_nc_u64_e32 v[4:5], src_flat_scratch_base_lo, v[0:1]
	v_lshl_add_u64 v[0:1], v[16:17], 2, s[10:11]
	s_delay_alu instid0(VALU_DEP_1) | instskip(SKIP_1) | instid1(VALU_DEP_1)
	v_add_nc_u64_e32 v[26:27], v[0:1], v[14:15]
	v_add_nc_u32_e32 v0, s14, v16
	v_dual_ashrrev_i32 v1, 31, v0 :: v_dual_cndmask_b32 v27, v5, v27, s9
	s_delay_alu instid0(VALU_DEP_3) | instskip(NEXT) | instid1(VALU_DEP_2)
	v_cndmask_b32_e64 v26, v4, v26, s9
	v_lshl_add_u64 v[2:3], v[0:1], 2, s[10:11]
	v_add_nc_u32_e32 v0, s14, v0
	s_delay_alu instid0(VALU_DEP_2) | instskip(NEXT) | instid1(VALU_DEP_2)
	v_add_nc_u64_e32 v[24:25], v[2:3], v[14:15]
	v_ashrrev_i32_e32 v1, 31, v0
	s_delay_alu instid0(VALU_DEP_1) | instskip(NEXT) | instid1(VALU_DEP_3)
	v_lshl_add_u64 v[2:3], v[0:1], 2, s[10:11]
	v_dual_add_nc_u32 v0, s14, v0 :: v_dual_cndmask_b32 v25, v5, v25, s8
	s_delay_alu instid0(VALU_DEP_4) | instskip(NEXT) | instid1(VALU_DEP_3)
	v_cndmask_b32_e64 v24, v4, v24, s8
	v_add_nc_u64_e32 v[22:23], v[2:3], v[14:15]
	s_delay_alu instid0(VALU_DEP_3) | instskip(NEXT) | instid1(VALU_DEP_1)
	v_ashrrev_i32_e32 v1, 31, v0
	v_lshl_add_u64 v[2:3], v[0:1], 2, s[10:11]
	s_delay_alu instid0(VALU_DEP_3) | instskip(NEXT) | instid1(VALU_DEP_4)
	v_dual_add_nc_u32 v0, s14, v0 :: v_dual_cndmask_b32 v23, v5, v23, s7
	v_cndmask_b32_e64 v22, v4, v22, s7
	s_delay_alu instid0(VALU_DEP_3) | instskip(NEXT) | instid1(VALU_DEP_3)
	v_add_nc_u64_e32 v[20:21], v[2:3], v[14:15]
	v_ashrrev_i32_e32 v1, 31, v0
	s_delay_alu instid0(VALU_DEP_1) | instskip(NEXT) | instid1(VALU_DEP_3)
	v_lshl_add_u64 v[2:3], v[0:1], 2, s[10:11]
	v_dual_add_nc_u32 v0, s14, v0 :: v_dual_cndmask_b32 v21, v5, v21, s6
	s_delay_alu instid0(VALU_DEP_4) | instskip(NEXT) | instid1(VALU_DEP_3)
	v_cndmask_b32_e64 v20, v4, v20, s6
	v_add_nc_u64_e32 v[16:17], v[2:3], v[14:15]
	s_delay_alu instid0(VALU_DEP_3) | instskip(NEXT) | instid1(VALU_DEP_1)
	v_ashrrev_i32_e32 v1, 31, v0
	v_lshl_add_u64 v[2:3], v[0:1], 2, s[10:11]
	s_delay_alu instid0(VALU_DEP_3) | instskip(NEXT) | instid1(VALU_DEP_4)
	v_dual_add_nc_u32 v0, s14, v0 :: v_dual_cndmask_b32 v17, v5, v17, s5
	v_cndmask_b32_e64 v16, v4, v16, s5
	s_delay_alu instid0(VALU_DEP_3) | instskip(NEXT) | instid1(VALU_DEP_3)
	v_add_nc_u64_e32 v[10:11], v[2:3], v[14:15]
	v_ashrrev_i32_e32 v1, 31, v0
	s_delay_alu instid0(VALU_DEP_1) | instskip(NEXT) | instid1(VALU_DEP_3)
	v_lshl_add_u64 v[2:3], v[0:1], 2, s[10:11]
	v_dual_add_nc_u32 v0, s14, v0 :: v_dual_cndmask_b32 v11, v5, v11, s4
	s_delay_alu instid0(VALU_DEP_4) | instskip(NEXT) | instid1(VALU_DEP_3)
	v_cndmask_b32_e64 v10, v4, v10, s4
	v_add_nc_u64_e32 v[8:9], v[2:3], v[14:15]
	s_delay_alu instid0(VALU_DEP_3) | instskip(SKIP_1) | instid1(VALU_DEP_2)
	v_ashrrev_i32_e32 v1, 31, v0
	v_lshl_add_u32 v3, v38, 9, v14
	v_lshl_add_u64 v[0:1], v[0:1], 2, s[10:11]
	s_delay_alu instid0(VALU_DEP_4) | instskip(NEXT) | instid1(VALU_DEP_2)
	v_dual_cndmask_b32 v9, v5, v9, s3 :: v_dual_cndmask_b32 v8, v4, v8, s3
	v_add_nc_u64_e32 v[6:7], v[0:1], v[14:15]
	v_dual_mov_b32 v0, s24 :: v_dual_mov_b32 v1, s25
	v_mov_b32_e32 v2, s26
	s_clause 0x1
	scratch_store_b32 off, v15, off
	scratch_store_b96 off, v[0:2], off offset:4
	flat_load_b128 v[66:69], v[26:27]
	s_wait_loadcnt_dscnt 0x0
	ds_store_b128 v50, v[66:69]
	s_clause 0x1
	scratch_store_b32 off, v15, off
	scratch_store_b96 off, v[0:2], off offset:4
	flat_load_b128 v[24:27], v[24:25]
	s_wait_loadcnt_dscnt 0x0
	ds_store_b128 v51, v[24:27]
	s_clause 0x1
	scratch_store_b32 off, v15, off
	scratch_store_b96 off, v[0:2], off offset:4
	flat_load_b128 v[22:25], v[22:23]
	s_wait_loadcnt_dscnt 0x0
	ds_store_b128 v49, v[22:25]
	s_clause 0x1
	scratch_store_b32 off, v15, off
	scratch_store_b96 off, v[0:2], off offset:4
	flat_load_b128 v[20:23], v[20:21]
	s_wait_loadcnt_dscnt 0x0
	ds_store_b128 v48, v[20:23]
	s_clause 0x1
	scratch_store_b32 off, v15, off
	scratch_store_b96 off, v[0:2], off offset:4
	flat_load_b128 v[20:23], v[16:17]
	s_wait_loadcnt_dscnt 0x0
	ds_store_b128 v47, v[20:23]
	s_clause 0x1
	scratch_store_b32 off, v15, off
	scratch_store_b96 off, v[0:2], off offset:4
	flat_load_b128 v[20:23], v[10:11]
	s_wait_loadcnt_dscnt 0x0
	ds_store_b128 v36, v[20:23]
	s_clause 0x1
	scratch_store_b32 off, v15, off
	scratch_store_b96 off, v[0:2], off offset:4
	flat_load_b128 v[8:11], v[8:9]
	s_wait_loadcnt_dscnt 0x0
	ds_store_b128 v35, v[8:11]
	s_clause 0x1
	scratch_store_b32 off, v15, off
	scratch_store_b96 off, v[0:2], off offset:4
	s_wait_xcnt 0x0
	v_dual_cndmask_b32 v1, v5, v7, s2 :: v_dual_cndmask_b32 v0, v4, v6, s2
	flat_load_b128 v[4:7], v[0:1]
	s_wait_loadcnt_dscnt 0x0
	ds_store_b128 v3, v[4:7]
	s_wait_storecnt_dscnt 0x0
	s_barrier_signal -1
	s_barrier_wait -1
	ds_load_2addr_b64 v[14:17], v59 offset1:32
	ds_load_b128 v[20:23], v34 offset:20992
	ds_load_b128 v[8:11], v34 offset:21008
	;; [unrolled: 1-line block ×3, first 2 shown]
	s_wait_xcnt 0x0
	ds_load_b128 v[0:3], v34 offset:21040
	s_wait_dscnt 0x3
	v_dual_lshrrev_b32 v24, 16, v20 :: v_dual_lshrrev_b32 v38, 16, v21
	v_and_b32_e32 v20, 0xffff, v20
	v_and_b32_e32 v21, 0xffff, v21
	s_delay_alu instid0(VALU_DEP_3) | instskip(NEXT) | instid1(VALU_DEP_4)
	v_mul_u32_u24_e32 v24, 0x10001, v24
	v_mul_u32_u24_e32 v38, 0x10001, v38
	s_delay_alu instid0(VALU_DEP_4) | instskip(NEXT) | instid1(VALU_DEP_4)
	v_mul_u32_u24_e32 v20, 0x10001, v20
	v_mul_u32_u24_e32 v21, 0x10001, v21
	s_delay_alu instid0(VALU_DEP_4) | instskip(SKIP_1) | instid1(VALU_DEP_4)
	v_pk_fma_f16 v35, v15, v24, v45
	v_pk_fma_f16 v37, v16, v24, v44
	v_pk_mul_f16 v25, v14, v20
	v_pk_mul_f16 v14, v14, v24
	v_pk_fma_f16 v27, v15, v20, v41
	v_pk_fma_f16 v36, v16, v20, v40
	;; [unrolled: 1-line block ×5, first 2 shown]
	ds_load_2addr_b64 v[14:17], v59 offset0:64 offset1:96
	v_pk_fma_f16 v25, v64, v42, v25
	s_wait_dscnt 0x0
	s_delay_alu instid0(VALU_DEP_1)
	v_pk_fma_f16 v25, v14, v21, v25
	v_pk_fma_f16 v26, v14, v38, v26
	;; [unrolled: 1-line block ×8, first 2 shown]
	ds_load_2addr_b64 v[14:17], v59 offset0:128 offset1:160
	v_lshrrev_b32_e32 v24, 16, v22
	v_and_b32_e32 v22, 0xffff, v22
	s_delay_alu instid0(VALU_DEP_1) | instskip(SKIP_1) | instid1(VALU_DEP_1)
	v_mul_u32_u24_e32 v22, 0x10001, v22
	s_wait_dscnt 0x0
	v_pk_fma_f16 v25, v14, v22, v25
	v_pk_fma_f16 v27, v15, v22, v27
	;; [unrolled: 1-line block ×4, first 2 shown]
	v_lshrrev_b32_e32 v22, 16, v23
	v_mul_u32_u24_e32 v24, 0x10001, v24
	v_and_b32_e32 v23, 0xffff, v23
	s_delay_alu instid0(VALU_DEP_3) | instskip(NEXT) | instid1(VALU_DEP_3)
	v_mul_u32_u24_e32 v22, 0x10001, v22
	v_pk_fma_f16 v26, v14, v24, v26
	v_pk_fma_f16 v35, v15, v24, v35
	;; [unrolled: 1-line block ×4, first 2 shown]
	ds_load_2addr_b64 v[14:17], v59 offset0:192 offset1:224
	v_mul_u32_u24_e32 v23, 0x10001, v23
	s_wait_dscnt 0x0
	s_delay_alu instid0(VALU_DEP_1)
	v_pk_fma_f16 v24, v14, v23, v25
	v_pk_fma_f16 v25, v14, v22, v26
	;; [unrolled: 1-line block ×7, first 2 shown]
	v_add_nc_u32_e32 v22, 0x800, v59
	v_pk_fma_f16 v20, v17, v23, v20
	v_lshrrev_b32_e32 v23, 16, v8
	v_and_b32_e32 v8, 0xffff, v8
	ds_load_2addr_b64 v[14:17], v22 offset1:32
	v_mul_u32_u24_e32 v23, 0x10001, v23
	v_mul_u32_u24_e32 v8, 0x10001, v8
	s_wait_dscnt 0x0
	s_delay_alu instid0(VALU_DEP_1) | instskip(NEXT) | instid1(VALU_DEP_3)
	v_pk_fma_f16 v24, v14, v8, v24
	v_pk_fma_f16 v25, v14, v23, v25
	v_pk_fma_f16 v26, v15, v8, v26
	v_pk_fma_f16 v27, v15, v23, v27
	v_pk_fma_f16 v35, v16, v8, v35
	v_pk_fma_f16 v36, v16, v23, v36
	v_pk_fma_f16 v8, v17, v8, v20
	v_pk_fma_f16 v20, v17, v23, v21
	ds_load_2addr_b64 v[14:17], v22 offset0:64 offset1:96
	v_lshrrev_b32_e32 v21, 16, v9
	v_and_b32_e32 v9, 0xffff, v9
	s_delay_alu instid0(VALU_DEP_2) | instskip(NEXT) | instid1(VALU_DEP_2)
	v_mul_u32_u24_e32 v21, 0x10001, v21
	v_mul_u32_u24_e32 v9, 0x10001, v9
	s_wait_dscnt 0x0
	s_delay_alu instid0(VALU_DEP_1) | instskip(NEXT) | instid1(VALU_DEP_3)
	v_pk_fma_f16 v23, v14, v9, v24
	v_pk_fma_f16 v24, v14, v21, v25
	v_pk_fma_f16 v25, v15, v9, v26
	v_pk_fma_f16 v26, v15, v21, v27
	v_pk_fma_f16 v27, v16, v9, v35
	v_pk_fma_f16 v35, v16, v21, v36
	v_pk_fma_f16 v8, v17, v9, v8
	v_pk_fma_f16 v9, v17, v21, v20
	ds_load_2addr_b64 v[14:17], v22 offset0:128 offset1:160
	v_lshrrev_b32_e32 v20, 16, v10
	v_and_b32_e32 v10, 0xffff, v10
	s_delay_alu instid0(VALU_DEP_2) | instskip(NEXT) | instid1(VALU_DEP_2)
	;; [unrolled: 16-line block ×3, first 2 shown]
	v_mul_u32_u24_e32 v10, 0x10001, v10
	v_mul_u32_u24_e32 v11, 0x10001, v11
	s_wait_dscnt 0x0
	s_delay_alu instid0(VALU_DEP_1)
	v_pk_fma_f16 v20, v14, v11, v21
	v_pk_fma_f16 v21, v15, v11, v24
	v_add_nc_u32_e32 v24, 0x1000, v59
	v_pk_fma_f16 v14, v14, v10, v23
	v_pk_fma_f16 v15, v15, v10, v25
	;; [unrolled: 1-line block ×6, first 2 shown]
	ds_load_2addr_b64 v[8:11], v24 offset1:32
	v_lshrrev_b32_e32 v25, 16, v4
	v_and_b32_e32 v4, 0xffff, v4
	s_delay_alu instid0(VALU_DEP_1) | instskip(SKIP_1) | instid1(VALU_DEP_1)
	v_mul_u32_u24_e32 v4, 0x10001, v4
	s_wait_dscnt 0x0
	v_pk_fma_f16 v20, v8, v4, v20
	v_pk_fma_f16 v21, v9, v4, v21
	;; [unrolled: 1-line block ×4, first 2 shown]
	v_lshrrev_b32_e32 v23, 16, v5
	v_mul_u32_u24_e32 v25, 0x10001, v25
	v_and_b32_e32 v5, 0xffff, v5
	s_delay_alu instid0(VALU_DEP_3) | instskip(NEXT) | instid1(VALU_DEP_3)
	v_mul_u32_u24_e32 v23, 0x10001, v23
	v_pk_fma_f16 v14, v8, v25, v14
	v_pk_fma_f16 v15, v9, v25, v15
	;; [unrolled: 1-line block ×4, first 2 shown]
	ds_load_2addr_b64 v[8:11], v24 offset0:64 offset1:96
	v_mul_u32_u24_e32 v5, 0x10001, v5
	s_wait_dscnt 0x0
	s_delay_alu instid0(VALU_DEP_1)
	v_pk_fma_f16 v20, v8, v5, v20
	v_pk_fma_f16 v14, v8, v23, v14
	;; [unrolled: 1-line block ×8, first 2 shown]
	ds_load_2addr_b64 v[8:11], v24 offset0:128 offset1:160
	v_lshrrev_b32_e32 v17, 16, v6
	v_and_b32_e32 v6, 0xffff, v6
	s_delay_alu instid0(VALU_DEP_1) | instskip(SKIP_1) | instid1(VALU_DEP_1)
	v_mul_u32_u24_e32 v6, 0x10001, v6
	s_wait_dscnt 0x0
	v_pk_fma_f16 v20, v8, v6, v20
	v_pk_fma_f16 v21, v9, v6, v21
	;; [unrolled: 1-line block ×4, first 2 shown]
	v_lshrrev_b32_e32 v6, 16, v7
	v_mul_u32_u24_e32 v17, 0x10001, v17
	v_and_b32_e32 v7, 0xffff, v7
	s_delay_alu instid0(VALU_DEP_3) | instskip(NEXT) | instid1(VALU_DEP_3)
	v_mul_u32_u24_e32 v6, 0x10001, v6
	v_pk_fma_f16 v14, v8, v17, v14
	v_pk_fma_f16 v15, v9, v17, v15
	;; [unrolled: 1-line block ×4, first 2 shown]
	ds_load_2addr_b64 v[8:11], v24 offset0:192 offset1:224
	v_mul_u32_u24_e32 v7, 0x10001, v7
	s_wait_dscnt 0x0
	s_delay_alu instid0(VALU_DEP_1)
	v_pk_fma_f16 v17, v8, v7, v20
	v_add_nc_u32_e32 v20, 0x1800, v59
	v_pk_fma_f16 v8, v8, v6, v14
	v_pk_fma_f16 v14, v9, v7, v21
	;; [unrolled: 1-line block ×7, first 2 shown]
	ds_load_2addr_b64 v[4:7], v20 offset1:32
	v_lshrrev_b32_e32 v21, 16, v0
	v_and_b32_e32 v0, 0xffff, v0
	s_delay_alu instid0(VALU_DEP_1) | instskip(SKIP_1) | instid1(VALU_DEP_1)
	v_mul_u32_u24_e32 v0, 0x10001, v0
	s_wait_dscnt 0x0
	v_pk_fma_f16 v17, v4, v0, v17
	v_pk_fma_f16 v14, v5, v0, v14
	;; [unrolled: 1-line block ×4, first 2 shown]
	v_lshrrev_b32_e32 v16, 16, v1
	v_mul_u32_u24_e32 v21, 0x10001, v21
	v_and_b32_e32 v1, 0xffff, v1
	s_delay_alu instid0(VALU_DEP_3) | instskip(NEXT) | instid1(VALU_DEP_3)
	v_mul_u32_u24_e32 v16, 0x10001, v16
	v_pk_fma_f16 v8, v4, v21, v8
	v_pk_fma_f16 v9, v5, v21, v9
	;; [unrolled: 1-line block ×4, first 2 shown]
	ds_load_2addr_b64 v[4:7], v20 offset0:64 offset1:96
	v_mul_u32_u24_e32 v1, 0x10001, v1
	s_wait_dscnt 0x0
	s_delay_alu instid0(VALU_DEP_1)
	v_pk_fma_f16 v17, v4, v1, v17
	v_pk_fma_f16 v8, v4, v16, v8
	;; [unrolled: 1-line block ×8, first 2 shown]
	ds_load_2addr_b64 v[4:7], v20 offset0:128 offset1:160
	v_lshrrev_b32_e32 v11, 16, v2
	v_and_b32_e32 v2, 0xffff, v2
	s_delay_alu instid0(VALU_DEP_1) | instskip(SKIP_1) | instid1(VALU_DEP_1)
	v_mul_u32_u24_e32 v2, 0x10001, v2
	s_wait_dscnt 0x0
	v_pk_fma_f16 v16, v4, v2, v17
	v_pk_fma_f16 v14, v5, v2, v14
	;; [unrolled: 1-line block ×4, first 2 shown]
	v_lshrrev_b32_e32 v2, 16, v3
	v_mul_u32_u24_e32 v11, 0x10001, v11
	v_and_b32_e32 v3, 0xffff, v3
	s_delay_alu instid0(VALU_DEP_3) | instskip(NEXT) | instid1(VALU_DEP_3)
	v_mul_u32_u24_e32 v2, 0x10001, v2
	v_pk_fma_f16 v8, v4, v11, v8
	v_pk_fma_f16 v9, v5, v11, v9
	;; [unrolled: 1-line block ×4, first 2 shown]
	ds_load_2addr_b64 v[4:7], v20 offset0:192 offset1:224
	v_mul_u32_u24_e32 v3, 0x10001, v3
	v_add_nc_u32_e32 v20, 0x2000, v59
	s_wait_dscnt 0x0
	s_delay_alu instid0(VALU_DEP_2)
	v_pk_fma_f16 v11, v4, v3, v16
	v_pk_fma_f16 v8, v4, v2, v8
	;; [unrolled: 1-line block ×8, first 2 shown]
	ds_load_2addr_b64 v[0:3], v20 offset1:32
	ds_load_b128 v[4:7], v34 offset:21056
	s_wait_dscnt 0x0
	v_lshrrev_b32_e32 v21, 16, v4
	v_and_b32_e32 v4, 0xffff, v4
	s_delay_alu instid0(VALU_DEP_2) | instskip(NEXT) | instid1(VALU_DEP_2)
	v_mul_u32_u24_e32 v21, 0x10001, v21
	v_mul_u32_u24_e32 v4, 0x10001, v4
	s_delay_alu instid0(VALU_DEP_2) | instskip(NEXT) | instid1(VALU_DEP_2)
	v_pk_fma_f16 v8, v0, v21, v8
	v_pk_fma_f16 v11, v0, v4, v11
	;; [unrolled: 1-line block ×8, first 2 shown]
	ds_load_2addr_b64 v[0:3], v20 offset0:64 offset1:96
	v_lshrrev_b32_e32 v17, 16, v5
	v_and_b32_e32 v5, 0xffff, v5
	s_delay_alu instid0(VALU_DEP_2) | instskip(NEXT) | instid1(VALU_DEP_2)
	v_mul_u32_u24_e32 v17, 0x10001, v17
	v_mul_u32_u24_e32 v5, 0x10001, v5
	s_wait_dscnt 0x0
	s_delay_alu instid0(VALU_DEP_1) | instskip(NEXT) | instid1(VALU_DEP_3)
	v_pk_fma_f16 v11, v0, v5, v11
	v_pk_fma_f16 v8, v0, v17, v8
	v_pk_fma_f16 v14, v1, v5, v14
	v_pk_fma_f16 v9, v1, v17, v9
	v_pk_fma_f16 v15, v2, v5, v15
	v_pk_fma_f16 v10, v2, v17, v10
	v_pk_fma_f16 v4, v3, v5, v4
	v_pk_fma_f16 v5, v3, v17, v16
	ds_load_2addr_b64 v[0:3], v20 offset0:128 offset1:160
	v_lshrrev_b32_e32 v16, 16, v6
	v_and_b32_e32 v6, 0xffff, v6
	s_delay_alu instid0(VALU_DEP_1) | instskip(SKIP_1) | instid1(VALU_DEP_1)
	v_mul_u32_u24_e32 v6, 0x10001, v6
	s_wait_dscnt 0x0
	v_pk_fma_f16 v11, v0, v6, v11
	v_pk_fma_f16 v14, v1, v6, v14
	;; [unrolled: 1-line block ×4, first 2 shown]
	v_lshrrev_b32_e32 v6, 16, v7
	v_mul_u32_u24_e32 v16, 0x10001, v16
	v_and_b32_e32 v7, 0xffff, v7
	s_delay_alu instid0(VALU_DEP_3) | instskip(NEXT) | instid1(VALU_DEP_3)
	v_mul_u32_u24_e32 v6, 0x10001, v6
	v_pk_fma_f16 v8, v0, v16, v8
	v_pk_fma_f16 v9, v1, v16, v9
	;; [unrolled: 1-line block ×4, first 2 shown]
	ds_load_2addr_b64 v[0:3], v20 offset0:192 offset1:224
	v_mul_u32_u24_e32 v7, 0x10001, v7
	v_add_nc_u32_e32 v20, 0x2800, v59
	s_wait_dscnt 0x0
	s_delay_alu instid0(VALU_DEP_2)
	v_pk_fma_f16 v11, v0, v7, v11
	v_pk_fma_f16 v8, v0, v6, v8
	v_pk_fma_f16 v14, v1, v7, v14
	v_pk_fma_f16 v9, v1, v6, v9
	v_pk_fma_f16 v15, v2, v7, v15
	v_pk_fma_f16 v10, v2, v6, v10
	v_pk_fma_f16 v16, v3, v7, v4
	v_pk_fma_f16 v17, v3, v6, v5
	ds_load_2addr_b64 v[0:3], v20 offset1:32
	ds_load_b128 v[4:7], v34 offset:21072
	s_wait_dscnt 0x0
	v_lshrrev_b32_e32 v21, 16, v4
	v_and_b32_e32 v4, 0xffff, v4
	s_delay_alu instid0(VALU_DEP_2) | instskip(NEXT) | instid1(VALU_DEP_2)
	v_mul_u32_u24_e32 v21, 0x10001, v21
	v_mul_u32_u24_e32 v4, 0x10001, v4
	s_delay_alu instid0(VALU_DEP_2) | instskip(NEXT) | instid1(VALU_DEP_2)
	v_pk_fma_f16 v8, v0, v21, v8
	v_pk_fma_f16 v11, v0, v4, v11
	;; [unrolled: 1-line block ×8, first 2 shown]
	ds_load_2addr_b64 v[0:3], v20 offset0:64 offset1:96
	v_lshrrev_b32_e32 v17, 16, v5
	v_and_b32_e32 v5, 0xffff, v5
	s_delay_alu instid0(VALU_DEP_2) | instskip(NEXT) | instid1(VALU_DEP_2)
	v_mul_u32_u24_e32 v17, 0x10001, v17
	v_mul_u32_u24_e32 v5, 0x10001, v5
	s_wait_dscnt 0x0
	s_delay_alu instid0(VALU_DEP_1) | instskip(NEXT) | instid1(VALU_DEP_3)
	v_pk_fma_f16 v11, v0, v5, v11
	v_pk_fma_f16 v8, v0, v17, v8
	;; [unrolled: 1-line block ×8, first 2 shown]
	ds_load_2addr_b64 v[0:3], v20 offset0:128 offset1:160
	v_lshrrev_b32_e32 v16, 16, v6
	v_and_b32_e32 v6, 0xffff, v6
	s_delay_alu instid0(VALU_DEP_1) | instskip(SKIP_1) | instid1(VALU_DEP_1)
	v_mul_u32_u24_e32 v6, 0x10001, v6
	s_wait_dscnt 0x0
	v_pk_fma_f16 v11, v0, v6, v11
	v_pk_fma_f16 v14, v1, v6, v14
	;; [unrolled: 1-line block ×4, first 2 shown]
	v_lshrrev_b32_e32 v6, 16, v7
	v_mul_u32_u24_e32 v16, 0x10001, v16
	v_and_b32_e32 v7, 0xffff, v7
	s_delay_alu instid0(VALU_DEP_3) | instskip(NEXT) | instid1(VALU_DEP_3)
	v_mul_u32_u24_e32 v6, 0x10001, v6
	v_pk_fma_f16 v8, v0, v16, v8
	v_pk_fma_f16 v9, v1, v16, v9
	;; [unrolled: 1-line block ×4, first 2 shown]
	ds_load_2addr_b64 v[0:3], v20 offset0:192 offset1:224
	v_mul_u32_u24_e32 v7, 0x10001, v7
	v_add_nc_u32_e32 v20, 0x3000, v59
	s_wait_dscnt 0x0
	s_delay_alu instid0(VALU_DEP_2)
	v_pk_fma_f16 v11, v0, v7, v11
	v_pk_fma_f16 v8, v0, v6, v8
	;; [unrolled: 1-line block ×8, first 2 shown]
	ds_load_2addr_b64 v[0:3], v20 offset1:32
	ds_load_b128 v[4:7], v34 offset:21088
	s_wait_dscnt 0x0
	v_lshrrev_b32_e32 v21, 16, v4
	v_and_b32_e32 v4, 0xffff, v4
	s_delay_alu instid0(VALU_DEP_2) | instskip(NEXT) | instid1(VALU_DEP_2)
	v_mul_u32_u24_e32 v21, 0x10001, v21
	v_mul_u32_u24_e32 v4, 0x10001, v4
	s_delay_alu instid0(VALU_DEP_2) | instskip(NEXT) | instid1(VALU_DEP_2)
	v_pk_fma_f16 v8, v0, v21, v8
	v_pk_fma_f16 v11, v0, v4, v11
	;; [unrolled: 1-line block ×8, first 2 shown]
	ds_load_2addr_b64 v[0:3], v20 offset0:64 offset1:96
	v_lshrrev_b32_e32 v17, 16, v5
	v_and_b32_e32 v5, 0xffff, v5
	s_delay_alu instid0(VALU_DEP_2) | instskip(NEXT) | instid1(VALU_DEP_2)
	v_mul_u32_u24_e32 v17, 0x10001, v17
	v_mul_u32_u24_e32 v5, 0x10001, v5
	s_wait_dscnt 0x0
	s_delay_alu instid0(VALU_DEP_1) | instskip(NEXT) | instid1(VALU_DEP_3)
	v_pk_fma_f16 v11, v0, v5, v11
	v_pk_fma_f16 v8, v0, v17, v8
	;; [unrolled: 1-line block ×8, first 2 shown]
	ds_load_2addr_b64 v[0:3], v20 offset0:128 offset1:160
	v_lshrrev_b32_e32 v16, 16, v6
	v_and_b32_e32 v6, 0xffff, v6
	s_delay_alu instid0(VALU_DEP_2) | instskip(NEXT) | instid1(VALU_DEP_2)
	v_mul_u32_u24_e32 v16, 0x10001, v16
	v_mul_u32_u24_e32 v6, 0x10001, v6
	s_wait_dscnt 0x0
	s_delay_alu instid0(VALU_DEP_1) | instskip(NEXT) | instid1(VALU_DEP_3)
	v_pk_fma_f16 v11, v0, v6, v11
	v_pk_fma_f16 v0, v0, v16, v8
	;; [unrolled: 1-line block ×8, first 2 shown]
	ds_load_2addr_b64 v[2:5], v20 offset0:192 offset1:224
	v_lshrrev_b32_e32 v1, 16, v7
	v_and_b32_e32 v6, 0xffff, v7
	s_delay_alu instid0(VALU_DEP_2) | instskip(NEXT) | instid1(VALU_DEP_2)
	v_mul_u32_u24_e32 v20, 0x10001, v1
	v_mul_u32_u24_e32 v17, 0x10001, v6
	s_wait_dscnt 0x0
	s_delay_alu instid0(VALU_DEP_2) | instskip(SKIP_1) | instid1(VALU_DEP_3)
	v_pk_fma_f16 v6, v2, v20, v0
	v_add_nc_u32_e32 v0, 0x3800, v59
	v_pk_fma_f16 v1, v2, v17, v11
	v_pk_fma_f16 v7, v3, v17, v8
	;; [unrolled: 1-line block ×7, first 2 shown]
	ds_load_2addr_b64 v[20:23], v0 offset1:32
	ds_load_b128 v[2:5], v34 offset:21104
	s_wait_dscnt 0x0
	v_lshrrev_b32_e32 v15, 16, v2
	v_and_b32_e32 v2, 0xffff, v2
	s_delay_alu instid0(VALU_DEP_2) | instskip(NEXT) | instid1(VALU_DEP_2)
	v_mul_u32_u24_e32 v15, 0x10001, v15
	v_mul_u32_u24_e32 v2, 0x10001, v2
	s_delay_alu instid0(VALU_DEP_2) | instskip(NEXT) | instid1(VALU_DEP_2)
	v_pk_fma_f16 v16, v20, v15, v6
	v_pk_fma_f16 v1, v20, v2, v1
	;; [unrolled: 1-line block ×5, first 2 shown]
	ds_load_2addr_b64 v[6:9], v0 offset0:64 offset1:96
	v_pk_fma_f16 v2, v23, v2, v11
	v_pk_fma_f16 v11, v23, v15, v14
	v_lshrrev_b32_e32 v14, 16, v3
	v_and_b32_e32 v3, 0xffff, v3
	v_pk_fma_f16 v10, v22, v15, v10
	s_delay_alu instid0(VALU_DEP_3) | instskip(NEXT) | instid1(VALU_DEP_3)
	v_mul_u32_u24_e32 v14, 0x10001, v14
	v_mul_u32_u24_e32 v3, 0x10001, v3
	s_wait_dscnt 0x0
	s_delay_alu instid0(VALU_DEP_1) | instskip(NEXT) | instid1(VALU_DEP_3)
	v_pk_fma_f16 v1, v6, v3, v1
	v_pk_fma_f16 v15, v6, v14, v16
	;; [unrolled: 1-line block ×8, first 2 shown]
	ds_load_2addr_b64 v[6:9], v0 offset0:128 offset1:160
	v_lshrrev_b32_e32 v11, 16, v4
	v_and_b32_e32 v4, 0xffff, v4
	s_delay_alu instid0(VALU_DEP_2) | instskip(NEXT) | instid1(VALU_DEP_2)
	v_mul_u32_u24_e32 v21, 0x10001, v11
	v_mul_u32_u24_e32 v14, 0x10001, v4
	s_wait_dscnt 0x0
	s_delay_alu instid0(VALU_DEP_1) | instskip(NEXT) | instid1(VALU_DEP_3)
	v_pk_fma_f16 v22, v6, v14, v1
	v_pk_fma_f16 v23, v6, v21, v15
	;; [unrolled: 1-line block ×7, first 2 shown]
	ds_load_2addr_b64 v[0:3], v0 offset0:192 offset1:224
	v_pk_fma_f16 v10, v8, v21, v10
	v_lshrrev_b32_e32 v8, 16, v5
	v_and_b32_e32 v5, 0xffff, v5
	v_mov_b64_e32 v[20:21], v[18:19]
	s_wait_dscnt 0x0
	s_barrier_signal -1
	v_mul_u32_u24_e32 v16, 0x10001, v8
	v_mul_u32_u24_e32 v15, 0x10001, v5
	s_barrier_wait -1
	s_delay_alu instid0(VALU_DEP_1) | instskip(NEXT) | instid1(VALU_DEP_3)
	v_pk_fma_f16 v64, v0, v15, v22
	v_pk_fma_f16 v63, v0, v16, v23
	;; [unrolled: 1-line block ×8, first 2 shown]
.LBB49_30:
	v_cmp_lt_i32_e32 vcc_lo, v28, v31
	s_cmp_eq_u64 s[12:13], 0
	s_cselect_b32 s2, -1, 0
	s_cmp_lg_u32 s20, 0
	v_cndmask_b32_e32 v0, v58, v28, vcc_lo
	v_cmp_lt_i32_e32 vcc_lo, v29, v31
	s_cselect_b32 s3, -1, 0
	s_delay_alu instid0(SALU_CYCLE_1) | instskip(NEXT) | instid1(VALU_DEP_2)
	s_or_b32 s2, s3, s2
	v_dual_cndmask_b32 v2, v58, v29 :: v_dual_lshlrev_b32 v1, 2, v0
	v_cmp_lt_i32_e32 vcc_lo, v30, v31
	s_delay_alu instid0(VALU_DEP_2) | instskip(SKIP_4) | instid1(VALU_DEP_2)
	v_lshlrev_b32_e32 v3, 2, v2
	ds_bpermute_b32 v0, v1, v12
	ds_bpermute_b32 v1, v1, v13
	v_cndmask_b32_e32 v10, v58, v30, vcc_lo
	v_cmp_lt_i32_e32 vcc_lo, v32, v31
	v_lshlrev_b32_e32 v10, 2, v10
	s_wait_dscnt 0x0
	v_pk_add_f32 v[0:1], v[12:13], v[0:1]
	ds_bpermute_b32 v2, v3, v0
	ds_bpermute_b32 v3, v3, v1
	s_wait_dscnt 0x0
	v_pk_add_f32 v[0:1], v[0:1], v[2:3]
	ds_bpermute_b32 v2, v10, v0
	ds_bpermute_b32 v3, v10, v1
	v_cndmask_b32_e32 v10, v58, v32, vcc_lo
	v_cmp_lt_i32_e32 vcc_lo, v33, v31
	s_delay_alu instid0(VALU_DEP_2)
	v_lshlrev_b32_e32 v10, 2, v10
	s_wait_dscnt 0x0
	v_pk_add_f32 v[0:1], v[0:1], v[2:3]
	ds_bpermute_b32 v2, v10, v0
	ds_bpermute_b32 v3, v10, v1
	v_cndmask_b32_e32 v10, v58, v33, vcc_lo
	s_and_b32 vcc_lo, exec_lo, s2
	s_delay_alu instid0(VALU_DEP_1)
	v_lshlrev_b32_e32 v10, 2, v10
	s_wait_dscnt 0x0
	v_pk_add_f32 v[0:1], v[0:1], v[2:3]
	ds_bpermute_b32 v2, v10, v0
	ds_bpermute_b32 v3, v10, v1
	s_wait_dscnt 0x0
	v_pk_add_f32 v[0:1], v[0:1], v[2:3]
	s_cbranch_vccnz .LBB49_32
; %bb.31:
	v_dual_mov_b32 v2, s33 :: v_dual_max_num_f32 v11, v21, v21
	global_load_b32 v10, v2, s[12:13] scale_offset
	s_wait_loadcnt 0x0
	v_dual_max_num_f32 v2, v20, v20 :: v_dual_max_num_f32 v3, v10, v10
	s_delay_alu instid0(VALU_DEP_1) | instskip(NEXT) | instid1(VALU_DEP_1)
	v_dual_max_num_f32 v2, v2, v3 :: v_dual_max_num_f32 v3, v11, v3
	v_dual_sub_f32 v11, v20, v2 :: v_dual_sub_f32 v12, v10, v2
	s_delay_alu instid0(VALU_DEP_2) | instskip(NEXT) | instid1(VALU_DEP_2)
	v_dual_sub_f32 v13, v21, v3 :: v_dual_sub_f32 v14, v10, v3
	v_dual_mul_f32 v10, 0x3fb8aa3b, v11 :: v_dual_mul_f32 v15, 0x3fb8aa3b, v12
	s_delay_alu instid0(VALU_DEP_2) | instskip(SKIP_1) | instid1(VALU_DEP_3)
	v_dual_mul_f32 v16, 0x3fb8aa3b, v13 :: v_dual_mul_f32 v17, 0x3fb8aa3b, v14
	v_cmp_ngt_f32_e32 vcc_lo, 0xc2ce8ed0, v11
	v_fma_f32 v18, 0x3fb8aa3b, v11, -v10
	s_delay_alu instid0(VALU_DEP_4) | instskip(SKIP_4) | instid1(VALU_DEP_4)
	v_fma_f32 v20, 0x3fb8aa3b, v12, -v15
	v_rndne_f32_e32 v21, v15
	v_rndne_f32_e32 v19, v10
	v_fma_f32 v22, 0x3fb8aa3b, v13, -v16
	v_rndne_f32_e32 v23, v16
	v_dual_fmac_f32 v18, 0x32a5705f, v11 :: v_dual_sub_f32 v15, v15, v21
	v_rndne_f32_e32 v25, v17
	v_fmac_f32_e32 v20, 0x32a5705f, v12
	v_fma_f32 v24, 0x3fb8aa3b, v14, -v17
	s_delay_alu instid0(VALU_DEP_3) | instskip(NEXT) | instid1(VALU_DEP_3)
	v_dual_sub_f32 v16, v16, v23 :: v_dual_sub_f32 v17, v17, v25
	v_dual_fmac_f32 v22, 0x32a5705f, v13 :: v_dual_add_f32 v15, v15, v20
	v_sub_f32_e32 v10, v10, v19
	v_cvt_i32_f32_e32 v20, v21
	s_delay_alu instid0(VALU_DEP_3) | instskip(NEXT) | instid1(VALU_DEP_4)
	v_add_f32_e32 v16, v16, v22
	v_exp_f32_e32 v15, v15
	s_delay_alu instid0(VALU_DEP_3) | instskip(SKIP_3) | instid1(VALU_DEP_3)
	v_add_f32_e32 v10, v10, v18
	v_cvt_i32_f32_e32 v18, v19
	v_cvt_i32_f32_e32 v19, v23
	v_exp_f32_e32 v16, v16
	v_exp_f32_e32 v10, v10
	s_delay_alu instid0(TRANS32_DEP_3) | instskip(SKIP_1) | instid1(TRANS32_DEP_2)
	v_ldexp_f32 v15, v15, v20
	v_mov_b64_e32 v[20:21], v[2:3]
	v_ldexp_f32 v16, v16, v19
	s_delay_alu instid0(TRANS32_DEP_1) | instskip(SKIP_1) | instid1(VALU_DEP_2)
	v_ldexp_f32 v10, v10, v18
	v_cvt_i32_f32_e32 v18, v25
	v_cndmask_b32_e32 v10, 0, v10, vcc_lo
	v_cmp_ngt_f32_e32 vcc_lo, 0xc2ce8ed0, v13
	v_cndmask_b32_e32 v16, 0, v16, vcc_lo
	v_cmp_nlt_f32_e32 vcc_lo, 0x42b17218, v11
	s_delay_alu instid0(VALU_DEP_4) | instskip(SKIP_1) | instid1(VALU_DEP_2)
	v_cndmask_b32_e32 v10, 0x7f800000, v10, vcc_lo
	v_cmp_nlt_f32_e32 vcc_lo, 0x42b17218, v13
	v_cvt_f16_f32_e32 v13, v10
	v_cndmask_b32_e32 v11, 0x7f800000, v16, vcc_lo
	v_cmp_ngt_f32_e32 vcc_lo, 0xc2ce8ed0, v12
	v_dual_fmac_f32 v24, 0x32a5705f, v14 :: v_dual_cndmask_b32 v15, 0, v15
	s_delay_alu instid0(VALU_DEP_1) | instskip(SKIP_1) | instid1(VALU_DEP_2)
	v_add_f32_e32 v17, v17, v24
	v_cmp_ngt_f32_e32 vcc_lo, 0xc2ce8ed0, v14
	v_exp_f32_e32 v17, v17
	v_nop
	s_delay_alu instid0(TRANS32_DEP_1) | instskip(SKIP_1) | instid1(VALU_DEP_2)
	v_ldexp_f32 v17, v17, v18
	v_and_b32_e32 v18, 0xffff, v13
	v_cndmask_b32_e32 v16, 0, v17, vcc_lo
	v_cmp_nlt_f32_e32 vcc_lo, 0x42b17218, v12
	v_cvt_f16_f32_e32 v17, v11
	v_cndmask_b32_e32 v12, 0x7f800000, v15, vcc_lo
	v_cmp_nlt_f32_e32 vcc_lo, 0x42b17218, v14
	s_delay_alu instid0(VALU_DEP_3) | instskip(SKIP_2) | instid1(VALU_DEP_2)
	v_and_b32_e32 v14, 0xffff, v17
	v_mul_u32_u24_e32 v15, 0x10001, v18
	v_cndmask_b32_e32 v13, 0x7f800000, v16, vcc_lo
	v_pk_mul_f16 v64, v64, v15
	v_pk_mul_f16 v9, v9, v15
	;; [unrolled: 1-line block ×3, first 2 shown]
	s_delay_alu instid0(VALU_DEP_4) | instskip(SKIP_2) | instid1(VALU_DEP_2)
	v_pk_fma_f32 v[0:1], v[0:1], v[10:11], v[12:13]
	v_mul_u32_u24_e32 v10, 0x10001, v14
	v_pk_mul_f16 v7, v7, v15
	v_pk_mul_f16 v63, v63, v10
	;; [unrolled: 1-line block ×5, first 2 shown]
.LBB49_32:
	s_mov_b32 s2, exec_lo
	v_cmpx_gt_i32_e64 s22, v56
	s_cbranch_execz .LBB49_42
; %bb.33:
	s_load_b32 s0, s[0:1], 0xd4
	v_mov_b32_e32 v2, 1.0
	s_wait_kmcnt 0x0
	s_cmp_lg_u32 s0, 1
	s_cselect_b32 s3, -1, 0
	s_cmp_eq_u32 s0, 1
	s_cselect_b32 s1, -1, 0
	s_and_b32 vcc_lo, exec_lo, s3
	s_cbranch_vccnz .LBB49_35
; %bb.34:
	v_div_scale_f32 v2, null, v0, v0, 1.0
	s_delay_alu instid0(VALU_DEP_1) | instskip(SKIP_1) | instid1(TRANS32_DEP_1)
	v_rcp_f32_e32 v3, v2
	v_nop
	v_fma_f32 v10, -v2, v3, 1.0
	s_delay_alu instid0(VALU_DEP_1) | instskip(SKIP_1) | instid1(VALU_DEP_1)
	v_fmac_f32_e32 v3, v10, v3
	v_div_scale_f32 v10, vcc_lo, 1.0, v0, 1.0
	v_mul_f32_e32 v11, v10, v3
	s_delay_alu instid0(VALU_DEP_1) | instskip(NEXT) | instid1(VALU_DEP_1)
	v_fma_f32 v12, -v2, v11, v10
	v_fmac_f32_e32 v11, v12, v3
	s_delay_alu instid0(VALU_DEP_1) | instskip(NEXT) | instid1(VALU_DEP_1)
	v_fma_f32 v2, -v2, v11, v10
	v_div_fmas_f32 v2, v2, v3, v11
	s_delay_alu instid0(VALU_DEP_1)
	v_div_fixup_f32 v2, v2, v0, 1.0
.LBB49_35:
	s_mul_i32 s2, s28, s22
	v_dual_lshrrev_b32 v11, 16, v64 :: v_dual_lshrrev_b32 v13, 16, v9
	s_add_co_i32 s2, s2, s38
	s_delay_alu instid0(SALU_CYCLE_1)
	v_dual_mov_b32 v15, 0 :: v_dual_add_nc_u32 v3, s2, v54
	v_cvt_f32_f16_e32 v12, v9
	v_lshrrev_b32_e32 v9, 16, v8
	v_cvt_f32_f16_e32 v16, v8
	v_lshrrev_b32_e32 v8, 16, v7
	v_mad_u32 v3, v3, s23, s33
	v_cvt_f32_f16_e32 v10, v64
	v_cvt_f32_f16_e32 v11, v11
	;; [unrolled: 1-line block ×6, first 2 shown]
	v_cmp_eq_u32_e32 vcc_lo, 0, v57
	v_mad_u32 v3, s0, v3, s20
	s_and_b32 s3, vcc_lo, s3
	s_delay_alu instid0(VALU_DEP_1) | instskip(SKIP_3) | instid1(VALU_DEP_4)
	v_lshl_add_u32 v14, v3, 8, v55
	v_pk_mul_f32 v[8:9], v[2:3], v[10:11] op_sel_hi:[0,1]
	v_pk_mul_f32 v[10:11], v[2:3], v[12:13] op_sel_hi:[0,1]
	;; [unrolled: 1-line block ×3, first 2 shown]
	v_lshl_add_u64 v[22:23], v[14:15], 2, s[16:17]
	v_add_nc_u32_e32 v14, 0x80, v14
	s_delay_alu instid0(VALU_DEP_1)
	v_lshl_add_u64 v[16:17], v[14:15], 2, s[16:17]
	v_pk_mul_f32 v[14:15], v[2:3], v[18:19] op_sel_hi:[0,1]
	s_clause 0x1
	global_store_b128 v[22:23], v[8:11], off
	global_store_b128 v[16:17], v[12:15], off
	s_wait_xcnt 0x0
	s_and_saveexec_b32 s4, s3
	s_cbranch_execz .LBB49_37
; %bb.36:
	v_dual_mov_b32 v8, v20 :: v_dual_mov_b32 v9, v0
	global_store_b64 v3, v[8:9], s[18:19] scale_offset
.LBB49_37:
	s_wait_xcnt 0x0
	s_or_b32 exec_lo, exec_lo, s4
	v_cmp_gt_i32_e32 vcc_lo, s22, v53
	s_and_b32 exec_lo, exec_lo, vcc_lo
	s_cbranch_execz .LBB49_42
; %bb.38:
	v_mov_b32_e32 v0, 1.0
	s_and_not1_b32 vcc_lo, exec_lo, s1
	s_cbranch_vccnz .LBB49_40
; %bb.39:
	v_div_scale_f32 v0, null, v1, v1, 1.0
	s_delay_alu instid0(VALU_DEP_1) | instskip(SKIP_1) | instid1(TRANS32_DEP_1)
	v_rcp_f32_e32 v2, v0
	v_nop
	v_fma_f32 v3, -v0, v2, 1.0
	s_delay_alu instid0(VALU_DEP_1) | instskip(SKIP_1) | instid1(VALU_DEP_1)
	v_fmac_f32_e32 v2, v3, v2
	v_div_scale_f32 v3, vcc_lo, 1.0, v1, 1.0
	v_mul_f32_e32 v7, v3, v2
	s_delay_alu instid0(VALU_DEP_1) | instskip(NEXT) | instid1(VALU_DEP_1)
	v_fma_f32 v8, -v0, v7, v3
	v_fmac_f32_e32 v7, v8, v2
	s_delay_alu instid0(VALU_DEP_1) | instskip(NEXT) | instid1(VALU_DEP_1)
	v_fma_f32 v0, -v0, v7, v3
	v_div_fmas_f32 v0, v0, v2, v7
	s_delay_alu instid0(VALU_DEP_1)
	v_div_fixup_f32 v0, v0, v1, 1.0
.LBB49_40:
	v_dual_mov_b32 v11, 0 :: v_dual_add_nc_u32 v2, s2, v52
	v_dual_lshrrev_b32 v3, 16, v63 :: v_dual_lshrrev_b32 v7, 16, v6
	v_lshrrev_b32_e32 v13, 16, v5
	s_delay_alu instid0(VALU_DEP_3)
	v_mad_u32 v2, v2, s23, s33
	v_cvt_f32_f16_e32 v12, v5
	v_lshrrev_b32_e32 v5, 16, v4
	v_cvt_f32_f16_e32 v8, v63
	v_cvt_f32_f16_e32 v6, v6
	;; [unrolled: 1-line block ×7, first 2 shown]
	v_pk_mul_f32 v[4:5], v[0:1], v[8:9] op_sel_hi:[0,1]
	v_mad_u32 v2, s0, v2, s20
	v_pk_mul_f32 v[6:7], v[0:1], v[6:7] op_sel_hi:[0,1]
	v_pk_mul_f32 v[8:9], v[0:1], v[12:13] op_sel_hi:[0,1]
	s_delay_alu instid0(VALU_DEP_3) | instskip(NEXT) | instid1(VALU_DEP_1)
	v_lshl_add_u32 v10, v2, 8, v55
	v_lshl_add_u64 v[16:17], v[10:11], 2, s[16:17]
	v_add_nc_u32_e32 v10, 0x80, v10
	s_delay_alu instid0(VALU_DEP_1)
	v_lshl_add_u64 v[12:13], v[10:11], 2, s[16:17]
	v_pk_mul_f32 v[10:11], v[0:1], v[14:15] op_sel_hi:[0,1]
	s_clause 0x1
	global_store_b128 v[16:17], v[4:7], off
	global_store_b128 v[12:13], v[8:11], off
	s_wait_xcnt 0x0
	s_and_b32 exec_lo, exec_lo, s3
	s_cbranch_execz .LBB49_42
; %bb.41:
	v_mov_b32_e32 v0, v21
	global_store_b64 v2, v[0:1], s[18:19] scale_offset
.LBB49_42:
	s_sendmsg sendmsg(MSG_DEALLOC_VGPRS)
	s_endpgm
	.section	.rodata,"a",@progbits
	.p2align	6, 0x0
	.amdhsa_kernel _ZL15flash_attn_tileILi256ELi256ELi8ELi1ELb0EEvPKcS1_S1_S1_S1_PKiPfP15HIP_vector_typeIfLj2EEffffjfiS5_IjLj3EEiiiiiiiiiiiliiliiiiil
		.amdhsa_group_segment_fixed_size 21504
		.amdhsa_private_segment_fixed_size 32
		.amdhsa_kernarg_size 464
		.amdhsa_user_sgpr_count 2
		.amdhsa_user_sgpr_dispatch_ptr 0
		.amdhsa_user_sgpr_queue_ptr 0
		.amdhsa_user_sgpr_kernarg_segment_ptr 1
		.amdhsa_user_sgpr_dispatch_id 0
		.amdhsa_user_sgpr_kernarg_preload_length 0
		.amdhsa_user_sgpr_kernarg_preload_offset 0
		.amdhsa_user_sgpr_private_segment_size 0
		.amdhsa_wavefront_size32 1
		.amdhsa_uses_dynamic_stack 0
		.amdhsa_enable_private_segment 1
		.amdhsa_system_sgpr_workgroup_id_x 1
		.amdhsa_system_sgpr_workgroup_id_y 1
		.amdhsa_system_sgpr_workgroup_id_z 1
		.amdhsa_system_sgpr_workgroup_info 0
		.amdhsa_system_vgpr_workitem_id 1
		.amdhsa_next_free_vgpr 118
		.amdhsa_next_free_sgpr 47
		.amdhsa_named_barrier_count 0
		.amdhsa_reserve_vcc 1
		.amdhsa_float_round_mode_32 0
		.amdhsa_float_round_mode_16_64 0
		.amdhsa_float_denorm_mode_32 3
		.amdhsa_float_denorm_mode_16_64 3
		.amdhsa_fp16_overflow 0
		.amdhsa_memory_ordered 1
		.amdhsa_forward_progress 1
		.amdhsa_inst_pref_size 154
		.amdhsa_round_robin_scheduling 0
		.amdhsa_exception_fp_ieee_invalid_op 0
		.amdhsa_exception_fp_denorm_src 0
		.amdhsa_exception_fp_ieee_div_zero 0
		.amdhsa_exception_fp_ieee_overflow 0
		.amdhsa_exception_fp_ieee_underflow 0
		.amdhsa_exception_fp_ieee_inexact 0
		.amdhsa_exception_int_div_zero 0
	.end_amdhsa_kernel
	.section	.text._ZL15flash_attn_tileILi256ELi256ELi8ELi1ELb0EEvPKcS1_S1_S1_S1_PKiPfP15HIP_vector_typeIfLj2EEffffjfiS5_IjLj3EEiiiiiiiiiiiliiliiiiil,"axG",@progbits,_ZL15flash_attn_tileILi256ELi256ELi8ELi1ELb0EEvPKcS1_S1_S1_S1_PKiPfP15HIP_vector_typeIfLj2EEffffjfiS5_IjLj3EEiiiiiiiiiiiliiliiiiil,comdat
.Lfunc_end49:
	.size	_ZL15flash_attn_tileILi256ELi256ELi8ELi1ELb0EEvPKcS1_S1_S1_S1_PKiPfP15HIP_vector_typeIfLj2EEffffjfiS5_IjLj3EEiiiiiiiiiiiliiliiiiil, .Lfunc_end49-_ZL15flash_attn_tileILi256ELi256ELi8ELi1ELb0EEvPKcS1_S1_S1_S1_PKiPfP15HIP_vector_typeIfLj2EEffffjfiS5_IjLj3EEiiiiiiiiiiiliiliiiiil
                                        ; -- End function
	.set _ZL15flash_attn_tileILi256ELi256ELi8ELi1ELb0EEvPKcS1_S1_S1_S1_PKiPfP15HIP_vector_typeIfLj2EEffffjfiS5_IjLj3EEiiiiiiiiiiiliiliiiiil.num_vgpr, 118
	.set _ZL15flash_attn_tileILi256ELi256ELi8ELi1ELb0EEvPKcS1_S1_S1_S1_PKiPfP15HIP_vector_typeIfLj2EEffffjfiS5_IjLj3EEiiiiiiiiiiiliiliiiiil.num_agpr, 0
	.set _ZL15flash_attn_tileILi256ELi256ELi8ELi1ELb0EEvPKcS1_S1_S1_S1_PKiPfP15HIP_vector_typeIfLj2EEffffjfiS5_IjLj3EEiiiiiiiiiiiliiliiiiil.numbered_sgpr, 47
	.set _ZL15flash_attn_tileILi256ELi256ELi8ELi1ELb0EEvPKcS1_S1_S1_S1_PKiPfP15HIP_vector_typeIfLj2EEffffjfiS5_IjLj3EEiiiiiiiiiiiliiliiiiil.num_named_barrier, 0
	.set _ZL15flash_attn_tileILi256ELi256ELi8ELi1ELb0EEvPKcS1_S1_S1_S1_PKiPfP15HIP_vector_typeIfLj2EEffffjfiS5_IjLj3EEiiiiiiiiiiiliiliiiiil.private_seg_size, 32
	.set _ZL15flash_attn_tileILi256ELi256ELi8ELi1ELb0EEvPKcS1_S1_S1_S1_PKiPfP15HIP_vector_typeIfLj2EEffffjfiS5_IjLj3EEiiiiiiiiiiiliiliiiiil.uses_vcc, 1
	.set _ZL15flash_attn_tileILi256ELi256ELi8ELi1ELb0EEvPKcS1_S1_S1_S1_PKiPfP15HIP_vector_typeIfLj2EEffffjfiS5_IjLj3EEiiiiiiiiiiiliiliiiiil.uses_flat_scratch, 1
	.set _ZL15flash_attn_tileILi256ELi256ELi8ELi1ELb0EEvPKcS1_S1_S1_S1_PKiPfP15HIP_vector_typeIfLj2EEffffjfiS5_IjLj3EEiiiiiiiiiiiliiliiiiil.has_dyn_sized_stack, 0
	.set _ZL15flash_attn_tileILi256ELi256ELi8ELi1ELb0EEvPKcS1_S1_S1_S1_PKiPfP15HIP_vector_typeIfLj2EEffffjfiS5_IjLj3EEiiiiiiiiiiiliiliiiiil.has_recursion, 0
	.set _ZL15flash_attn_tileILi256ELi256ELi8ELi1ELb0EEvPKcS1_S1_S1_S1_PKiPfP15HIP_vector_typeIfLj2EEffffjfiS5_IjLj3EEiiiiiiiiiiiliiliiiiil.has_indirect_call, 0
	.section	.AMDGPU.csdata,"",@progbits
; Kernel info:
; codeLenInByte = 19612
; TotalNumSgprs: 49
; NumVgprs: 118
; ScratchSize: 32
; MemoryBound: 0
; FloatMode: 240
; IeeeMode: 1
; LDSByteSize: 21504 bytes/workgroup (compile time only)
; SGPRBlocks: 0
; VGPRBlocks: 7
; NumSGPRsForWavesPerEU: 49
; NumVGPRsForWavesPerEU: 118
; NamedBarCnt: 0
; Occupancy: 8
; WaveLimiterHint : 1
; COMPUTE_PGM_RSRC2:SCRATCH_EN: 1
; COMPUTE_PGM_RSRC2:USER_SGPR: 2
; COMPUTE_PGM_RSRC2:TRAP_HANDLER: 0
; COMPUTE_PGM_RSRC2:TGID_X_EN: 1
; COMPUTE_PGM_RSRC2:TGID_Y_EN: 1
; COMPUTE_PGM_RSRC2:TGID_Z_EN: 1
; COMPUTE_PGM_RSRC2:TIDIG_COMP_CNT: 1
	.section	.text._ZL33flash_attn_stream_k_fixup_uniformILi256ELi8ELi1EEvPfPK15HIP_vector_typeIfLj2EEiiiiiiS1_IjLj3EES5_S5_,"axG",@progbits,_ZL33flash_attn_stream_k_fixup_uniformILi256ELi8ELi1EEvPfPK15HIP_vector_typeIfLj2EEiiiiiiS1_IjLj3EES5_S5_,comdat
	.globl	_ZL33flash_attn_stream_k_fixup_uniformILi256ELi8ELi1EEvPfPK15HIP_vector_typeIfLj2EEiiiiiiS1_IjLj3EES5_S5_ ; -- Begin function _ZL33flash_attn_stream_k_fixup_uniformILi256ELi8ELi1EEvPfPK15HIP_vector_typeIfLj2EEiiiiiiS1_IjLj3EES5_S5_
	.p2align	8
	.type	_ZL33flash_attn_stream_k_fixup_uniformILi256ELi8ELi1EEvPfPK15HIP_vector_typeIfLj2EEiiiiiiS1_IjLj3EES5_S5_,@function
_ZL33flash_attn_stream_k_fixup_uniformILi256ELi8ELi1EEvPfPK15HIP_vector_typeIfLj2EEiiiiiiS1_IjLj3EES5_S5_: ; @_ZL33flash_attn_stream_k_fixup_uniformILi256ELi8ELi1EEvPfPK15HIP_vector_typeIfLj2EEiiiiiiS1_IjLj3EES5_S5_
; %bb.0:
	s_load_b256 s[4:11], s[0:1], 0x1c
	s_bfe_u32 s2, ttmp6, 0x40014
	s_lshr_b32 s3, ttmp7, 16
	s_add_co_i32 s2, s2, 1
	s_bfe_u32 s13, ttmp6, 0x40010
	s_mul_i32 s2, s3, s2
	s_bfe_u32 s12, ttmp6, 0x40008
	s_and_b32 s14, ttmp7, 0xffff
	s_add_co_i32 s13, s13, 1
	s_bfe_u32 s15, ttmp6, 0x4000c
	s_add_co_i32 s2, s12, s2
	s_mul_i32 s12, s14, s13
	s_bfe_u32 s13, ttmp6, 0x40004
	s_add_co_i32 s15, s15, 1
	s_add_co_i32 s13, s13, s12
	s_and_b32 s12, ttmp6, 15
	s_mul_i32 s15, ttmp9, s15
	s_getreg_b32 s20, hwreg(HW_REG_IB_STS2, 6, 4)
	s_add_co_i32 s12, s12, s15
	s_load_b128 s[16:19], s[0:1], 0x3c
	s_cmp_eq_u32 s20, 0
	s_cselect_b32 s12, ttmp9, s12
	s_cselect_b32 s13, s14, s13
	s_wait_kmcnt 0x0
	s_mul_hi_u32 s7, s7, s12
	s_cselect_b32 s14, s3, s2
	s_add_co_i32 s2, s12, s7
	s_delay_alu instid0(SALU_CYCLE_1) | instskip(NEXT) | instid1(SALU_CYCLE_1)
	s_lshr_b32 s7, s2, s8
	s_mul_i32 s2, s7, s9
	s_delay_alu instid0(SALU_CYCLE_1) | instskip(NEXT) | instid1(SALU_CYCLE_1)
	s_sub_co_i32 s8, s12, s2
	s_mul_hi_u32 s2, s8, s10
	s_delay_alu instid0(SALU_CYCLE_1) | instskip(SKIP_2) | instid1(SALU_CYCLE_1)
	s_add_co_i32 s9, s8, s2
	s_load_b64 s[2:3], s[0:1], 0x10
	s_lshr_b32 s15, s9, s11
	s_mul_i32 s9, s15, s16
	s_delay_alu instid0(SALU_CYCLE_1) | instskip(NEXT) | instid1(SALU_CYCLE_1)
	s_sub_co_i32 s8, s8, s9
	s_mul_hi_u32 s9, s8, s17
	s_delay_alu instid0(SALU_CYCLE_1) | instskip(NEXT) | instid1(SALU_CYCLE_1)
	s_add_co_i32 s9, s8, s9
	s_lshr_b32 s16, s9, s18
	s_delay_alu instid0(SALU_CYCLE_1) | instskip(NEXT) | instid1(SALU_CYCLE_1)
	s_mul_i32 s9, s16, s19
	s_sub_co_i32 s17, s8, s9
	s_delay_alu instid0(SALU_CYCLE_1) | instskip(NEXT) | instid1(SALU_CYCLE_1)
	s_lshl_b32 s8, s17, 3
	s_add_co_i32 s8, s8, s13
	s_wait_kmcnt 0x0
	s_cmp_lt_i32 s8, s2
	s_cselect_b32 s8, -1, 0
	s_add_co_i32 s9, s16, s14
	s_delay_alu instid0(SALU_CYCLE_1) | instskip(SKIP_1) | instid1(SALU_CYCLE_1)
	s_cmp_lt_i32 s9, s5
	s_cselect_b32 s9, -1, 0
	s_and_b32 s8, s8, s9
	s_delay_alu instid0(SALU_CYCLE_1)
	s_and_not1_b32 vcc_lo, exec_lo, s8
	s_cbranch_vccnz .LBB50_6
; %bb.1:
	s_mul_i32 s2, s7, s2
	s_load_b128 s[8:11], s[0:1], 0x0
	s_wait_xcnt 0x0
	s_add_co_i32 s0, s2, s13
	s_mul_i32 s15, s15, s5
	s_mul_i32 s0, s0, s3
	;; [unrolled: 1-line block ×3, first 2 shown]
	s_add_co_i32 s0, s0, s14
	s_lshl_b32 s1, s1, 11
	s_add_co_i32 s0, s0, s15
	s_mul_i32 s7, s6, s12
	s_add_co_i32 s0, s0, s16
	s_add_co_i32 s5, s7, s6
	s_lshl_b32 s0, s0, 8
	s_add_co_i32 s13, s13, s14
	s_add_co_i32 s1, s1, s0
	s_lshl_b32 s0, s5, 3
	v_or_b32_e32 v4, s1, v0
	s_add_co_i32 s0, s13, s0
	s_add_co_i32 s2, s5, -2
	s_add_co_i32 s0, s0, -8
	s_delay_alu instid0(SALU_CYCLE_1)
	s_ashr_i32 s1, s0, 31
	s_wait_kmcnt 0x0
	global_load_b32 v3, v4, s[8:9] scale_offset
	s_lshl_b64 s[0:1], s[0:1], 3
	v_ashrrev_i32_e32 v5, 31, v4
	s_add_nc_u64 s[0:1], s[10:11], s[0:1]
	s_cmp_lt_i32 s2, s7
	s_load_b32 s14, s[0:1], 0x4
	s_cbranch_scc1 .LBB50_4
; %bb.2:
	s_wait_xcnt 0x0
	s_load_b32 s0, s[0:1], 0x0
	s_add_co_i32 s12, s12, 1
	s_lshl_b32 s3, s13, 8
	s_wait_xcnt 0x0
	s_mul_i32 s1, s6, s12
	s_lshl_b32 s2, s4, 5
	s_lshl_b32 s6, s1, 11
	;; [unrolled: 1-line block ×3, first 2 shown]
	s_add_co_i32 s6, s3, s6
	s_ashr_i32 s3, s2, 31
	s_wait_kmcnt 0x0
	v_dual_mov_b32 v2, s14 :: v_dual_bitop2_b32 v0, s6, v0 bitop3:0x54
	s_add_co_i32 s1, s13, s1
	s_lshl_b32 s4, s4, 3
	s_lshl_b64 s[2:3], s[2:3], 2
	s_delay_alu instid0(VALU_DEP_1)
	v_add_nc_u32_e32 v0, 0xfffff000, v0
	s_add_co_i32 s4, s1, s4
	s_add_nc_u64 s[2:3], s[10:11], s[2:3]
	s_add_co_i32 s1, s5, -1
	s_add_co_i32 s4, s4, -16
.LBB50_3:                               ; =>This Inner Loop Header: Depth=1
	global_load_b32 v7, v0, s[2:3] scale_offset
	s_ashr_i32 s5, s4, 31
	v_max_num_f32_e64 v1, s0, s0
	s_lshl_b64 s[12:13], s[4:5], 3
	s_delay_alu instid0(SALU_CYCLE_1) | instskip(SKIP_1) | instid1(VALU_DEP_1)
	s_add_nc_u64 s[12:13], s[10:11], s[12:13]
	s_load_b64 s[12:13], s[12:13], 0x0
	v_readfirstlane_b32 s5, v1
	v_add_nc_u32_e32 v0, 0xfffff800, v0
	s_wait_kmcnt 0x0
	v_max_num_f32_e64 v1, s12, s12
	s_delay_alu instid0(VALU_DEP_1) | instskip(SKIP_1) | instid1(SALU_CYCLE_3)
	v_readfirstlane_b32 s6, v1
	s_max_num_f32 s5, s5, s6
	s_sub_f32 s0, s0, s5
	s_sub_f32 s6, s12, s5
	s_delay_alu instid0(SALU_CYCLE_2) | instskip(NEXT) | instid1(SALU_CYCLE_2)
	s_mul_f32 s12, s0, 0x3fb8aa3b
	s_mul_f32 s14, s6, 0x3fb8aa3b
	s_delay_alu instid0(SALU_CYCLE_2)
	s_xor_b32 s15, s12, 0x80000000
	s_rndne_f32 s16, s12
	s_fmamk_f32 s15, s0, 0x3fb8aa3b, s15
	s_cmp_nlt_f32 s0, 0xc2ce8ed0
	s_rndne_f32 s17, s14
	s_sub_f32 s12, s12, s16
	s_fmamk_f32 s15, s0, 0x32a5705f, s15
	s_cselect_b32 vcc_lo, -1, 0
	s_cmp_ngt_f32 s0, 0x42b17218
	s_delay_alu instid0(SALU_CYCLE_1) | instskip(SKIP_2) | instid1(SALU_CYCLE_1)
	s_add_f32 s12, s12, s15
	s_cvt_i32_f32 s15, s16
	s_sub_f32 s16, s14, s17
	v_s_exp_f32 s12, s12
	v_nop
	s_delay_alu instid0(TRANS32_DEP_1) | instskip(SKIP_1) | instid1(VALU_DEP_1)
	v_ldexp_f32 v1, s12, s15
	s_cvt_i32_f32 s12, s17
	v_cndmask_b32_e32 v1, 0, v1, vcc_lo
	s_cselect_b32 vcc_lo, -1, 0
	s_cmp_ge_f32 s0, 0xc1a00000
	s_delay_alu instid0(VALU_DEP_1)
	v_cndmask_b32_e32 v1, 0x7f800000, v1, vcc_lo
	s_cselect_b32 vcc_lo, -1, 0
	s_xor_b32 s0, s14, 0x80000000
	s_cmp_nlt_f32 s6, 0xc2ce8ed0
	s_fmamk_f32 s0, s6, 0x3fb8aa3b, s0
	v_cndmask_b32_e32 v10, 0, v1, vcc_lo
	s_delay_alu instid0(SALU_CYCLE_2) | instskip(NEXT) | instid1(SALU_CYCLE_3)
	s_fmamk_f32 s0, s6, 0x32a5705f, s0
	s_add_f32 s0, s16, s0
	s_delay_alu instid0(SALU_CYCLE_3) | instskip(SKIP_1) | instid1(TRANS32_DEP_1)
	v_s_exp_f32 s0, s0
	v_nop
	v_ldexp_f32 v6, s0, s12
	s_cselect_b32 s0, -1, 0
	s_cmp_ngt_f32 s6, 0x42b17218
	s_delay_alu instid0(VALU_DEP_1) | instskip(SKIP_2) | instid1(VALU_DEP_1)
	v_cndmask_b32_e64 v6, 0, v6, s0
	s_cselect_b32 s0, -1, 0
	s_cmp_ge_f32 s6, 0xc1a00000
	v_cndmask_b32_e64 v8, 0x7f800000, v6, s0
	s_cselect_b32 s0, -1, 0
	v_mov_b32_e32 v6, s13
	s_add_co_i32 s1, s1, -1
	s_add_co_i32 s4, s4, -8
	v_cndmask_b32_e64 v8, 0, v8, s0
	s_cmp_le_i32 s1, s7
	s_mov_b32 s0, s5
	s_wait_loadcnt 0x0
	s_delay_alu instid0(VALU_DEP_1) | instskip(NEXT) | instid1(VALU_DEP_1)
	v_pk_mul_f32 v[6:7], v[6:7], v[8:9] op_sel_hi:[1,0]
	v_pk_fma_f32 v[2:3], v[2:3], v[10:11], v[6:7] op_sel_hi:[1,0,1]
	s_cbranch_scc0 .LBB50_3
	s_branch .LBB50_5
.LBB50_4:
	s_wait_kmcnt 0x0
	v_mov_b32_e32 v2, s14
.LBB50_5:
	v_lshl_add_u64 v[0:1], v[4:5], 2, s[8:9]
	s_wait_loadcnt 0x0
	s_delay_alu instid0(VALU_DEP_2) | instskip(NEXT) | instid1(VALU_DEP_1)
	v_div_scale_f32 v4, null, v2, v2, v3
	v_rcp_f32_e32 v5, v4
	v_nop
	s_delay_alu instid0(TRANS32_DEP_1) | instskip(NEXT) | instid1(VALU_DEP_1)
	v_fma_f32 v6, -v4, v5, 1.0
	v_fmac_f32_e32 v5, v6, v5
	v_div_scale_f32 v6, vcc_lo, v3, v2, v3
	s_delay_alu instid0(VALU_DEP_1) | instskip(NEXT) | instid1(VALU_DEP_1)
	v_mul_f32_e32 v7, v6, v5
	v_fma_f32 v8, -v4, v7, v6
	s_delay_alu instid0(VALU_DEP_1) | instskip(NEXT) | instid1(VALU_DEP_1)
	v_fmac_f32_e32 v7, v8, v5
	v_fma_f32 v4, -v4, v7, v6
	s_delay_alu instid0(VALU_DEP_1) | instskip(NEXT) | instid1(VALU_DEP_1)
	v_div_fmas_f32 v4, v4, v5, v7
	v_div_fixup_f32 v2, v4, v2, v3
	global_store_b32 v[0:1], v2, off
.LBB50_6:
	s_endpgm
	.section	.rodata,"a",@progbits
	.p2align	6, 0x0
	.amdhsa_kernel _ZL33flash_attn_stream_k_fixup_uniformILi256ELi8ELi1EEvPfPK15HIP_vector_typeIfLj2EEiiiiiiS1_IjLj3EES5_S5_
		.amdhsa_group_segment_fixed_size 0
		.amdhsa_private_segment_fixed_size 0
		.amdhsa_kernarg_size 76
		.amdhsa_user_sgpr_count 2
		.amdhsa_user_sgpr_dispatch_ptr 0
		.amdhsa_user_sgpr_queue_ptr 0
		.amdhsa_user_sgpr_kernarg_segment_ptr 1
		.amdhsa_user_sgpr_dispatch_id 0
		.amdhsa_user_sgpr_kernarg_preload_length 0
		.amdhsa_user_sgpr_kernarg_preload_offset 0
		.amdhsa_user_sgpr_private_segment_size 0
		.amdhsa_wavefront_size32 1
		.amdhsa_uses_dynamic_stack 0
		.amdhsa_enable_private_segment 0
		.amdhsa_system_sgpr_workgroup_id_x 1
		.amdhsa_system_sgpr_workgroup_id_y 1
		.amdhsa_system_sgpr_workgroup_id_z 1
		.amdhsa_system_sgpr_workgroup_info 0
		.amdhsa_system_vgpr_workitem_id 0
		.amdhsa_next_free_vgpr 12
		.amdhsa_next_free_sgpr 21
		.amdhsa_named_barrier_count 0
		.amdhsa_reserve_vcc 1
		.amdhsa_float_round_mode_32 0
		.amdhsa_float_round_mode_16_64 0
		.amdhsa_float_denorm_mode_32 3
		.amdhsa_float_denorm_mode_16_64 3
		.amdhsa_fp16_overflow 0
		.amdhsa_memory_ordered 1
		.amdhsa_forward_progress 1
		.amdhsa_inst_pref_size 9
		.amdhsa_round_robin_scheduling 0
		.amdhsa_exception_fp_ieee_invalid_op 0
		.amdhsa_exception_fp_denorm_src 0
		.amdhsa_exception_fp_ieee_div_zero 0
		.amdhsa_exception_fp_ieee_overflow 0
		.amdhsa_exception_fp_ieee_underflow 0
		.amdhsa_exception_fp_ieee_inexact 0
		.amdhsa_exception_int_div_zero 0
	.end_amdhsa_kernel
	.section	.text._ZL33flash_attn_stream_k_fixup_uniformILi256ELi8ELi1EEvPfPK15HIP_vector_typeIfLj2EEiiiiiiS1_IjLj3EES5_S5_,"axG",@progbits,_ZL33flash_attn_stream_k_fixup_uniformILi256ELi8ELi1EEvPfPK15HIP_vector_typeIfLj2EEiiiiiiS1_IjLj3EES5_S5_,comdat
.Lfunc_end50:
	.size	_ZL33flash_attn_stream_k_fixup_uniformILi256ELi8ELi1EEvPfPK15HIP_vector_typeIfLj2EEiiiiiiS1_IjLj3EES5_S5_, .Lfunc_end50-_ZL33flash_attn_stream_k_fixup_uniformILi256ELi8ELi1EEvPfPK15HIP_vector_typeIfLj2EEiiiiiiS1_IjLj3EES5_S5_
                                        ; -- End function
	.set _ZL33flash_attn_stream_k_fixup_uniformILi256ELi8ELi1EEvPfPK15HIP_vector_typeIfLj2EEiiiiiiS1_IjLj3EES5_S5_.num_vgpr, 12
	.set _ZL33flash_attn_stream_k_fixup_uniformILi256ELi8ELi1EEvPfPK15HIP_vector_typeIfLj2EEiiiiiiS1_IjLj3EES5_S5_.num_agpr, 0
	.set _ZL33flash_attn_stream_k_fixup_uniformILi256ELi8ELi1EEvPfPK15HIP_vector_typeIfLj2EEiiiiiiS1_IjLj3EES5_S5_.numbered_sgpr, 21
	.set _ZL33flash_attn_stream_k_fixup_uniformILi256ELi8ELi1EEvPfPK15HIP_vector_typeIfLj2EEiiiiiiS1_IjLj3EES5_S5_.num_named_barrier, 0
	.set _ZL33flash_attn_stream_k_fixup_uniformILi256ELi8ELi1EEvPfPK15HIP_vector_typeIfLj2EEiiiiiiS1_IjLj3EES5_S5_.private_seg_size, 0
	.set _ZL33flash_attn_stream_k_fixup_uniformILi256ELi8ELi1EEvPfPK15HIP_vector_typeIfLj2EEiiiiiiS1_IjLj3EES5_S5_.uses_vcc, 1
	.set _ZL33flash_attn_stream_k_fixup_uniformILi256ELi8ELi1EEvPfPK15HIP_vector_typeIfLj2EEiiiiiiS1_IjLj3EES5_S5_.uses_flat_scratch, 0
	.set _ZL33flash_attn_stream_k_fixup_uniformILi256ELi8ELi1EEvPfPK15HIP_vector_typeIfLj2EEiiiiiiS1_IjLj3EES5_S5_.has_dyn_sized_stack, 0
	.set _ZL33flash_attn_stream_k_fixup_uniformILi256ELi8ELi1EEvPfPK15HIP_vector_typeIfLj2EEiiiiiiS1_IjLj3EES5_S5_.has_recursion, 0
	.set _ZL33flash_attn_stream_k_fixup_uniformILi256ELi8ELi1EEvPfPK15HIP_vector_typeIfLj2EEiiiiiiS1_IjLj3EES5_S5_.has_indirect_call, 0
	.section	.AMDGPU.csdata,"",@progbits
; Kernel info:
; codeLenInByte = 1080
; TotalNumSgprs: 23
; NumVgprs: 12
; ScratchSize: 0
; MemoryBound: 0
; FloatMode: 240
; IeeeMode: 1
; LDSByteSize: 0 bytes/workgroup (compile time only)
; SGPRBlocks: 0
; VGPRBlocks: 0
; NumSGPRsForWavesPerEU: 23
; NumVGPRsForWavesPerEU: 12
; NamedBarCnt: 0
; Occupancy: 16
; WaveLimiterHint : 0
; COMPUTE_PGM_RSRC2:SCRATCH_EN: 0
; COMPUTE_PGM_RSRC2:USER_SGPR: 2
; COMPUTE_PGM_RSRC2:TRAP_HANDLER: 0
; COMPUTE_PGM_RSRC2:TGID_X_EN: 1
; COMPUTE_PGM_RSRC2:TGID_Y_EN: 1
; COMPUTE_PGM_RSRC2:TGID_Z_EN: 1
; COMPUTE_PGM_RSRC2:TIDIG_COMP_CNT: 0
	.section	.text._ZL33flash_attn_stream_k_fixup_generalILi256ELi8ELi1EEvPfPK15HIP_vector_typeIfLj2EEiiiiS1_IjLj3EES5_S5_S5_,"axG",@progbits,_ZL33flash_attn_stream_k_fixup_generalILi256ELi8ELi1EEvPfPK15HIP_vector_typeIfLj2EEiiiiS1_IjLj3EES5_S5_S5_,comdat
	.globl	_ZL33flash_attn_stream_k_fixup_generalILi256ELi8ELi1EEvPfPK15HIP_vector_typeIfLj2EEiiiiS1_IjLj3EES5_S5_S5_ ; -- Begin function _ZL33flash_attn_stream_k_fixup_generalILi256ELi8ELi1EEvPfPK15HIP_vector_typeIfLj2EEiiiiS1_IjLj3EES5_S5_S5_
	.p2align	8
	.type	_ZL33flash_attn_stream_k_fixup_generalILi256ELi8ELi1EEvPfPK15HIP_vector_typeIfLj2EEiiiiS1_IjLj3EES5_S5_S5_,@function
_ZL33flash_attn_stream_k_fixup_generalILi256ELi8ELi1EEvPfPK15HIP_vector_typeIfLj2EEiiiiS1_IjLj3EES5_S5_S5_: ; @_ZL33flash_attn_stream_k_fixup_generalILi256ELi8ELi1EEvPfPK15HIP_vector_typeIfLj2EEiiiiS1_IjLj3EES5_S5_S5_
; %bb.0:
	s_clause 0x1
	s_load_b128 s[4:7], s[0:1], 0x10
	s_load_b32 s16, s[0:1], 0x50
	s_bfe_u32 s2, ttmp6, 0x4000c
	s_and_b32 s3, ttmp6, 15
	s_add_co_i32 s2, s2, 1
	s_getreg_b32 s15, hwreg(HW_REG_IB_STS2, 6, 4)
	s_mul_i32 s2, ttmp9, s2
	s_mov_b32 s17, 0
	s_add_co_i32 s3, s3, s2
	s_cmp_eq_u32 s15, 0
	s_cselect_b32 s2, ttmp9, s3
	s_delay_alu instid0(SALU_CYCLE_1) | instskip(SKIP_3) | instid1(SALU_CYCLE_1)
	s_ashr_i32 s3, s2, 31
	s_wait_kmcnt 0x0
	s_ashr_i32 s19, s7, 31
	s_mov_b32 s18, s7
	s_mul_u64 s[8:9], s[18:19], s[2:3]
	s_delay_alu instid0(SALU_CYCLE_1) | instskip(NEXT) | instid1(SALU_CYCLE_1)
	s_and_b64 s[10:11], s[8:9], 0xffffffff00000000
	s_cmp_lg_u64 s[10:11], 0
	s_cbranch_scc0 .LBB51_21
; %bb.1:
	s_add_nc_u64 s[10:11], s[16:17], 0
	s_mov_b32 s23, s17
	s_xor_b64 s[10:11], s[10:11], 0
	s_mov_b32 s27, s17
	s_cvt_f32_u32 s3, s10
	s_cvt_f32_u32 s7, s11
	s_sub_nc_u64 s[20:21], 0, s[10:11]
	s_delay_alu instid0(SALU_CYCLE_2) | instskip(NEXT) | instid1(SALU_CYCLE_3)
	s_fmamk_f32 s3, s7, 0x4f800000, s3
	v_s_rcp_f32 s3, s3
	s_delay_alu instid0(TRANS32_DEP_1) | instskip(NEXT) | instid1(SALU_CYCLE_3)
	s_mul_f32 s3, s3, 0x5f7ffffc
	s_mul_f32 s7, s3, 0x2f800000
	s_delay_alu instid0(SALU_CYCLE_3) | instskip(NEXT) | instid1(SALU_CYCLE_3)
	s_trunc_f32 s7, s7
	s_fmamk_f32 s3, s7, 0xcf800000, s3
	s_cvt_u32_f32 s13, s7
	s_delay_alu instid0(SALU_CYCLE_2) | instskip(NEXT) | instid1(SALU_CYCLE_3)
	s_cvt_u32_f32 s12, s3
	s_mul_u64 s[24:25], s[20:21], s[12:13]
	s_delay_alu instid0(SALU_CYCLE_1)
	s_mul_hi_u32 s29, s12, s25
	s_mul_i32 s28, s12, s25
	s_mul_hi_u32 s22, s12, s24
	s_mul_i32 s7, s13, s24
	s_add_nc_u64 s[22:23], s[22:23], s[28:29]
	s_mul_hi_u32 s3, s13, s24
	s_mul_hi_u32 s14, s13, s25
	s_add_co_u32 s7, s22, s7
	s_add_co_ci_u32 s26, s23, s3
	s_mul_i32 s24, s13, s25
	s_add_co_ci_u32 s25, s14, 0
	s_delay_alu instid0(SALU_CYCLE_1) | instskip(SKIP_3) | instid1(SALU_CYCLE_1)
	s_add_nc_u64 s[22:23], s[26:27], s[24:25]
	s_mov_b32 s25, s17
	s_add_co_u32 s12, s12, s22
	s_cselect_b32 s3, -1, 0
	s_cmp_lg_u32 s3, 0
	s_add_co_ci_u32 s13, s13, s23
	s_mov_b32 s23, s17
	s_mul_u64 s[20:21], s[20:21], s[12:13]
	s_delay_alu instid0(SALU_CYCLE_1)
	s_mul_hi_u32 s27, s12, s21
	s_mul_i32 s26, s12, s21
	s_mul_hi_u32 s22, s12, s20
	s_mul_i32 s7, s13, s20
	s_add_nc_u64 s[22:23], s[22:23], s[26:27]
	s_mul_hi_u32 s3, s13, s20
	s_mul_hi_u32 s14, s13, s21
	s_add_co_u32 s7, s22, s7
	s_add_co_ci_u32 s24, s23, s3
	s_mul_i32 s20, s13, s21
	s_add_co_ci_u32 s21, s14, 0
	s_mov_b32 s23, s17
	s_add_nc_u64 s[20:21], s[24:25], s[20:21]
	s_delay_alu instid0(SALU_CYCLE_1) | instskip(SKIP_1) | instid1(SALU_CYCLE_1)
	s_add_co_u32 s3, s12, s20
	s_cselect_b32 s7, -1, 0
	s_cmp_lg_u32 s7, 0
	s_add_co_ci_u32 s7, s13, s21
	s_ashr_i32 s12, s9, 31
	s_delay_alu instid0(SALU_CYCLE_1) | instskip(NEXT) | instid1(SALU_CYCLE_1)
	s_mov_b32 s13, s12
	s_add_nc_u64 s[20:21], s[8:9], s[12:13]
	s_delay_alu instid0(SALU_CYCLE_1) | instskip(NEXT) | instid1(SALU_CYCLE_1)
	s_xor_b64 s[20:21], s[20:21], s[12:13]
	s_mul_hi_u32 s27, s20, s7
	s_mul_i32 s26, s20, s7
	s_mul_hi_u32 s22, s20, s3
	s_mul_hi_u32 s14, s21, s3
	s_mul_i32 s3, s21, s3
	s_add_nc_u64 s[22:23], s[22:23], s[26:27]
	s_mul_hi_u32 s9, s21, s7
	s_add_co_u32 s3, s22, s3
	s_add_co_ci_u32 s24, s23, s14
	s_mul_i32 s26, s21, s7
	s_add_co_ci_u32 s27, s9, 0
	s_delay_alu instid0(SALU_CYCLE_1) | instskip(NEXT) | instid1(SALU_CYCLE_1)
	s_add_nc_u64 s[22:23], s[24:25], s[26:27]
	s_and_b64 s[24:25], s[22:23], 0xffffffff00000000
	s_delay_alu instid0(SALU_CYCLE_1) | instskip(NEXT) | instid1(SALU_CYCLE_1)
	s_or_b32 s24, s24, s22
	s_mul_u64 s[22:23], s[10:11], s[24:25]
	s_add_nc_u64 s[26:27], s[24:25], 1
	s_sub_co_u32 s3, s20, s22
	s_cselect_b32 s7, -1, 0
	s_sub_co_i32 s9, s21, s23
	s_cmp_lg_u32 s7, 0
	s_add_nc_u64 s[28:29], s[24:25], 2
	s_sub_co_ci_u32 s9, s9, s11
	s_sub_co_u32 s14, s3, s10
	s_cselect_b32 s20, -1, 0
	s_delay_alu instid0(SALU_CYCLE_1) | instskip(SKIP_1) | instid1(SALU_CYCLE_1)
	s_cmp_lg_u32 s20, 0
	s_sub_co_ci_u32 s9, s9, 0
	s_cmp_ge_u32 s9, s11
	s_cselect_b32 s20, -1, 0
	s_cmp_ge_u32 s14, s10
	s_cselect_b32 s14, -1, 0
	s_cmp_eq_u32 s9, s11
	s_cselect_b32 s9, s14, s20
	s_delay_alu instid0(SALU_CYCLE_1) | instskip(SKIP_4) | instid1(SALU_CYCLE_1)
	s_cmp_lg_u32 s9, 0
	s_cselect_b32 s9, s28, s26
	s_cselect_b32 s14, s29, s27
	s_cmp_lg_u32 s7, 0
	s_sub_co_ci_u32 s7, s21, s23
	s_cmp_ge_u32 s7, s11
	s_cselect_b32 s20, -1, 0
	s_cmp_ge_u32 s3, s10
	s_cselect_b32 s3, -1, 0
	s_cmp_eq_u32 s7, s11
	s_cselect_b32 s3, s3, s20
	s_delay_alu instid0(SALU_CYCLE_1) | instskip(SKIP_4) | instid1(SALU_CYCLE_1)
	s_cmp_lg_u32 s3, 0
	s_mov_b32 s3, s17
	s_cselect_b32 s11, s14, s25
	s_cselect_b32 s10, s9, s24
	s_xor_b64 s[12:13], s[12:13], 0
	s_xor_b64 s[10:11], s[10:11], s[12:13]
	s_delay_alu instid0(SALU_CYCLE_1)
	s_sub_nc_u64 s[20:21], s[10:11], s[12:13]
	s_and_not1_b32 vcc_lo, exec_lo, s3
	s_cbranch_vccnz .LBB51_3
.LBB51_2:
	v_cvt_f32_u32_e32 v1, s16
	s_sub_co_i32 s7, 0, s16
	s_mov_b32 s21, 0
	s_delay_alu instid0(VALU_DEP_1) | instskip(SKIP_1) | instid1(TRANS32_DEP_1)
	v_rcp_iflag_f32_e32 v1, v1
	v_nop
	v_mul_f32_e32 v1, 0x4f7ffffe, v1
	s_delay_alu instid0(VALU_DEP_1) | instskip(NEXT) | instid1(VALU_DEP_1)
	v_cvt_u32_f32_e32 v1, v1
	v_readfirstlane_b32 s3, v1
	s_mul_i32 s7, s7, s3
	s_delay_alu instid0(SALU_CYCLE_1) | instskip(NEXT) | instid1(SALU_CYCLE_1)
	s_mul_hi_u32 s7, s3, s7
	s_add_co_i32 s3, s3, s7
	s_delay_alu instid0(SALU_CYCLE_1) | instskip(NEXT) | instid1(SALU_CYCLE_1)
	s_mul_hi_u32 s3, s8, s3
	s_mul_i32 s7, s3, s16
	s_delay_alu instid0(SALU_CYCLE_1)
	s_sub_co_i32 s7, s8, s7
	s_add_co_i32 s8, s3, 1
	s_sub_co_i32 s9, s7, s16
	s_cmp_ge_u32 s7, s16
	s_cselect_b32 s3, s8, s3
	s_cselect_b32 s7, s9, s7
	s_add_co_i32 s8, s3, 1
	s_cmp_ge_u32 s7, s16
	s_cselect_b32 s20, s8, s3
.LBB51_3:
	s_add_co_i32 s8, s2, 1
	s_delay_alu instid0(SALU_CYCLE_1) | instskip(NEXT) | instid1(SALU_CYCLE_1)
	s_ashr_i32 s9, s8, 31
	s_mul_u64 s[8:9], s[18:19], s[8:9]
	s_delay_alu instid0(SALU_CYCLE_1) | instskip(NEXT) | instid1(SALU_CYCLE_1)
	s_and_b64 s[10:11], s[8:9], 0xffffffff00000000
	s_cmp_lg_u64 s[10:11], 0
	s_cbranch_scc0 .LBB51_22
; %bb.4:
	s_add_nc_u64 s[10:11], s[16:17], 0
	s_delay_alu instid0(SALU_CYCLE_1) | instskip(SKIP_4) | instid1(SALU_CYCLE_2)
	s_xor_b64 s[12:13], s[10:11], 0
	s_mov_b32 s11, 0
	s_cvt_f32_u32 s3, s12
	s_cvt_f32_u32 s7, s13
	s_sub_nc_u64 s[24:25], 0, s[12:13]
	s_fmamk_f32 s3, s7, 0x4f800000, s3
	s_delay_alu instid0(SALU_CYCLE_3) | instskip(NEXT) | instid1(TRANS32_DEP_1)
	v_s_rcp_f32 s3, s3
	s_mul_f32 s3, s3, 0x5f7ffffc
	s_delay_alu instid0(SALU_CYCLE_3) | instskip(NEXT) | instid1(SALU_CYCLE_3)
	s_mul_f32 s7, s3, 0x2f800000
	s_trunc_f32 s7, s7
	s_delay_alu instid0(SALU_CYCLE_3) | instskip(SKIP_1) | instid1(SALU_CYCLE_2)
	s_fmamk_f32 s3, s7, 0xcf800000, s3
	s_cvt_u32_f32 s23, s7
	s_cvt_u32_f32 s22, s3
	s_delay_alu instid0(SALU_CYCLE_3) | instskip(NEXT) | instid1(SALU_CYCLE_1)
	s_mul_u64 s[26:27], s[24:25], s[22:23]
	s_mul_hi_u32 s29, s22, s27
	s_mul_i32 s28, s22, s27
	s_mul_hi_u32 s10, s22, s26
	s_mul_i32 s7, s23, s26
	s_add_nc_u64 s[28:29], s[10:11], s[28:29]
	s_mul_hi_u32 s3, s23, s26
	s_mul_hi_u32 s14, s23, s27
	s_add_co_u32 s7, s28, s7
	s_add_co_ci_u32 s10, s29, s3
	s_mul_i32 s26, s23, s27
	s_add_co_ci_u32 s27, s14, 0
	s_delay_alu instid0(SALU_CYCLE_1) | instskip(NEXT) | instid1(SALU_CYCLE_1)
	s_add_nc_u64 s[26:27], s[10:11], s[26:27]
	s_add_co_u32 s22, s22, s26
	s_cselect_b32 s3, -1, 0
	s_delay_alu instid0(SALU_CYCLE_1) | instskip(SKIP_1) | instid1(SALU_CYCLE_1)
	s_cmp_lg_u32 s3, 0
	s_add_co_ci_u32 s23, s23, s27
	s_mul_u64 s[24:25], s[24:25], s[22:23]
	s_delay_alu instid0(SALU_CYCLE_1)
	s_mul_hi_u32 s27, s22, s25
	s_mul_i32 s26, s22, s25
	s_mul_hi_u32 s10, s22, s24
	s_mul_i32 s7, s23, s24
	s_add_nc_u64 s[26:27], s[10:11], s[26:27]
	s_mul_hi_u32 s3, s23, s24
	s_mul_hi_u32 s14, s23, s25
	s_add_co_u32 s7, s26, s7
	s_add_co_ci_u32 s10, s27, s3
	s_mul_i32 s24, s23, s25
	s_add_co_ci_u32 s25, s14, 0
	s_delay_alu instid0(SALU_CYCLE_1) | instskip(NEXT) | instid1(SALU_CYCLE_1)
	s_add_nc_u64 s[24:25], s[10:11], s[24:25]
	s_add_co_u32 s3, s22, s24
	s_cselect_b32 s7, -1, 0
	s_delay_alu instid0(SALU_CYCLE_1) | instskip(SKIP_2) | instid1(SALU_CYCLE_1)
	s_cmp_lg_u32 s7, 0
	s_add_co_ci_u32 s7, s23, s25
	s_ashr_i32 s22, s9, 31
	s_mov_b32 s23, s22
	s_delay_alu instid0(SALU_CYCLE_1) | instskip(NEXT) | instid1(SALU_CYCLE_1)
	s_add_nc_u64 s[24:25], s[8:9], s[22:23]
	s_xor_b64 s[24:25], s[24:25], s[22:23]
	s_delay_alu instid0(SALU_CYCLE_1)
	s_mul_hi_u32 s27, s24, s7
	s_mul_i32 s26, s24, s7
	s_mul_hi_u32 s10, s24, s3
	s_mul_hi_u32 s14, s25, s3
	s_mul_i32 s3, s25, s3
	s_add_nc_u64 s[26:27], s[10:11], s[26:27]
	s_mul_hi_u32 s9, s25, s7
	s_add_co_u32 s3, s26, s3
	s_add_co_ci_u32 s10, s27, s14
	s_mul_i32 s28, s25, s7
	s_add_co_ci_u32 s29, s9, 0
	s_delay_alu instid0(SALU_CYCLE_1) | instskip(NEXT) | instid1(SALU_CYCLE_1)
	s_add_nc_u64 s[26:27], s[10:11], s[28:29]
	s_and_b64 s[28:29], s[26:27], 0xffffffff00000000
	s_delay_alu instid0(SALU_CYCLE_1) | instskip(NEXT) | instid1(SALU_CYCLE_1)
	s_or_b32 s28, s28, s26
	s_mul_u64 s[26:27], s[12:13], s[28:29]
	s_add_nc_u64 s[30:31], s[28:29], 1
	s_sub_co_u32 s3, s24, s26
	s_cselect_b32 s7, -1, 0
	s_sub_co_i32 s9, s25, s27
	s_cmp_lg_u32 s7, 0
	s_add_nc_u64 s[34:35], s[28:29], 2
	s_sub_co_ci_u32 s9, s9, s13
	s_sub_co_u32 s10, s3, s12
	s_cselect_b32 s14, -1, 0
	s_delay_alu instid0(SALU_CYCLE_1) | instskip(SKIP_1) | instid1(SALU_CYCLE_1)
	s_cmp_lg_u32 s14, 0
	s_sub_co_ci_u32 s9, s9, 0
	s_cmp_ge_u32 s9, s13
	s_cselect_b32 s14, -1, 0
	s_cmp_ge_u32 s10, s12
	s_cselect_b32 s10, -1, 0
	s_cmp_eq_u32 s9, s13
	s_cselect_b32 s9, s10, s14
	s_delay_alu instid0(SALU_CYCLE_1) | instskip(SKIP_4) | instid1(SALU_CYCLE_1)
	s_cmp_lg_u32 s9, 0
	s_cselect_b32 s9, s34, s30
	s_cselect_b32 s10, s35, s31
	s_cmp_lg_u32 s7, 0
	s_sub_co_ci_u32 s7, s25, s27
	s_cmp_ge_u32 s7, s13
	s_cselect_b32 s14, -1, 0
	s_cmp_ge_u32 s3, s12
	s_cselect_b32 s3, -1, 0
	s_cmp_eq_u32 s7, s13
	s_cselect_b32 s3, s3, s14
	s_delay_alu instid0(SALU_CYCLE_1) | instskip(SKIP_3) | instid1(SALU_CYCLE_1)
	s_cmp_lg_u32 s3, 0
	s_cselect_b32 s13, s10, s29
	s_cselect_b32 s12, s9, s28
	s_xor_b64 s[22:23], s[22:23], 0
	s_xor_b64 s[12:13], s[12:13], s[22:23]
	s_delay_alu instid0(SALU_CYCLE_1)
	s_sub_nc_u64 s[24:25], s[12:13], s[22:23]
	s_load_b96 s[12:14], s[0:1], 0x44
	s_cbranch_execnz .LBB51_6
.LBB51_5:
	v_cvt_f32_u32_e32 v1, s16
	s_sub_co_i32 s7, 0, s16
	s_delay_alu instid0(VALU_DEP_1) | instskip(SKIP_1) | instid1(TRANS32_DEP_1)
	v_rcp_iflag_f32_e32 v1, v1
	v_nop
	v_mul_f32_e32 v1, 0x4f7ffffe, v1
	s_delay_alu instid0(VALU_DEP_1) | instskip(NEXT) | instid1(VALU_DEP_1)
	v_cvt_u32_f32_e32 v1, v1
	v_readfirstlane_b32 s3, v1
	s_mul_i32 s7, s7, s3
	s_delay_alu instid0(SALU_CYCLE_1) | instskip(NEXT) | instid1(SALU_CYCLE_1)
	s_mul_hi_u32 s7, s3, s7
	s_add_co_i32 s3, s3, s7
	s_delay_alu instid0(SALU_CYCLE_1) | instskip(NEXT) | instid1(SALU_CYCLE_1)
	s_mul_hi_u32 s3, s8, s3
	s_mul_i32 s7, s3, s16
	s_delay_alu instid0(SALU_CYCLE_1)
	s_sub_co_i32 s7, s8, s7
	s_add_co_i32 s8, s3, 1
	s_sub_co_i32 s9, s7, s16
	s_cmp_ge_u32 s7, s16
	s_cselect_b32 s3, s8, s3
	s_cselect_b32 s7, s9, s7
	s_add_co_i32 s8, s3, 1
	s_cmp_ge_u32 s7, s16
	s_cselect_b32 s24, s8, s3
.LBB51_6:
	s_delay_alu instid0(SALU_CYCLE_1)
	s_cmp_eq_u32 s20, s24
	s_mov_b64 s[8:9], 0xffffffff
	s_cselect_b32 s3, -1, 0
	s_and_b64 s[8:9], s[20:21], s[8:9]
	s_mov_b32 s23, 0
	s_wait_kmcnt 0x0
	s_mov_b32 s22, s12
	s_mov_b32 s25, s23
	s_mul_u64 s[10:11], s[8:9], s[22:23]
	s_delay_alu instid0(SALU_CYCLE_1) | instskip(SKIP_2) | instid1(SALU_CYCLE_1)
	s_add_co_i32 s7, s11, s20
	s_mul_u64 s[10:11], s[24:25], s[22:23]
	s_lshr_b32 s12, s7, s13
	s_mul_i32 s7, s12, s14
	s_delay_alu instid0(SALU_CYCLE_1) | instskip(SKIP_2) | instid1(SALU_CYCLE_1)
	s_cmp_eq_u32 s7, s20
	s_cselect_b32 s7, -1, 0
	s_add_co_i32 s10, s11, s24
	s_lshr_b32 s10, s10, s13
	s_delay_alu instid0(SALU_CYCLE_1)
	s_cmp_eq_u32 s12, s10
	s_mul_i32 s10, s10, s14
	s_cselect_b32 s11, -1, 0
	s_cmp_lg_u32 s10, s24
	s_cselect_b32 s10, -1, 0
	s_or_b32 s3, s3, s7
	s_and_b32 s10, s11, s10
	s_delay_alu instid0(SALU_CYCLE_1) | instskip(NEXT) | instid1(SALU_CYCLE_1)
	s_or_b32 s3, s3, s10
	s_and_b32 vcc_lo, exec_lo, s3
	s_cbranch_vccnz .LBB51_24
; %bb.7:
	s_load_b256 s[24:31], s[0:1], 0x20
	s_bfe_u32 s7, ttmp6, 0x40014
	s_bfe_u32 s33, ttmp6, 0x40010
	s_lshr_b32 s3, ttmp7, 16
	s_add_co_i32 s7, s7, 1
	s_and_b32 s21, ttmp7, 0xffff
	s_add_co_i32 s33, s33, 1
	s_bfe_u32 s10, ttmp6, 0x40008
	s_mul_i32 s7, s3, s7
	s_bfe_u32 s34, ttmp6, 0x40004
	s_mul_i32 s33, s21, s33
	s_mov_b32 s11, s23
	s_add_co_i32 s7, s10, s7
	s_add_co_i32 s34, s34, s33
	s_cmp_eq_u32 s15, 0
	s_cselect_b32 s15, s21, s34
	s_cselect_b32 s3, s3, s7
	s_wait_kmcnt 0x0
	s_mov_b32 s10, s24
	s_delay_alu instid0(SALU_CYCLE_1) | instskip(SKIP_2) | instid1(SALU_CYCLE_1)
	s_mul_u64 s[8:9], s[8:9], s[10:11]
	s_load_b32 s8, s[0:1], 0x40
	s_add_co_i32 s7, s9, s20
	s_lshr_b32 s7, s7, s25
	s_delay_alu instid0(SALU_CYCLE_1) | instskip(NEXT) | instid1(SALU_CYCLE_1)
	s_mul_i32 s9, s7, s26
	s_sub_co_i32 s9, s20, s9
	s_delay_alu instid0(SALU_CYCLE_1) | instskip(NEXT) | instid1(SALU_CYCLE_1)
	s_mul_hi_u32 s10, s9, s27
	s_add_co_i32 s10, s9, s10
	s_delay_alu instid0(SALU_CYCLE_1) | instskip(NEXT) | instid1(SALU_CYCLE_1)
	s_lshr_b32 s21, s10, s28
	s_mul_i32 s10, s21, s29
	s_delay_alu instid0(SALU_CYCLE_1) | instskip(NEXT) | instid1(SALU_CYCLE_1)
	s_sub_co_i32 s10, s9, s10
	s_mul_hi_u32 s9, s10, s30
	s_delay_alu instid0(SALU_CYCLE_1) | instskip(NEXT) | instid1(SALU_CYCLE_1)
	s_add_co_i32 s9, s10, s9
	s_lshr_b32 s24, s9, s31
	s_mov_b32 s9, s23
	s_wait_kmcnt 0x0
	s_mul_i32 s8, s24, s8
	s_delay_alu instid0(SALU_CYCLE_1) | instskip(NEXT) | instid1(SALU_CYCLE_1)
	s_sub_co_i32 s8, s10, s8
	s_mul_u64 s[10:11], s[8:9], s[22:23]
	s_delay_alu instid0(SALU_CYCLE_1) | instskip(NEXT) | instid1(SALU_CYCLE_1)
	s_add_co_i32 s8, s8, s11
	s_lshr_b32 s25, s8, s13
	s_delay_alu instid0(SALU_CYCLE_1) | instskip(NEXT) | instid1(SALU_CYCLE_1)
	s_lshl_b32 s8, s25, 3
	s_add_co_i32 s8, s8, s15
	s_delay_alu instid0(SALU_CYCLE_1) | instskip(SKIP_2) | instid1(SALU_CYCLE_1)
	s_cmp_lt_i32 s8, s4
	s_cselect_b32 s8, -1, 0
	s_add_co_i32 s9, s24, s3
	s_cmp_lt_i32 s9, s6
	s_cselect_b32 s9, -1, 0
	s_delay_alu instid0(SALU_CYCLE_1) | instskip(NEXT) | instid1(SALU_CYCLE_1)
	s_and_b32 s8, s8, s9
	s_and_not1_b32 vcc_lo, exec_lo, s8
	s_cbranch_vccnz .LBB51_24
; %bb.8:
	s_mul_i32 s4, s7, s4
	s_load_b128 s[8:11], s[0:1], 0x0
	s_wait_xcnt 0x0
	s_add_co_i32 s0, s4, s15
	s_mul_i32 s21, s21, s6
	s_mul_i32 s0, s0, s5
	;; [unrolled: 1-line block ×3, first 2 shown]
	s_add_co_i32 s0, s0, s3
	s_lshl_b32 s1, s1, 11
	s_add_co_i32 s0, s0, s21
	s_add_co_i32 s15, s15, s3
	;; [unrolled: 1-line block ×3, first 2 shown]
	v_lshl_or_b32 v6, s15, 8, v0
	s_lshl_b32 s0, s0, 8
	v_cvt_f32_u32_e32 v4, s16
	s_add_co_i32 s1, s1, s0
	s_lshl_b32 s24, s16, 5
	v_or_b32_e32 v2, s1, v0
	s_add_nc_u64 s[0:1], s[16:17], 0
	v_rcp_iflag_f32_e32 v4, v4
	s_xor_b64 s[6:7], s[0:1], 0
	s_lshl_b32 s0, s2, 3
	s_cvt_f32_u32 s3, s6
	s_add_co_i32 s0, s0, s15
	s_cvt_f32_u32 s4, s7
	s_ashr_i32 s1, s0, 31
	s_mov_b32 s25, 0
	s_lshl_b64 s[0:1], s[0:1], 3
	s_fmamk_f32 s3, s4, 0x4f800000, s3
	s_wait_kmcnt 0x0
	s_add_nc_u64 s[0:1], s[10:11], s[0:1]
	s_add_co_i32 s36, s2, -1
	s_load_b64 s[28:29], s[0:1], 0x0
	v_s_rcp_f32 s3, s3
	s_wait_xcnt 0x0
	s_lshl_b64 s[0:1], s[24:25], 2
	s_sub_nc_u64 s[34:35], 0, s[6:7]
	s_add_nc_u64 s[26:27], s[10:11], s[0:1]
	v_mul_f32_e32 v4, 0x4f7ffffe, v4
	s_delay_alu instid0(TRANS32_DEP_1) | instskip(NEXT) | instid1(VALU_DEP_1)
	s_mul_f32 s3, s3, 0x5f7ffffc
	v_cvt_u32_f32_e32 v7, v4
	s_delay_alu instid0(SALU_CYCLE_2) | instskip(NEXT) | instid1(SALU_CYCLE_3)
	s_mul_f32 s4, s3, 0x2f800000
	s_trunc_f32 s4, s4
	s_wait_kmcnt 0x0
	v_mov_b32_e32 v0, s29
	global_load_b32 v1, v2, s[8:9] scale_offset
	v_ashrrev_i32_e32 v3, 31, v2
	s_fmamk_f32 s0, s4, 0xcf800000, s3
	s_cvt_u32_f32 s31, s4
	s_wait_xcnt 0x0
	s_delay_alu instid0(VALU_DEP_1)
	v_lshl_add_u64 v[2:3], v[2:3], 2, s[8:9]
	s_cvt_u32_f32 s30, s0
	s_mov_b64 s[8:9], 0xffffffff
.LBB51_9:                               ; =>This Inner Loop Header: Depth=1
	s_ashr_i32 s37, s36, 31
                                        ; implicit-def: $sgpr40_sgpr41
	s_delay_alu instid0(SALU_CYCLE_1) | instskip(NEXT) | instid1(SALU_CYCLE_1)
	s_mul_u64 s[0:1], s[36:37], s[18:19]
	s_and_b64 s[2:3], s[0:1], 0xffffffff00000000
	s_delay_alu instid0(SALU_CYCLE_1)
	s_cmp_lg_u64 s[2:3], 0
	s_mov_b32 s2, -1
	s_cbranch_scc0 .LBB51_11
; %bb.10:                               ;   in Loop: Header=BB51_9 Depth=1
	s_mul_u64 s[2:3], s[34:35], s[30:31]
	s_delay_alu instid0(SALU_CYCLE_1)
	s_mul_hi_u32 s5, s30, s3
	s_mul_i32 s4, s30, s3
	s_mul_hi_u32 s24, s30, s2
	s_mul_hi_u32 s17, s31, s2
	s_add_nc_u64 s[4:5], s[24:25], s[4:5]
	s_mul_i32 s2, s31, s2
	s_mul_hi_u32 s21, s31, s3
	s_add_co_u32 s2, s4, s2
	s_add_co_ci_u32 s24, s5, s17
	s_add_co_ci_u32 s5, s21, 0
	s_mul_i32 s4, s31, s3
	s_delay_alu instid0(SALU_CYCLE_1) | instskip(NEXT) | instid1(SALU_CYCLE_1)
	s_add_nc_u64 s[2:3], s[24:25], s[4:5]
	s_add_co_u32 s2, s30, s2
	s_cselect_b32 s4, -1, 0
	s_delay_alu instid0(SALU_CYCLE_1) | instskip(SKIP_1) | instid1(SALU_CYCLE_1)
	s_cmp_lg_u32 s4, 0
	s_add_co_ci_u32 s3, s31, s3
	s_mul_u64 s[4:5], s[34:35], s[2:3]
	s_delay_alu instid0(SALU_CYCLE_1)
	s_mul_hi_u32 s39, s2, s5
	s_mul_i32 s38, s2, s5
	s_mul_hi_u32 s24, s2, s4
	s_mul_hi_u32 s17, s3, s4
	s_mul_i32 s4, s3, s4
	s_add_nc_u64 s[38:39], s[24:25], s[38:39]
	s_mul_hi_u32 s21, s3, s5
	s_add_co_u32 s4, s38, s4
	s_add_co_ci_u32 s24, s39, s17
	s_mul_i32 s4, s3, s5
	s_add_co_ci_u32 s5, s21, 0
	s_delay_alu instid0(SALU_CYCLE_1) | instskip(NEXT) | instid1(SALU_CYCLE_1)
	s_add_nc_u64 s[4:5], s[24:25], s[4:5]
	s_add_co_u32 s17, s2, s4
	s_cselect_b32 s2, -1, 0
	s_delay_alu instid0(SALU_CYCLE_1) | instskip(SKIP_2) | instid1(SALU_CYCLE_1)
	s_cmp_lg_u32 s2, 0
	s_add_co_ci_u32 s21, s3, s5
	s_ashr_i32 s2, s1, 31
	s_mov_b32 s3, s2
	s_delay_alu instid0(SALU_CYCLE_1) | instskip(NEXT) | instid1(SALU_CYCLE_1)
	s_add_nc_u64 s[4:5], s[0:1], s[2:3]
	s_xor_b64 s[4:5], s[4:5], s[2:3]
	s_delay_alu instid0(SALU_CYCLE_1)
	s_mul_hi_u32 s39, s4, s21
	s_mul_i32 s38, s4, s21
	s_mul_hi_u32 s24, s4, s17
	s_mul_hi_u32 s29, s5, s17
	s_mul_i32 s17, s5, s17
	s_add_nc_u64 s[38:39], s[24:25], s[38:39]
	s_mul_hi_u32 s1, s5, s21
	s_add_co_u32 s17, s38, s17
	s_add_co_ci_u32 s24, s39, s29
	s_mul_i32 s40, s5, s21
	s_add_co_ci_u32 s41, s1, 0
	s_delay_alu instid0(SALU_CYCLE_1) | instskip(NEXT) | instid1(SALU_CYCLE_1)
	s_add_nc_u64 s[38:39], s[24:25], s[40:41]
	s_and_b64 s[40:41], s[38:39], 0xffffffff00000000
	s_delay_alu instid0(SALU_CYCLE_1) | instskip(NEXT) | instid1(SALU_CYCLE_1)
	s_or_b32 s40, s40, s38
	s_mul_u64 s[38:39], s[6:7], s[40:41]
	s_add_nc_u64 s[42:43], s[40:41], 1
	s_sub_co_u32 s1, s4, s38
	s_cselect_b32 s4, -1, 0
	s_sub_co_i32 s17, s5, s39
	s_cmp_lg_u32 s4, 0
	s_add_nc_u64 s[44:45], s[40:41], 2
	s_sub_co_ci_u32 s17, s17, s7
	s_sub_co_u32 s21, s1, s6
	s_cselect_b32 s24, -1, 0
	s_delay_alu instid0(SALU_CYCLE_1) | instskip(SKIP_1) | instid1(SALU_CYCLE_1)
	s_cmp_lg_u32 s24, 0
	s_sub_co_ci_u32 s17, s17, 0
	s_cmp_ge_u32 s17, s7
	s_cselect_b32 s24, -1, 0
	s_cmp_ge_u32 s21, s6
	s_cselect_b32 s21, -1, 0
	s_cmp_eq_u32 s17, s7
	s_cselect_b32 s17, s21, s24
	s_delay_alu instid0(SALU_CYCLE_1) | instskip(SKIP_4) | instid1(SALU_CYCLE_1)
	s_cmp_lg_u32 s17, 0
	s_cselect_b32 s17, s44, s42
	s_cselect_b32 s21, s45, s43
	s_cmp_lg_u32 s4, 0
	s_sub_co_ci_u32 s4, s5, s39
	s_cmp_ge_u32 s4, s7
	s_cselect_b32 s5, -1, 0
	s_cmp_ge_u32 s1, s6
	s_cselect_b32 s1, -1, 0
	s_cmp_eq_u32 s4, s7
	s_cselect_b32 s1, s1, s5
	s_delay_alu instid0(SALU_CYCLE_1) | instskip(SKIP_3) | instid1(SALU_CYCLE_1)
	s_cmp_lg_u32 s1, 0
	s_cselect_b32 s5, s21, s41
	s_cselect_b32 s4, s17, s40
	s_xor_b64 s[2:3], s[2:3], 0
	s_xor_b64 s[4:5], s[4:5], s[2:3]
	s_delay_alu instid0(SALU_CYCLE_1)
	s_sub_nc_u64 s[40:41], s[4:5], s[2:3]
	s_mov_b32 s2, 0
.LBB51_11:                              ;   in Loop: Header=BB51_9 Depth=1
	s_delay_alu instid0(SALU_CYCLE_1)
	s_and_not1_b32 vcc_lo, exec_lo, s2
	s_cbranch_vccnz .LBB51_13
; %bb.12:                               ;   in Loop: Header=BB51_9 Depth=1
	v_readfirstlane_b32 s1, v7
	s_sub_co_i32 s2, 0, s16
	s_delay_alu instid0(SALU_CYCLE_1) | instskip(NEXT) | instid1(SALU_CYCLE_1)
	s_mul_i32 s2, s2, s1
	s_mul_hi_u32 s2, s1, s2
	s_delay_alu instid0(SALU_CYCLE_1) | instskip(NEXT) | instid1(SALU_CYCLE_1)
	s_add_co_i32 s1, s1, s2
	s_mul_hi_u32 s1, s0, s1
	s_delay_alu instid0(SALU_CYCLE_1) | instskip(NEXT) | instid1(SALU_CYCLE_1)
	s_mul_i32 s2, s1, s16
	s_sub_co_i32 s0, s0, s2
	s_add_co_i32 s2, s1, 1
	s_sub_co_i32 s3, s0, s16
	s_cmp_ge_u32 s0, s16
	s_cselect_b32 s1, s2, s1
	s_cselect_b32 s0, s3, s0
	s_add_co_i32 s2, s1, 1
	s_cmp_ge_u32 s0, s16
	s_cselect_b32 s24, s2, s1
	s_delay_alu instid0(SALU_CYCLE_1)
	s_mov_b64 s[40:41], s[24:25]
.LBB51_13:                              ;   in Loop: Header=BB51_9 Depth=1
	s_delay_alu instid0(SALU_CYCLE_1)
	s_cmp_lg_u32 s20, s40
	s_mov_b32 s0, -1
                                        ; implicit-def: $vgpr4_vgpr5
                                        ; implicit-def: $sgpr24
                                        ; implicit-def: $sgpr17
                                        ; implicit-def: $sgpr21
                                        ; implicit-def: $sgpr29
	s_cbranch_scc0 .LBB51_18
; %bb.14:                               ;   in Loop: Header=BB51_9 Depth=1
	s_add_co_i32 s0, s36, s16
	v_max_num_f32_e64 v4, s28, s28
	s_lshl_b32 s0, s0, 3
	s_mov_b32 s29, s20
	s_add_co_i32 s0, s0, s15
	s_load_b64 s[38:39], s[10:11], s0 offset:0x0 scale_offset
	s_wait_xcnt 0x0
	v_readfirstlane_b32 s0, v4
	s_wait_kmcnt 0x0
	v_max_num_f32_e64 v5, s38, s38
	s_delay_alu instid0(VALU_DEP_1) | instskip(SKIP_1) | instid1(SALU_CYCLE_3)
	v_readfirstlane_b32 s1, v5
	s_max_num_f32 s17, s0, s1
	s_sub_f32 s33, s28, s17
	s_sub_f32 s37, s38, s17
	s_delay_alu instid0(SALU_CYCLE_2)
	s_cmp_nlt_f32 s33, 0xc2ce8ed0
	s_cselect_b32 s1, -1, 0
	s_cmp_ngt_f32 s33, 0x42b17218
	s_cselect_b32 s2, -1, 0
	s_cmp_ge_f32 s33, 0xc1a00000
	s_cselect_b32 s0, -1, 0
	s_cmp_nlt_f32 s37, 0xc2ce8ed0
	s_cselect_b32 s3, -1, 0
	s_cmp_ngt_f32 s37, 0x42b17218
	s_cselect_b32 s4, -1, 0
	s_cmp_ge_f32 s37, 0xc1a00000
	s_cselect_b32 s5, -1, 0
	s_and_b64 s[42:43], s[40:41], s[8:9]
	s_delay_alu instid0(SALU_CYCLE_1) | instskip(NEXT) | instid1(SALU_CYCLE_1)
	s_mul_u64 s[42:43], s[42:43], s[22:23]
	s_add_co_i32 s21, s43, s40
	s_delay_alu instid0(SALU_CYCLE_1) | instskip(NEXT) | instid1(SALU_CYCLE_1)
	s_lshr_b32 s21, s21, s13
	s_mul_i32 s24, s21, s14
	s_delay_alu instid0(SALU_CYCLE_1) | instskip(SKIP_3) | instid1(SALU_CYCLE_1)
	s_cmp_eq_u32 s24, s40
	s_cselect_b32 s24, -1, 0
	s_cmp_lt_u32 s21, s12
	s_cselect_b32 s21, -1, 0
	s_or_b32 s21, s21, s24
	s_mov_b32 s24, -1
	s_and_b32 vcc_lo, exec_lo, s21
	s_mov_b32 s21, s36
	s_cbranch_vccnz .LBB51_16
; %bb.15:                               ;   in Loop: Header=BB51_9 Depth=1
	s_add_co_i32 s21, s36, -1
	s_mov_b32 s24, 0
	s_mov_b32 s29, s40
.LBB51_16:                              ;   in Loop: Header=BB51_9 Depth=1
	v_lshl_add_u32 v4, s36, 11, v6
	s_mul_f32 s40, s33, 0x3fb8aa3b
	s_mul_f32 s38, s37, 0x3fb8aa3b
	s_delay_alu instid0(SALU_CYCLE_2)
	s_xor_b32 s42, s40, 0x80000000
	global_load_b32 v5, v4, s[26:27] scale_offset
	s_fmamk_f32 s42, s33, 0x3fb8aa3b, s42
	s_rndne_f32 s44, s40
	s_xor_b32 s41, s38, 0x80000000
	s_rndne_f32 s43, s38
	s_fmamk_f32 s33, s33, 0x32a5705f, s42
	s_sub_f32 s40, s40, s44
	s_fmamk_f32 s41, s37, 0x3fb8aa3b, s41
	s_sub_f32 s38, s38, s43
	s_delay_alu instid0(SALU_CYCLE_1) | instskip(NEXT) | instid1(SALU_CYCLE_1)
	s_add_f32 s33, s40, s33
	s_fmamk_f32 s37, s37, 0x32a5705f, s41
	s_cvt_i32_f32 s40, s44
	s_delay_alu instid0(SALU_CYCLE_1) | instskip(NEXT) | instid1(SALU_CYCLE_1)
	v_s_exp_f32 s33, s33
	s_add_f32 s37, s38, s37
	s_cvt_i32_f32 s38, s43
	s_delay_alu instid0(SALU_CYCLE_2) | instskip(NEXT) | instid1(TRANS32_DEP_2)
	v_s_exp_f32 s37, s37
	v_ldexp_f32 v8, s33, s40
	s_wait_xcnt 0x0
	s_delay_alu instid0(TRANS32_DEP_1) | instskip(NEXT) | instid1(VALU_DEP_2)
	v_ldexp_f32 v4, s37, s38
	v_cndmask_b32_e64 v8, 0, v8, s1
	s_delay_alu instid0(VALU_DEP_1) | instskip(NEXT) | instid1(VALU_DEP_1)
	v_cndmask_b32_e64 v9, 0x7f800000, v8, s2
	v_dual_cndmask_b32 v4, 0, v4, s3 :: v_dual_cndmask_b32 v10, 0, v9, s0
	s_delay_alu instid0(VALU_DEP_1) | instskip(NEXT) | instid1(VALU_DEP_1)
	v_cndmask_b32_e64 v4, 0x7f800000, v4, s4
	v_dual_cndmask_b32 v8, 0, v4, s5 :: v_dual_mov_b32 v4, s39
	s_wait_loadcnt 0x0
	s_delay_alu instid0(VALU_DEP_1) | instskip(NEXT) | instid1(VALU_DEP_1)
	v_pk_mul_f32 v[4:5], v[4:5], v[8:9] op_sel_hi:[1,0]
	v_pk_fma_f32 v[4:5], v[0:1], v[10:11], v[4:5] op_sel_hi:[1,0,1]
	s_cbranch_execz .LBB51_19
.LBB51_17:                              ;   in Loop: Header=BB51_9 Depth=1
	s_and_not1_b32 vcc_lo, exec_lo, s24
	s_cbranch_vccnz .LBB51_20
	s_branch .LBB51_23
.LBB51_18:                              ;   in Loop: Header=BB51_9 Depth=1
	s_and_not1_b32 vcc_lo, exec_lo, s0
	s_cbranch_vccnz .LBB51_17
.LBB51_19:                              ;   in Loop: Header=BB51_9 Depth=1
	s_wait_loadcnt 0x0
	v_mov_b64_e32 v[4:5], v[0:1]
	s_add_co_i32 s21, s36, -1
	s_mov_b32 s29, s20
	s_mov_b32 s17, s28
	s_cbranch_execz .LBB51_23
.LBB51_20:                              ;   in Loop: Header=BB51_9 Depth=1
	s_wait_loadcnt 0x0
	s_delay_alu instid0(VALU_DEP_1)
	v_mov_b64_e32 v[0:1], v[4:5]
	s_mov_b32 s20, s29
	s_mov_b32 s36, s21
	s_mov_b32 s28, s17
	s_branch .LBB51_9
.LBB51_21:
                                        ; implicit-def: $sgpr20_sgpr21
	s_branch .LBB51_2
.LBB51_22:
                                        ; implicit-def: $sgpr24_sgpr25
	s_load_b96 s[12:14], s[0:1], 0x44
	s_branch .LBB51_5
.LBB51_23:
	s_delay_alu instid0(VALU_DEP_1) | instskip(SKIP_1) | instid1(VALU_DEP_1)
	v_div_scale_f32 v0, null, v4, v4, v5
	s_wait_loadcnt 0x0
	v_rcp_f32_e32 v1, v0
	v_nop
	s_delay_alu instid0(TRANS32_DEP_1) | instskip(NEXT) | instid1(VALU_DEP_1)
	v_fma_f32 v6, -v0, v1, 1.0
	v_fmac_f32_e32 v1, v6, v1
	v_div_scale_f32 v6, vcc_lo, v5, v4, v5
	s_delay_alu instid0(VALU_DEP_1) | instskip(NEXT) | instid1(VALU_DEP_1)
	v_mul_f32_e32 v7, v6, v1
	v_fma_f32 v8, -v0, v7, v6
	s_delay_alu instid0(VALU_DEP_1) | instskip(NEXT) | instid1(VALU_DEP_1)
	v_fmac_f32_e32 v7, v8, v1
	v_fma_f32 v0, -v0, v7, v6
	s_delay_alu instid0(VALU_DEP_1) | instskip(NEXT) | instid1(VALU_DEP_1)
	v_div_fmas_f32 v0, v0, v1, v7
	v_div_fixup_f32 v0, v0, v4, v5
	global_store_b32 v[2:3], v0, off
.LBB51_24:
	s_endpgm
	.section	.rodata,"a",@progbits
	.p2align	6, 0x0
	.amdhsa_kernel _ZL33flash_attn_stream_k_fixup_generalILi256ELi8ELi1EEvPfPK15HIP_vector_typeIfLj2EEiiiiS1_IjLj3EES5_S5_S5_
		.amdhsa_group_segment_fixed_size 0
		.amdhsa_private_segment_fixed_size 0
		.amdhsa_kernarg_size 336
		.amdhsa_user_sgpr_count 2
		.amdhsa_user_sgpr_dispatch_ptr 0
		.amdhsa_user_sgpr_queue_ptr 0
		.amdhsa_user_sgpr_kernarg_segment_ptr 1
		.amdhsa_user_sgpr_dispatch_id 0
		.amdhsa_user_sgpr_kernarg_preload_length 0
		.amdhsa_user_sgpr_kernarg_preload_offset 0
		.amdhsa_user_sgpr_private_segment_size 0
		.amdhsa_wavefront_size32 1
		.amdhsa_uses_dynamic_stack 0
		.amdhsa_enable_private_segment 0
		.amdhsa_system_sgpr_workgroup_id_x 1
		.amdhsa_system_sgpr_workgroup_id_y 1
		.amdhsa_system_sgpr_workgroup_id_z 1
		.amdhsa_system_sgpr_workgroup_info 0
		.amdhsa_system_vgpr_workitem_id 0
		.amdhsa_next_free_vgpr 12
		.amdhsa_next_free_sgpr 46
		.amdhsa_named_barrier_count 0
		.amdhsa_reserve_vcc 1
		.amdhsa_float_round_mode_32 0
		.amdhsa_float_round_mode_16_64 0
		.amdhsa_float_denorm_mode_32 3
		.amdhsa_float_denorm_mode_16_64 3
		.amdhsa_fp16_overflow 0
		.amdhsa_memory_ordered 1
		.amdhsa_forward_progress 1
		.amdhsa_inst_pref_size 27
		.amdhsa_round_robin_scheduling 0
		.amdhsa_exception_fp_ieee_invalid_op 0
		.amdhsa_exception_fp_denorm_src 0
		.amdhsa_exception_fp_ieee_div_zero 0
		.amdhsa_exception_fp_ieee_overflow 0
		.amdhsa_exception_fp_ieee_underflow 0
		.amdhsa_exception_fp_ieee_inexact 0
		.amdhsa_exception_int_div_zero 0
	.end_amdhsa_kernel
	.section	.text._ZL33flash_attn_stream_k_fixup_generalILi256ELi8ELi1EEvPfPK15HIP_vector_typeIfLj2EEiiiiS1_IjLj3EES5_S5_S5_,"axG",@progbits,_ZL33flash_attn_stream_k_fixup_generalILi256ELi8ELi1EEvPfPK15HIP_vector_typeIfLj2EEiiiiS1_IjLj3EES5_S5_S5_,comdat
.Lfunc_end51:
	.size	_ZL33flash_attn_stream_k_fixup_generalILi256ELi8ELi1EEvPfPK15HIP_vector_typeIfLj2EEiiiiS1_IjLj3EES5_S5_S5_, .Lfunc_end51-_ZL33flash_attn_stream_k_fixup_generalILi256ELi8ELi1EEvPfPK15HIP_vector_typeIfLj2EEiiiiS1_IjLj3EES5_S5_S5_
                                        ; -- End function
	.set _ZL33flash_attn_stream_k_fixup_generalILi256ELi8ELi1EEvPfPK15HIP_vector_typeIfLj2EEiiiiS1_IjLj3EES5_S5_S5_.num_vgpr, 12
	.set _ZL33flash_attn_stream_k_fixup_generalILi256ELi8ELi1EEvPfPK15HIP_vector_typeIfLj2EEiiiiS1_IjLj3EES5_S5_S5_.num_agpr, 0
	.set _ZL33flash_attn_stream_k_fixup_generalILi256ELi8ELi1EEvPfPK15HIP_vector_typeIfLj2EEiiiiS1_IjLj3EES5_S5_S5_.numbered_sgpr, 46
	.set _ZL33flash_attn_stream_k_fixup_generalILi256ELi8ELi1EEvPfPK15HIP_vector_typeIfLj2EEiiiiS1_IjLj3EES5_S5_S5_.num_named_barrier, 0
	.set _ZL33flash_attn_stream_k_fixup_generalILi256ELi8ELi1EEvPfPK15HIP_vector_typeIfLj2EEiiiiS1_IjLj3EES5_S5_S5_.private_seg_size, 0
	.set _ZL33flash_attn_stream_k_fixup_generalILi256ELi8ELi1EEvPfPK15HIP_vector_typeIfLj2EEiiiiS1_IjLj3EES5_S5_S5_.uses_vcc, 1
	.set _ZL33flash_attn_stream_k_fixup_generalILi256ELi8ELi1EEvPfPK15HIP_vector_typeIfLj2EEiiiiS1_IjLj3EES5_S5_S5_.uses_flat_scratch, 0
	.set _ZL33flash_attn_stream_k_fixup_generalILi256ELi8ELi1EEvPfPK15HIP_vector_typeIfLj2EEiiiiS1_IjLj3EES5_S5_S5_.has_dyn_sized_stack, 0
	.set _ZL33flash_attn_stream_k_fixup_generalILi256ELi8ELi1EEvPfPK15HIP_vector_typeIfLj2EEiiiiS1_IjLj3EES5_S5_S5_.has_recursion, 0
	.set _ZL33flash_attn_stream_k_fixup_generalILi256ELi8ELi1EEvPfPK15HIP_vector_typeIfLj2EEiiiiS1_IjLj3EES5_S5_S5_.has_indirect_call, 0
	.section	.AMDGPU.csdata,"",@progbits
; Kernel info:
; codeLenInByte = 3352
; TotalNumSgprs: 48
; NumVgprs: 12
; ScratchSize: 0
; MemoryBound: 0
; FloatMode: 240
; IeeeMode: 1
; LDSByteSize: 0 bytes/workgroup (compile time only)
; SGPRBlocks: 0
; VGPRBlocks: 0
; NumSGPRsForWavesPerEU: 48
; NumVGPRsForWavesPerEU: 12
; NamedBarCnt: 0
; Occupancy: 16
; WaveLimiterHint : 0
; COMPUTE_PGM_RSRC2:SCRATCH_EN: 0
; COMPUTE_PGM_RSRC2:USER_SGPR: 2
; COMPUTE_PGM_RSRC2:TRAP_HANDLER: 0
; COMPUTE_PGM_RSRC2:TGID_X_EN: 1
; COMPUTE_PGM_RSRC2:TGID_Y_EN: 1
; COMPUTE_PGM_RSRC2:TGID_Z_EN: 1
; COMPUTE_PGM_RSRC2:TIDIG_COMP_CNT: 0
	.section	.text._ZL15flash_attn_tileILi256ELi256ELi4ELi1ELb0EEvPKcS1_S1_S1_S1_PKiPfP15HIP_vector_typeIfLj2EEffffjfiS5_IjLj3EEiiiiiiiiiiiliiliiiiil,"axG",@progbits,_ZL15flash_attn_tileILi256ELi256ELi4ELi1ELb0EEvPKcS1_S1_S1_S1_PKiPfP15HIP_vector_typeIfLj2EEffffjfiS5_IjLj3EEiiiiiiiiiiiliiliiiiil,comdat
	.globl	_ZL15flash_attn_tileILi256ELi256ELi4ELi1ELb0EEvPKcS1_S1_S1_S1_PKiPfP15HIP_vector_typeIfLj2EEffffjfiS5_IjLj3EEiiiiiiiiiiiliiliiiiil ; -- Begin function _ZL15flash_attn_tileILi256ELi256ELi4ELi1ELb0EEvPKcS1_S1_S1_S1_PKiPfP15HIP_vector_typeIfLj2EEffffjfiS5_IjLj3EEiiiiiiiiiiiliiliiiiil
	.p2align	8
	.type	_ZL15flash_attn_tileILi256ELi256ELi4ELi1ELb0EEvPKcS1_S1_S1_S1_PKiPfP15HIP_vector_typeIfLj2EEffffjfiS5_IjLj3EEiiiiiiiiiiiliiliiiiil,@function
_ZL15flash_attn_tileILi256ELi256ELi4ELi1ELb0EEvPKcS1_S1_S1_S1_PKiPfP15HIP_vector_typeIfLj2EEffffjfiS5_IjLj3EEiiiiiiiiiiiliiliiiiil: ; @_ZL15flash_attn_tileILi256ELi256ELi4ELi1ELb0EEvPKcS1_S1_S1_S1_PKiPfP15HIP_vector_typeIfLj2EEffffjfiS5_IjLj3EEiiiiiiiiiiiliiliiiiil
; %bb.0:
	s_clause 0x1
	s_load_b128 s[20:23], s[0:1], 0x5c
	s_load_b64 s[34:35], s[0:1], 0x80
	s_bfe_u32 s4, ttmp6, 0x40014
	s_lshr_b32 s3, ttmp7, 16
	s_add_co_i32 s4, s4, 1
	s_bfe_u32 s5, ttmp6, 0x40008
	s_mul_i32 s4, s3, s4
	s_getreg_b32 s40, hwreg(HW_REG_IB_STS2, 6, 4)
	s_add_co_i32 s5, s5, s4
	s_load_b64 s[36:37], s[0:1], 0xb8
	s_mov_b64 s[30:31], 0
	s_wait_kmcnt 0x0
	s_cvt_f32_u32 s2, s23
	s_sub_co_i32 s6, 0, s23
	s_delay_alu instid0(SALU_CYCLE_2) | instskip(SKIP_1) | instid1(TRANS32_DEP_1)
	v_rcp_iflag_f32_e32 v1, s2
	v_nop
	v_readfirstlane_b32 s2, v1
	s_mul_f32 s2, s2, 0x4f7ffffe
	s_delay_alu instid0(SALU_CYCLE_3) | instskip(NEXT) | instid1(SALU_CYCLE_3)
	s_cvt_u32_f32 s2, s2
	s_mul_i32 s6, s6, s2
	s_delay_alu instid0(SALU_CYCLE_1) | instskip(NEXT) | instid1(SALU_CYCLE_1)
	s_mul_hi_u32 s6, s2, s6
	s_add_co_i32 s2, s2, s6
	s_cmp_eq_u32 s40, 0
	s_cselect_b32 s3, s3, s5
	s_delay_alu instid0(SALU_CYCLE_1) | instskip(NEXT) | instid1(SALU_CYCLE_1)
	s_mul_hi_u32 s2, s3, s2
	s_mul_i32 s4, s2, s23
	s_add_co_i32 s5, s2, 1
	s_sub_co_i32 s4, s3, s4
	s_delay_alu instid0(SALU_CYCLE_1)
	s_sub_co_i32 s6, s4, s23
	s_cmp_ge_u32 s4, s23
	s_cselect_b32 s2, s5, s2
	s_cselect_b32 s4, s6, s4
	s_add_co_i32 s5, s2, 1
	s_cmp_ge_u32 s4, s23
	s_cselect_b32 s28, s5, s2
	s_abs_i32 s2, s35
	s_mul_i32 s6, s28, s23
	s_cvt_f32_u32 s4, s2
	s_sub_co_i32 s5, 0, s2
	s_abs_i32 s7, s23
	s_sub_co_i32 s33, s3, s6
	v_rcp_iflag_f32_e32 v1, s4
	v_nop
	s_delay_alu instid0(TRANS32_DEP_1) | instskip(SKIP_1) | instid1(SALU_CYCLE_3)
	v_readfirstlane_b32 s4, v1
	s_mul_f32 s4, s4, 0x4f7ffffe
	s_cvt_u32_f32 s4, s4
	s_delay_alu instid0(SALU_CYCLE_3) | instskip(NEXT) | instid1(SALU_CYCLE_1)
	s_mul_i32 s5, s5, s4
	s_mul_hi_u32 s5, s4, s5
	s_delay_alu instid0(SALU_CYCLE_1) | instskip(NEXT) | instid1(SALU_CYCLE_1)
	s_add_co_i32 s4, s4, s5
	s_mul_hi_u32 s3, s7, s4
	s_xor_b32 s4, s23, s35
	s_mul_i32 s5, s3, s2
	s_ashr_i32 s4, s4, 31
	s_sub_co_i32 s5, s7, s5
	s_add_co_i32 s6, s3, 1
	s_sub_co_i32 s7, s5, s2
	s_cmp_ge_u32 s5, s2
	s_cselect_b32 s3, s6, s3
	s_cselect_b32 s5, s7, s5
	s_add_co_i32 s6, s3, 1
	s_cmp_ge_u32 s5, s2
	s_cselect_b32 s2, s6, s3
	s_mov_b32 s3, 0
	s_xor_b32 s2, s2, s4
	s_delay_alu instid0(SALU_CYCLE_1) | instskip(SKIP_2) | instid1(SALU_CYCLE_1)
	s_sub_co_i32 s29, s2, s4
	s_load_b512 s[4:19], s[0:1], 0x0
	s_abs_i32 s41, s29
	s_cvt_f32_u32 s2, s41
	s_delay_alu instid0(SALU_CYCLE_3) | instskip(SKIP_1) | instid1(TRANS32_DEP_1)
	v_rcp_iflag_f32_e32 v1, s2
	v_nop
	v_readfirstlane_b32 s2, v1
	s_mul_f32 s2, s2, 0x4f7ffffe
	s_delay_alu instid0(SALU_CYCLE_3) | instskip(SKIP_1) | instid1(SALU_CYCLE_2)
	s_cvt_u32_f32 s24, s2
	s_sub_co_i32 s2, 0, s41
	s_mul_i32 s2, s2, s24
	s_delay_alu instid0(SALU_CYCLE_1)
	s_mul_hi_u32 s25, s24, s2
	s_abs_i32 s2, s33
	s_add_co_i32 s38, s24, s25
	s_wait_kmcnt 0x0
	s_cmp_eq_u64 s[10:11], 0
	s_cbranch_scc1 .LBB52_2
; %bb.1:
	s_abs_i32 s26, s36
	s_abs_i32 s27, s28
	s_cvt_f32_u32 s24, s26
	s_sub_co_i32 s25, 0, s26
	s_delay_alu instid0(SALU_CYCLE_2) | instskip(SKIP_1) | instid1(TRANS32_DEP_1)
	v_rcp_iflag_f32_e32 v1, s24
	v_nop
	v_readfirstlane_b32 s24, v1
	s_mul_f32 s24, s24, 0x4f7ffffe
	s_delay_alu instid0(SALU_CYCLE_3) | instskip(NEXT) | instid1(SALU_CYCLE_3)
	s_cvt_u32_f32 s24, s24
	s_mul_i32 s25, s25, s24
	s_delay_alu instid0(SALU_CYCLE_1) | instskip(NEXT) | instid1(SALU_CYCLE_1)
	s_mul_hi_u32 s25, s24, s25
	s_add_co_i32 s24, s24, s25
	s_delay_alu instid0(SALU_CYCLE_1) | instskip(SKIP_2) | instid1(SALU_CYCLE_1)
	s_mul_hi_u32 s30, s27, s24
	s_load_b64 s[24:25], s[0:1], 0xc8
	s_mul_i32 s30, s30, s26
	s_sub_co_i32 s27, s27, s30
	s_ashr_i32 s30, s28, 31
	s_sub_co_i32 s31, s27, s26
	s_cmp_ge_u32 s27, s26
	s_cselect_b32 s27, s31, s27
	s_delay_alu instid0(SALU_CYCLE_1) | instskip(SKIP_2) | instid1(SALU_CYCLE_1)
	s_sub_co_i32 s31, s27, s26
	s_cmp_ge_u32 s27, s26
	s_cselect_b32 s26, s31, s27
	s_xor_b32 s26, s26, s30
	s_delay_alu instid0(SALU_CYCLE_1) | instskip(NEXT) | instid1(SALU_CYCLE_1)
	s_sub_co_i32 s26, s26, s30
	s_ashr_i32 s27, s26, 31
	s_wait_kmcnt 0x0
	s_mul_u64 s[24:25], s[24:25], s[26:27]
	s_delay_alu instid0(SALU_CYCLE_1)
	s_add_nc_u64 s[30:31], s[10:11], s[24:25]
.LBB52_2:
	s_clause 0x1
	s_load_b128 s[24:27], s[0:1], 0x40
	s_load_b32 s10, s[0:1], 0x50
	v_mov_b32_e32 v121, 1.0
	s_mov_b32 s39, s3
	s_wait_kmcnt 0x0
	s_cmp_le_f32 s25, 0
	s_cbranch_scc1 .LBB52_4
; %bb.3:
	v_sub_co_u32 v1, s10, s33, s10
	s_and_b32 s25, s10, exec_lo
	s_cselect_b32 s25, s26, s27
	s_add_co_i32 s26, s33, 1
	v_readfirstlane_b32 s11, v1
	s_lshl_b32 s11, s11, 1
	s_delay_alu instid0(SALU_CYCLE_1) | instskip(SKIP_4) | instid1(SALU_CYCLE_3)
	s_or_b32 s11, s11, 1
	s_and_b32 s10, s10, exec_lo
	s_cselect_b32 s10, s26, s11
	s_cmp_neq_f32 s25, 1.0
	s_cvt_f32_i32 s10, s10
	s_cselect_b32 s11, s10, 1.0
	s_delay_alu instid0(SALU_CYCLE_1) | instskip(SKIP_1) | instid1(SALU_CYCLE_1)
	s_cmp_neq_f32 s11, 0
	s_cselect_b32 s10, s25, 1.0
	v_cvt_f64_f32_e64 v[2:3], |s10|
	s_delay_alu instid0(VALU_DEP_1) | instskip(SKIP_1) | instid1(VALU_DEP_1)
	v_frexp_exp_i32_f64_e32 v1, v[2:3]
	v_frexp_mant_f32_e64 v2, |s10|
	v_readfirstlane_b32 s25, v2
	s_cmp_lt_f32 s25, 0x3f2aaaab
	s_cselect_b32 vcc_lo, -1, 0
	s_delay_alu instid0(SALU_CYCLE_1) | instskip(SKIP_1) | instid1(SALU_CYCLE_1)
	s_and_b32 s26, vcc_lo, exec_lo
	s_cselect_b32 s26, 2.0, 1.0
	s_mul_f32 s25, s25, s26
	s_delay_alu instid0(SALU_CYCLE_3) | instskip(SKIP_1) | instid1(SALU_CYCLE_2)
	s_add_f32 s26, s25, 1.0
	s_add_f32 s35, s25, -1.0
	v_s_rcp_f32 s27, s26
	s_add_f32 s43, s26, -1.0
	v_subrev_co_ci_u32_e64 v1, null, 0, v1, vcc_lo
	s_delay_alu instid0(SALU_CYCLE_2) | instskip(NEXT) | instid1(TRANS32_DEP_1)
	s_sub_f32 s25, s25, s43
	s_mul_f32 s36, s35, s27
	v_cvt_f32_i32_e32 v1, v1
	s_delay_alu instid0(SALU_CYCLE_2) | instskip(NEXT) | instid1(SALU_CYCLE_3)
	s_mul_f32 s42, s26, s36
	v_dual_mov_b32 v3, s35 :: v_dual_mov_b32 v4, s42
	s_xor_b32 s44, s42, 0x80000000
	s_delay_alu instid0(SALU_CYCLE_1) | instskip(NEXT) | instid1(SALU_CYCLE_3)
	s_fmac_f32 s44, s36, s26
	s_fmac_f32 s44, s36, s25
	s_delay_alu instid0(SALU_CYCLE_3) | instskip(NEXT) | instid1(SALU_CYCLE_3)
	s_add_f32 s25, s42, s44
	v_dual_mov_b32 v6, s44 :: v_dual_mov_b32 v7, s25
	s_sub_f32 s26, s35, s25
	s_delay_alu instid0(SALU_CYCLE_3) | instskip(NEXT) | instid1(VALU_DEP_1)
	v_dual_mov_b32 v2, s25 :: v_dual_mov_b32 v5, s26
	v_pk_add_f32 v[2:3], v[2:3], v[4:5] neg_lo:[0,1] neg_hi:[0,1]
	s_delay_alu instid0(VALU_DEP_1) | instskip(NEXT) | instid1(VALU_DEP_1)
	v_pk_add_f32 v[2:3], v[2:3], v[6:7] neg_lo:[0,1] neg_hi:[0,1]
	v_readfirstlane_b32 s25, v3
	s_delay_alu instid0(VALU_DEP_2) | instskip(SKIP_1) | instid1(SALU_CYCLE_3)
	v_readfirstlane_b32 s35, v2
	s_add_f32 s25, s35, s25
	s_add_f32 s25, s26, s25
	s_delay_alu instid0(SALU_CYCLE_3) | instskip(NEXT) | instid1(SALU_CYCLE_3)
	s_mul_f32 s25, s27, s25
	s_add_f32 s26, s36, s25
	s_delay_alu instid0(SALU_CYCLE_3) | instskip(SKIP_1) | instid1(SALU_CYCLE_2)
	s_sub_f32 s27, s26, s36
	s_mul_f32 s35, s26, s26
	s_sub_f32 s25, s25, s27
	s_delay_alu instid0(SALU_CYCLE_2) | instskip(NEXT) | instid1(SALU_CYCLE_1)
	s_xor_b32 s27, s35, 0x80000000
	s_fmac_f32 s27, s26, s26
	s_delay_alu instid0(SALU_CYCLE_1) | instskip(NEXT) | instid1(SALU_CYCLE_3)
	s_add_f32 s36, s25, s25
	s_fmac_f32 s27, s26, s36
	s_mov_b32 s36, 0x3e76c4e1
	s_delay_alu instid0(SALU_CYCLE_2) | instskip(NEXT) | instid1(SALU_CYCLE_3)
	s_add_f32 s42, s35, s27
	s_fmaak_f32 s36, s42, s36, 0x3e91f4c4
	s_sub_f32 s35, s42, s35
	s_delay_alu instid0(SALU_CYCLE_2) | instskip(NEXT) | instid1(SALU_CYCLE_2)
	s_fmaak_f32 s36, s42, s36, 0x3ecccdef
	s_sub_f32 s35, s27, s35
	s_delay_alu instid0(SALU_CYCLE_2) | instskip(NEXT) | instid1(SALU_CYCLE_3)
	s_mul_f32 s43, s42, s36
	s_xor_b32 s44, s43, 0x80000000
	s_delay_alu instid0(SALU_CYCLE_1) | instskip(NEXT) | instid1(SALU_CYCLE_3)
	s_fmac_f32 s44, s42, s36
	s_fmac_f32 s44, s35, s36
	s_delay_alu instid0(SALU_CYCLE_3) | instskip(NEXT) | instid1(SALU_CYCLE_3)
	s_add_f32 s36, s43, s44
	s_sub_f32 s27, s36, s43
	s_add_f32 s45, s36, 0x3f2aaaaa
	s_delay_alu instid0(SALU_CYCLE_2) | instskip(NEXT) | instid1(SALU_CYCLE_2)
	s_sub_f32 s27, s44, s27
	s_add_f32 s43, s45, 0xbf2aaaaa
	s_delay_alu instid0(SALU_CYCLE_2) | instskip(NEXT) | instid1(SALU_CYCLE_2)
	s_add_f32 s27, s27, 0x31739010
	s_sub_f32 s43, s36, s43
	s_delay_alu instid0(SALU_CYCLE_2) | instskip(NEXT) | instid1(SALU_CYCLE_2)
	v_mov_b64_e32 v[2:3], s[26:27]
	v_mov_b64_e32 v[4:5], s[42:43]
	s_delay_alu instid0(VALU_DEP_1) | instskip(SKIP_2) | instid1(VALU_DEP_3)
	v_pk_mul_f32 v[6:7], v[2:3], v[4:5]
	v_pk_add_f32 v[2:3], v[2:3], v[4:5]
	v_mov_b32_e32 v9, s45
	v_xor_b32_e32 v8, 0x80000000, v6
	s_delay_alu instid0(VALU_DEP_3) | instskip(NEXT) | instid1(VALU_DEP_2)
	v_mov_b32_e32 v7, v3
	v_fmac_f32_e64 v8, s42, s26
	s_delay_alu instid0(VALU_DEP_1) | instskip(NEXT) | instid1(VALU_DEP_1)
	v_fmac_f32_e64 v8, s42, s25
	v_fmac_f32_e64 v8, s35, s26
	s_delay_alu instid0(VALU_DEP_1) | instskip(NEXT) | instid1(VALU_DEP_1)
	v_pk_add_f32 v[4:5], v[6:7], v[8:9]
	v_dual_mov_b32 v2, v5 :: v_dual_sub_f32 v7, s45, v5
	v_mul_f32_e32 v12, 0x3f317218, v1
	s_delay_alu instid0(VALU_DEP_2) | instskip(NEXT) | instid1(VALU_DEP_3)
	v_pk_mul_f32 v[10:11], v[4:5], v[2:3]
	v_add_f32_e32 v3, v3, v7
	s_delay_alu instid0(VALU_DEP_3) | instskip(NEXT) | instid1(VALU_DEP_3)
	v_xor_b32_e32 v7, 0x80000000, v12
	v_xor_b32_e32 v2, 0x80000000, v10
	s_delay_alu instid0(VALU_DEP_2) | instskip(NEXT) | instid1(VALU_DEP_2)
	v_dual_sub_f32 v6, v4, v6 :: v_dual_fmac_f32 v7, 0x3f317218, v1
	v_fmac_f32_e32 v2, v4, v5
	s_delay_alu instid0(VALU_DEP_2) | instskip(NEXT) | instid1(VALU_DEP_2)
	v_sub_f32_e32 v6, v8, v6
	v_fmac_f32_e32 v2, v4, v3
	s_delay_alu instid0(VALU_DEP_1) | instskip(SKIP_3) | instid1(VALU_DEP_2)
	v_fmac_f32_e32 v2, v6, v5
	v_fmamk_f32 v4, v1, 0xb102e308, v7
	v_ldexp_f32 v5, s26, 1
	v_ldexp_f32 v1, s25, 1
	v_dual_add_f32 v13, v10, v2 :: v_dual_mov_b32 v11, v5
	s_delay_alu instid0(VALU_DEP_1) | instskip(SKIP_1) | instid1(VALU_DEP_2)
	v_pk_add_f32 v[6:7], v[12:13], v[4:5]
	v_dual_mov_b32 v8, v13 :: v_dual_mov_b32 v3, v13
	v_dual_mov_b32 v9, v7 :: v_dual_mov_b32 v5, v6
	v_mov_b32_e32 v14, v7
	s_delay_alu instid0(VALU_DEP_2) | instskip(NEXT) | instid1(VALU_DEP_1)
	v_pk_add_f32 v[8:9], v[8:9], v[10:11] neg_lo:[0,1] neg_hi:[0,1]
	v_pk_add_f32 v[2:3], v[2:3], v[8:9] neg_lo:[0,1] neg_hi:[0,1]
	s_delay_alu instid0(VALU_DEP_1) | instskip(NEXT) | instid1(VALU_DEP_1)
	v_add_f32_e32 v1, v1, v2
	v_add_f32_e32 v13, v1, v3
	s_delay_alu instid0(VALU_DEP_1) | instskip(SKIP_1) | instid1(VALU_DEP_2)
	v_pk_add_f32 v[2:3], v[6:7], v[12:13]
	v_pk_add_f32 v[8:9], v[6:7], v[12:13] neg_lo:[0,1] neg_hi:[0,1]
	v_mov_b32_e32 v9, v3
	s_delay_alu instid0(VALU_DEP_1) | instskip(SKIP_2) | instid1(VALU_DEP_3)
	v_pk_add_f32 v[10:11], v[4:5], v[8:9]
	v_pk_add_f32 v[4:5], v[4:5], v[8:9] neg_lo:[0,1] neg_hi:[0,1]
	v_dual_mov_b32 v16, v3 :: v_dual_mov_b32 v5, v6
	v_dual_mov_b32 v12, v11 :: v_dual_mov_b32 v17, v11
	s_delay_alu instid0(VALU_DEP_3) | instskip(NEXT) | instid1(VALU_DEP_2)
	v_readfirstlane_b32 s25, v4
	v_pk_add_f32 v[8:9], v[12:13], v[6:7] neg_lo:[0,1] neg_hi:[0,1]
	s_delay_alu instid0(VALU_DEP_2) | instskip(NEXT) | instid1(VALU_DEP_2)
	v_dual_mov_b32 v4, v13 :: v_dual_mov_b32 v10, s25
	v_dual_mov_b32 v15, v8 :: v_dual_mov_b32 v1, v8
	s_delay_alu instid0(VALU_DEP_1) | instskip(NEXT) | instid1(VALU_DEP_2)
	v_pk_add_f32 v[6:7], v[16:17], v[14:15] neg_lo:[0,1] neg_hi:[0,1]
	v_pk_add_f32 v[2:3], v[2:3], v[0:1] neg_lo:[0,1] neg_hi:[0,1]
	v_mov_b32_e32 v2, s25
	s_delay_alu instid0(VALU_DEP_3) | instskip(NEXT) | instid1(VALU_DEP_1)
	v_pk_add_f32 v[4:5], v[4:5], v[6:7] neg_lo:[0,1] neg_hi:[0,1]
	v_pk_add_f32 v[2:3], v[2:3], v[4:5]
	s_delay_alu instid0(VALU_DEP_1) | instskip(NEXT) | instid1(VALU_DEP_2)
	v_readfirstlane_b32 s26, v2
	v_mov_b32_e32 v6, v3
	s_delay_alu instid0(VALU_DEP_1) | instskip(NEXT) | instid1(VALU_DEP_3)
	v_pk_add_f32 v[6:7], v[2:3], v[6:7]
	v_mov_b32_e32 v2, s26
	s_delay_alu instid0(VALU_DEP_2) | instskip(SKIP_1) | instid1(VALU_DEP_2)
	v_pk_add_f32 v[8:9], v[12:13], v[6:7]
	v_mov_b32_e32 v5, v6
	v_readfirstlane_b32 s27, v8
	s_delay_alu instid0(VALU_DEP_1) | instskip(NEXT) | instid1(VALU_DEP_1)
	v_mov_b32_e32 v3, s27
	v_pk_add_f32 v[2:3], v[2:3], v[10:11] neg_lo:[0,1] neg_hi:[0,1]
	s_delay_alu instid0(VALU_DEP_1) | instskip(NEXT) | instid1(VALU_DEP_2)
	v_readfirstlane_b32 s35, v2
	v_pk_add_f32 v[2:3], v[4:5], v[2:3] neg_lo:[0,1] neg_hi:[0,1]
	s_sub_f32 s26, s26, s35
	s_delay_alu instid0(VALU_DEP_1) | instskip(NEXT) | instid1(SALU_CYCLE_2)
	v_readfirstlane_b32 s35, v2
	s_sub_f32 s25, s25, s26
	v_readfirstlane_b32 s26, v3
	s_delay_alu instid0(SALU_CYCLE_2) | instskip(NEXT) | instid1(SALU_CYCLE_3)
	s_add_f32 s25, s35, s25
	s_add_f32 s25, s25, s26
	s_delay_alu instid0(SALU_CYCLE_3) | instskip(NEXT) | instid1(SALU_CYCLE_3)
	s_add_f32 s26, s27, s25
	s_mul_f32 s35, s11, s26
	s_sub_f32 s27, s26, s27
	s_delay_alu instid0(SALU_CYCLE_2) | instskip(NEXT) | instid1(SALU_CYCLE_2)
	s_xor_b32 s36, s35, 0x80000000
	s_sub_f32 s25, s25, s27
	s_fmac_f32 s36, s11, s26
	s_delay_alu instid0(SALU_CYCLE_3) | instskip(SKIP_1) | instid1(SALU_CYCLE_2)
	s_fmac_f32 s36, s11, s25
	v_cmp_class_f32_e64 s25, s35, 0x204
	s_add_f32 s26, s35, s36
	s_and_b32 s25, s25, exec_lo
	s_delay_alu instid0(SALU_CYCLE_2) | instskip(SKIP_1) | instid1(SALU_CYCLE_1)
	s_sub_f32 s25, s26, s35
	s_cselect_b32 s26, s35, s26
	s_and_b32 s27, s26, 0x7fffffff
	s_delay_alu instid0(SALU_CYCLE_1) | instskip(SKIP_1) | instid1(SALU_CYCLE_2)
	s_sub_f32 s25, s36, s25
	s_cmp_neq_f32 s27, 0x7f800000
	s_cselect_b32 s25, s25, 0
	s_cmp_eq_f32 s26, 0x42b17218
	s_cselect_b32 s27, 0x37000000, 0
	s_delay_alu instid0(SALU_CYCLE_1) | instskip(SKIP_1) | instid1(SALU_CYCLE_2)
	s_sub_f32 s26, s26, s27
	s_add_f32 s25, s27, s25
	s_mul_f32 s35, s26, 0x3fb8aa3b
	s_delay_alu instid0(SALU_CYCLE_3) | instskip(SKIP_3) | instid1(SALU_CYCLE_1)
	s_xor_b32 s36, s35, 0x80000000
	s_rndne_f32 s42, s35
	s_fmamk_f32 s36, s26, 0x3fb8aa3b, s36
	s_cmp_nlt_f32 s26, 0xc2ce8ed0
	s_sub_f32 s35, s35, s42
	s_delay_alu instid0(SALU_CYCLE_1)
	s_fmamk_f32 s36, s26, 0x32a5705f, s36
	s_cselect_b32 vcc_lo, -1, 0
	s_cmp_ngt_f32 s26, 0x42b17218
	s_trunc_f32 s26, s11
	s_add_f32 s35, s35, s36
	s_cvt_i32_f32 s36, s42
	s_delay_alu instid0(SALU_CYCLE_2)
	v_s_exp_f32 s35, s35
	v_nop
	s_delay_alu instid0(TRANS32_DEP_1) | instid1(SALU_CYCLE_1)
	v_ldexp_f32 v1, s35, s36
	s_mul_f32 s35, s11, 0.5
	s_delay_alu instid0(VALU_DEP_1) | instskip(SKIP_3) | instid1(VALU_DEP_1)
	v_cndmask_b32_e32 v1, 0, v1, vcc_lo
	s_cselect_b32 vcc_lo, -1, 0
	s_cmp_eq_f32 s26, s11
	s_trunc_f32 s36, s35
	v_cndmask_b32_e32 v1, 0x7f800000, v1, vcc_lo
	s_cselect_b32 s42, -1, 0
	s_delay_alu instid0(SALU_CYCLE_1) | instskip(NEXT) | instid1(VALU_DEP_1)
	s_cmp_neq_f32 s36, s35
	v_fma_f32 v2, s25, v1, v1
	v_cmp_class_f32_e64 vcc_lo, v1, 0x204
	s_cselect_b32 s27, -1, 0
	s_delay_alu instid0(SALU_CYCLE_1)
	s_and_b32 s25, s42, s27
	v_cndmask_b32_e32 v1, v2, v1, vcc_lo
	s_and_b32 s27, s25, exec_lo
	s_cselect_b32 s27, s10, 1.0
	s_cmp_eq_f32 s26, s11
	v_cmp_class_f32_e64 s26, s10, 0x204
	v_bfi_b32 v1, 0x7fffffff, v1, s27
	s_cselect_b32 vcc_lo, -1, 0
	s_cmp_lt_f32 s10, 0
	s_delay_alu instid0(VALU_DEP_1) | instskip(SKIP_2) | instid1(VALU_DEP_1)
	v_cndmask_b32_e32 v2, 0x7fc00000, v1, vcc_lo
	s_cselect_b32 vcc_lo, -1, 0
	s_cmp_eq_f32 s10, 0
	v_cndmask_b32_e32 v1, v1, v2, vcc_lo
	s_cselect_b32 s27, -1, 0
	s_delay_alu instid0(SALU_CYCLE_1) | instskip(SKIP_2) | instid1(SALU_CYCLE_1)
	s_or_b32 vcc_lo, s27, s26
	s_cmp_lt_f32 s11, 0
	s_cselect_b32 s11, -1, 0
	s_xor_b32 s11, s11, s27
	s_delay_alu instid0(SALU_CYCLE_1)
	s_and_b32 s11, s11, exec_lo
	s_cselect_b32 s11, 0, 0x7f800000
	s_and_b32 s25, s25, exec_lo
	s_cselect_b32 s25, s10, 0
	s_cmp_o_f32 s10, s10
	v_mov_b32_e32 v2, s25
	s_delay_alu instid0(VALU_DEP_1) | instskip(NEXT) | instid1(VALU_DEP_1)
	v_bfi_b32 v2, 0x7fffffff, s11, v2
	v_cndmask_b32_e32 v1, v1, v2, vcc_lo
	s_cselect_b32 vcc_lo, -1, 0
	s_delay_alu instid0(VALU_DEP_1)
	v_cndmask_b32_e32 v121, 0x7fc00000, v1, vcc_lo
.LBB52_4:
	s_bfe_u32 s11, ttmp6, 0x4000c
	s_and_b32 s25, ttmp6, 15
	s_add_co_i32 s11, s11, 1
	s_ashr_i32 s10, s33, 31
	s_mul_i32 s26, ttmp9, s11
	s_ashr_i32 s11, s29, 31
	s_add_co_i32 s25, s25, s26
	v_bfe_u32 v119, v0, 10, 10
	s_cmp_eq_u32 s40, 0
	s_load_b96 s[44:46], s[0:1], 0x70
	s_cselect_b32 s25, ttmp9, s25
	v_and_b32_e32 v115, 0x3ff, v0
	v_lshl_add_u32 v114, s25, 2, v119
	s_delay_alu instid0(VALU_DEP_2) | instskip(NEXT) | instid1(VALU_DEP_2)
	v_dual_mov_b32 v97, 0 :: v_dual_lshlrev_b32 v0, 4, v115
	v_mul_hi_u32 v1, s20, v114
	s_delay_alu instid0(VALU_DEP_1) | instskip(SKIP_3) | instid1(SALU_CYCLE_1)
	v_dual_lshlrev_b32 v116, 2, v115 :: v_dual_add_nc_u32 v1, v114, v1
	s_wait_kmcnt 0x0
	s_mul_i32 s20, s33, s45
	s_ashr_i32 s45, s44, 31
	s_lshr_b64 s[26:27], s[44:45], 2
	v_lshrrev_b32_e32 v1, s21, v1
	s_ashr_i32 s21, s20, 31
	s_delay_alu instid0(VALU_DEP_1) | instskip(NEXT) | instid1(VALU_DEP_1)
	v_mul_lo_u32 v1, v1, s22
	v_dual_mov_b32 v1, v97 :: v_dual_sub_nc_u32 v96, v114, v1
	s_delay_alu instid0(VALU_DEP_1) | instskip(SKIP_1) | instid1(SALU_CYCLE_1)
	v_mul_u64_e32 v[2:3], s[26:27], v[96:97]
	s_mul_i32 s26, s28, s46
	s_ashr_i32 s27, s26, 31
	s_cmp_eq_u64 s[14:15], 0
	s_add_nc_u64 s[4:5], s[4:5], s[26:27]
	s_delay_alu instid0(SALU_CYCLE_1)
	s_add_nc_u64 s[4:5], s[4:5], s[20:21]
	s_delay_alu instid0(VALU_DEP_1) | instid1(SALU_CYCLE_1)
	v_lshl_add_u64 v[2:3], v[2:3], 2, s[4:5]
	s_mul_u64 s[4:5], s[2:3], s[38:39]
	s_delay_alu instid0(VALU_DEP_1)
	v_add_nc_u64_e32 v[8:9], v[2:3], v[0:1]
	s_clause 0x1
	global_load_b128 v[0:3], v[8:9], off
	global_load_b128 v[4:7], v[8:9], off offset:512
	s_wait_loadcnt 0x1
	v_fma_mixlo_f16 v0, s24, v0, 0
	v_fma_mixlo_f16 v1, s24, v1, 0
	s_wait_loadcnt 0x0
	v_fma_mixlo_f16 v4, s24, v4, 0
	v_fma_mixlo_f16 v5, s24, v5, 0
	v_lshlrev_b32_e32 v118, 9, v119
	v_lshlrev_b32_e32 v117, 3, v115
	v_fma_mixlo_f16 v2, s24, v2, 0
	v_fma_mixlo_f16 v3, s24, v3, 0
	;; [unrolled: 1-line block ×4, first 2 shown]
	v_lshlrev_b32_e32 v1, 16, v1
	v_and_b32_e32 v0, 0xffff, v0
	v_lshlrev_b32_e32 v5, 16, v5
	v_and_b32_e32 v4, 0xffff, v4
	v_add_nc_u32_e32 v122, 0x4200, v118
	s_delay_alu instid0(VALU_DEP_4) | instskip(SKIP_1) | instid1(VALU_DEP_4)
	v_dual_lshlrev_b32 v3, 16, v3 :: v_dual_bitop2_b32 v0, v1, v0 bitop3:0x54
	v_and_b32_e32 v2, 0xffff, v2
	v_dual_lshlrev_b32 v7, 16, v7 :: v_dual_bitop2_b32 v4, v5, v4 bitop3:0x54
	v_and_b32_e32 v6, 0xffff, v6
	v_add_nc_u32_e32 v5, v122, v117
	s_delay_alu instid0(VALU_DEP_4)
	v_or3_b32 v1, v3, v2, 0
	v_or3_b32 v0, 0, 0, v0
	;; [unrolled: 1-line block ×4, first 2 shown]
	ds_store_2addr_b64 v5, v[0:1], v[2:3] offset1:32
	s_wait_dscnt 0x0
	s_barrier_signal -1
	s_barrier_wait -1
	s_cbranch_scc1 .LBB52_6
; %bb.5:
	s_load_b32 s3, s[0:1], 0xd0
	s_wait_kmcnt 0x0
	s_mul_i32 s3, s3, s28
	s_delay_alu instid0(SALU_CYCLE_1)
	s_add_co_i32 s3, s3, s25
	s_load_b32 s34, s[14:15], s3 offset:0x0 scale_offset
.LBB52_6:
	s_wait_xcnt 0x0
	s_clause 0x2
	s_load_b64 s[14:15], s[0:1], 0x8c
	s_load_b128 s[24:27], s[0:1], 0x98
	s_load_b64 s[20:21], s[0:1], 0xa8
	s_mul_i32 s3, s5, s41
	s_ashr_i32 s35, s37, 1
	s_sub_co_i32 s37, s2, s3
	s_ashr_i32 s29, s28, 31
	s_xor_b32 s4, s10, s11
	s_add_co_i32 s11, s5, 1
	s_sub_co_i32 s38, s37, s41
	v_mul_u32_u24_e32 v123, 0x210, v115
	v_mbcnt_lo_u32_b32 v99, -1, 0
	s_wait_kmcnt 0x0
	s_ashr_i32 s36, s14, 2
	s_ashr_i32 s10, s26, 2
	s_cmp_ge_u32 s37, s41
	s_mul_u64 s[2:3], s[24:25], s[28:29]
	s_cselect_b32 s5, s11, s5
	s_add_nc_u64 s[2:3], s[6:7], s[2:3]
	s_cselect_b32 s6, s38, s37
	s_add_co_i32 s7, s5, 1
	s_cmp_ge_u32 s6, s41
	v_mul_lo_u32 v80, s36, v119
	s_cselect_b32 s5, s7, s5
	v_mul_lo_u32 v78, s10, v119
	s_bfe_u32 s6, ttmp6, 0x40010
	s_xor_b32 s5, s5, s4
	s_and_b32 s11, ttmp7, 0xffff
	s_add_co_i32 s6, s6, 1
	s_sub_co_i32 s5, s5, s4
	s_bfe_u32 s7, ttmp6, 0x40004
	s_mul_i32 s6, s11, s6
	s_mul_i32 s4, s5, s15
	;; [unrolled: 1-line block ×3, first 2 shown]
	s_add_co_i32 s14, s7, s6
	s_ashr_i32 s5, s4, 31
	s_ashr_i32 s25, s24, 31
	s_cmp_eq_u32 s40, 0
	s_mul_u64 s[20:21], s[20:21], s[28:29]
	s_cselect_b32 s27, s11, s14
	v_dual_lshlrev_b32 v76, 2, v116 :: v_dual_ashrrev_i32 v79, 31, v78
	v_ashrrev_i32_e32 v81, 31, v80
	s_add_nc_u64 s[6:7], s[2:3], s[4:5]
	s_sub_co_i32 s5, s34, 32
	s_lshl_b32 s14, s27, 5
	s_add_nc_u64 s[2:3], s[8:9], s[20:21]
	s_cmp_ge_i32 s14, s5
	s_add_nc_u64 s[20:21], s[2:3], s[24:25]
	s_cbranch_scc1 .LBB52_12
; %bb.7:
	s_lshl_b32 s2, s36, 2
	s_ashr_i32 s37, s36, 31
	s_cmp_lg_u64 s[30:31], 0
	v_mad_u32_u24 v124, 0x210, v119, v76
	s_cselect_b32 s24, -1, 0
	s_lshl_b32 s3, s10, 2
	s_delay_alu instid0(SALU_CYCLE_1) | instskip(SKIP_3) | instid1(VALU_DEP_4)
	v_dual_add_nc_u32 v82, s2, v80 :: v_dual_add_nc_u32 v88, s3, v78
	v_add_nc_u32_e32 v127, v118, v76
	v_mad_u32 v125, v96, s35, v115
	v_lshl_add_u32 v126, v119, 6, 0x4a00
	v_add_nc_u32_e32 v84, s2, v82
	v_lshl_add_u32 v0, v119, 9, v76
	v_dual_mov_b32 v77, 0 :: v_dual_add_nc_u32 v128, 0x840, v124
	v_add_nc_u32_e32 v129, 0x1080, v124
	s_delay_alu instid0(VALU_DEP_4) | instskip(SKIP_3) | instid1(VALU_DEP_4)
	v_add_nc_u32_e32 v86, s2, v84
	v_add_nc_u32_e32 v130, 0x18c0, v124
	;; [unrolled: 1-line block ×3, first 2 shown]
	v_dual_mov_b32 v120, v77 :: v_dual_add_nc_u32 v131, 0x2100, v124
	v_add_nc_u32_e32 v90, s2, v86
	v_add_nc_u32_e32 v132, 0x2940, v124
	v_dual_mov_b32 v56, v77 :: v_dual_add_nc_u32 v133, 0x3180, v124
	v_add_nc_u32_e32 v134, 0x39c0, v124
	s_delay_alu instid0(VALU_DEP_4) | instskip(SKIP_3) | instid1(VALU_DEP_4)
	v_dual_add_nc_u32 v94, s2, v90 :: v_dual_add_nc_u32 v100, s3, v92
	v_lshl_add_u32 v135, v115, 1, v126
	v_add_nc_u32_e32 v136, 0x800, v0
	v_dual_ashrrev_i32 v85, 31, v84 :: v_dual_ashrrev_i32 v87, 31, v86
	v_add_nc_u32_e32 v102, s2, v94
	v_dual_ashrrev_i32 v83, 31, v82 :: v_dual_add_nc_u32 v104, s3, v100
	v_dual_ashrrev_i32 v91, 31, v90 :: v_dual_ashrrev_i32 v89, 31, v88
	s_delay_alu instid0(VALU_DEP_3) | instskip(SKIP_1) | instid1(VALU_DEP_4)
	v_add_nc_u32_e32 v106, s2, v102
	v_dual_ashrrev_i32 v95, 31, v94 :: v_dual_ashrrev_i32 v93, 31, v92
	v_dual_add_nc_u32 v108, s3, v104 :: v_dual_ashrrev_i32 v103, 31, v102
	s_delay_alu instid0(VALU_DEP_3) | instskip(SKIP_1) | instid1(VALU_DEP_3)
	v_dual_ashrrev_i32 v107, 31, v106 :: v_dual_ashrrev_i32 v101, 31, v100
	v_dual_mov_b32 v34, v77 :: v_dual_add_nc_u32 v137, 0x1000, v0
	v_add_nc_u32_e32 v110, s3, v108
	v_ashrrev_i32_e32 v105, 31, v104
	v_add_nc_u32_e32 v138, 0x1800, v0
	v_add_nc_u32_e32 v139, 0x2000, v0
	;; [unrolled: 1-line block ×3, first 2 shown]
	v_dual_add_nc_u32 v112, s3, v110 :: v_dual_ashrrev_i32 v109, 31, v108
	v_ashrrev_i32_e32 v111, 31, v110
	v_add_nc_u32_e32 v141, 0x3000, v0
	v_add_nc_u32_e32 v142, 0x3800, v0
	s_delay_alu instid0(VALU_DEP_4)
	v_ashrrev_i32_e32 v113, 31, v112
	v_mov_b32_e32 v35, 0xfeffffff
	v_mbcnt_lo_u32_b32 v143, -1, 0
	v_dual_mov_b32 v32, v77 :: v_dual_mov_b32 v33, v77
	s_ashr_i32 s11, s10, 31
	s_add_nc_u64 s[8:9], s[0:1], 0xd0
.LBB52_8:                               ; =>This Inner Loop Header: Depth=1
	s_ashr_i32 s15, s14, 31
	v_dual_mov_b32 v36, 0 :: v_dual_mov_b32 v37, 0
	s_mul_u64 s[2:3], s[14:15], s[36:37]
	s_and_not1_b32 vcc_lo, exec_lo, s24
	s_lshl_b64 s[2:3], s[2:3], 2
	s_delay_alu instid0(SALU_CYCLE_1) | instskip(NEXT) | instid1(SALU_CYCLE_1)
	s_add_nc_u64 s[2:3], s[6:7], s[2:3]
	v_lshl_add_u64 v[0:1], v[80:81], 2, s[2:3]
	v_lshl_add_u64 v[2:3], v[82:83], 2, s[2:3]
	;; [unrolled: 1-line block ×6, first 2 shown]
	v_add_nc_u64_e32 v[0:1], v[0:1], v[76:77]
	v_lshl_add_u64 v[12:13], v[102:103], 2, s[2:3]
	v_lshl_add_u64 v[14:15], v[106:107], 2, s[2:3]
	v_add_nc_u64_e32 v[16:17], v[2:3], v[76:77]
	v_add_nc_u64_e32 v[18:19], v[4:5], v[76:77]
	;; [unrolled: 1-line block ×7, first 2 shown]
	s_clause 0x7
	global_load_b128 v[0:3], v[0:1], off
	global_load_b128 v[4:7], v[16:17], off
	;; [unrolled: 1-line block ×8, first 2 shown]
	s_wait_loadcnt 0x7
	ds_store_b128 v124, v[0:3]
	s_wait_loadcnt 0x6
	ds_store_b128 v128, v[4:7]
	;; [unrolled: 2-line block ×8, first 2 shown]
	s_wait_dscnt 0x0
	s_barrier_signal -1
	s_barrier_wait -1
	ds_load_b128 v[0:3], v123
	ds_load_b128 v[4:7], v122
	s_wait_dscnt 0x0
	;;#ASMSTART
	v_dot2_f32_f16 v36, v0, v4, v36
	;;#ASMEND
	;;#ASMSTART
	v_dot2_f32_f16 v36, v1, v5, v36
	;;#ASMEND
	;;#ASMSTART
	v_dot2_f32_f16 v36, v2, v6, v36
	;;#ASMEND
	;;#ASMSTART
	v_dot2_f32_f16 v36, v3, v7, v36
	;;#ASMEND
	ds_load_b128 v[0:3], v123 offset:16
	ds_load_b128 v[4:7], v122 offset:16
	s_wait_dscnt 0x0
	;;#ASMSTART
	v_dot2_f32_f16 v36, v0, v4, v36
	;;#ASMEND
	;;#ASMSTART
	v_dot2_f32_f16 v36, v1, v5, v36
	;;#ASMEND
	;;#ASMSTART
	v_dot2_f32_f16 v36, v2, v6, v36
	;;#ASMEND
	;;#ASMSTART
	v_dot2_f32_f16 v36, v3, v7, v36
	;;#ASMEND
	ds_load_b128 v[0:3], v123 offset:32
	ds_load_b128 v[4:7], v122 offset:32
	;; [unrolled: 15-line block ×31, first 2 shown]
	s_wait_dscnt 0x0
	;;#ASMSTART
	v_dot2_f32_f16 v36, v0, v4, v36
	;;#ASMEND
	;;#ASMSTART
	v_dot2_f32_f16 v36, v1, v5, v36
	;;#ASMEND
	;; [unrolled: 3-line block ×4, first 2 shown]
	s_cbranch_vccnz .LBB52_10
; %bb.9:                                ;   in Loop: Header=BB52_8 Depth=1
	v_add_nc_u32_e32 v0, s14, v125
	global_load_u16 v0, v0, s[30:31] scale_offset
	s_wait_loadcnt 0x0
	v_cvt_f32_f16_e32 v0, v0
	s_delay_alu instid0(VALU_DEP_1)
	v_mul_f32_e32 v37, v121, v0
.LBB52_10:                              ;   in Loop: Header=BB52_8 Depth=1
	s_mul_u64 s[2:3], s[14:15], s[10:11]
	s_delay_alu instid0(SALU_CYCLE_1)
	s_lshl_b64 s[2:3], s[2:3], 2
	s_barrier_signal -1
	s_add_nc_u64 s[2:3], s[20:21], s[2:3]
	s_barrier_wait -1
	v_lshl_add_u64 v[2:3], v[88:89], 2, s[2:3]
	v_lshl_add_u64 v[4:5], v[92:93], 2, s[2:3]
	;; [unrolled: 1-line block ×5, first 2 shown]
	v_add_nc_u64_e32 v[6:7], v[2:3], v[76:77]
	v_lshl_add_u64 v[2:3], v[100:101], 2, s[2:3]
	v_add_nc_u64_e32 v[8:9], v[4:5], v[76:77]
	v_lshl_add_u64 v[4:5], v[104:105], 2, s[2:3]
	;; [unrolled: 2-line block ×3, first 2 shown]
	v_add_nc_u64_e32 v[16:17], v[2:3], v[76:77]
	v_add_nc_u64_e32 v[20:21], v[10:11], v[76:77]
	;; [unrolled: 1-line block ×5, first 2 shown]
	s_clause 0x7
	global_load_b128 v[0:3], v[0:1], off
	global_load_b128 v[4:7], v[6:7], off
	;; [unrolled: 1-line block ×8, first 2 shown]
	v_dual_add_f32 v36, v36, v37 :: v_dual_bitop2_b32 v38, 16, v143 bitop3:0x14
	v_add_nc_u32_e32 v73, 0x2000, v117
	v_add_nc_u32_e32 v74, 0x2800, v117
	;; [unrolled: 1-line block ×3, first 2 shown]
	s_delay_alu instid0(VALU_DEP_4) | instskip(SKIP_3) | instid1(VALU_DEP_1)
	v_cmp_gt_i32_e32 vcc_lo, 32, v38
	v_add_f32_e32 v39, 0x40051340, v36
	v_add_nc_u32_e32 v144, 0x3800, v117
	v_cndmask_b32_e32 v38, v143, v38, vcc_lo
	v_dual_max_num_f32 v37, v35, v35 :: v_dual_lshlrev_b32 v38, 2, v38
	s_delay_alu instid0(VALU_DEP_1) | instskip(SKIP_1) | instid1(VALU_DEP_1)
	v_max_num_f32_e32 v37, v37, v39
	v_xor_b32_e32 v39, 8, v143
	v_cmp_gt_i32_e32 vcc_lo, 32, v39
	v_cndmask_b32_e32 v39, v143, v39, vcc_lo
	ds_bpermute_b32 v38, v38, v37
	s_wait_dscnt 0x0
	v_dual_max_num_f32 v38, v38, v38 :: v_dual_lshlrev_b32 v39, 2, v39
	s_delay_alu instid0(VALU_DEP_1) | instskip(SKIP_3) | instid1(VALU_DEP_1)
	v_max_num_f32_e32 v37, v37, v38
	ds_bpermute_b32 v38, v39, v37
	s_wait_dscnt 0x0
	v_dual_max_num_f32 v38, v38, v38 :: v_dual_bitop2_b32 v39, 4, v143 bitop3:0x14
	v_cmp_gt_i32_e32 vcc_lo, 32, v39
	s_delay_alu instid0(VALU_DEP_2) | instskip(NEXT) | instid1(VALU_DEP_1)
	v_dual_max_num_f32 v37, v37, v38 :: v_dual_cndmask_b32 v39, v143, v39, vcc_lo
	v_lshlrev_b32_e32 v39, 2, v39
	ds_bpermute_b32 v38, v39, v37
	s_wait_dscnt 0x0
	v_dual_max_num_f32 v38, v38, v38 :: v_dual_bitop2_b32 v39, 2, v143 bitop3:0x14
	s_delay_alu instid0(VALU_DEP_1) | instskip(NEXT) | instid1(VALU_DEP_2)
	v_max_num_f32_e32 v37, v37, v38
	v_cmp_gt_i32_e32 vcc_lo, 32, v39
	v_cndmask_b32_e32 v39, v143, v39, vcc_lo
	s_delay_alu instid0(VALU_DEP_1) | instskip(SKIP_2) | instid1(VALU_DEP_1)
	v_lshlrev_b32_e32 v39, 2, v39
	ds_bpermute_b32 v38, v39, v37
	v_xor_b32_e32 v39, 1, v143
	v_cmp_gt_i32_e32 vcc_lo, 32, v39
	s_wait_dscnt 0x0
	v_max_num_f32_e32 v38, v38, v38
	s_delay_alu instid0(VALU_DEP_1) | instskip(NEXT) | instid1(VALU_DEP_1)
	v_dual_max_num_f32 v37, v37, v38 :: v_dual_cndmask_b32 v39, v143, v39, vcc_lo
	v_lshlrev_b32_e32 v39, 2, v39
	ds_bpermute_b32 v38, v39, v37
	s_wait_dscnt 0x0
	v_max_num_f32_e32 v38, v38, v38
	s_delay_alu instid0(VALU_DEP_1) | instskip(NEXT) | instid1(VALU_DEP_1)
	v_max_num_f32_e32 v98, v37, v38
	v_sub_f32_e32 v36, v36, v98
	s_delay_alu instid0(VALU_DEP_1) | instskip(SKIP_2) | instid1(VALU_DEP_3)
	v_mul_f32_e32 v37, 0x3fb8aa3b, v36
	v_cmp_ngt_f32_e32 vcc_lo, 0xc2ce8ed0, v36
	v_cmp_nlt_f32_e64 s3, 0x42b17218, v36
	v_rndne_f32_e32 v40, v37
	v_sub_f32_e32 v35, v35, v98
	v_fma_f32 v39, 0x3fb8aa3b, v36, -v37
	s_delay_alu instid0(VALU_DEP_2) | instskip(SKIP_2) | instid1(VALU_DEP_3)
	v_dual_sub_f32 v37, v37, v40 :: v_dual_mul_f32 v38, 0x3fb8aa3b, v35
	v_cmp_ngt_f32_e64 s2, 0xc2ce8ed0, v35
	v_cmp_nlt_f32_e64 s4, 0x42b17218, v35
	v_fma_f32 v41, 0x3fb8aa3b, v35, -v38
	v_rndne_f32_e32 v42, v38
	v_fmac_f32_e32 v39, 0x32a5705f, v36
	s_delay_alu instid0(VALU_DEP_2) | instskip(NEXT) | instid1(VALU_DEP_2)
	v_dual_fmac_f32 v41, 0x32a5705f, v35 :: v_dual_sub_f32 v38, v38, v42
	v_add_f32_e32 v37, v37, v39
	v_cvt_i32_f32_e32 v39, v40
	v_cvt_i32_f32_e32 v40, v42
	s_delay_alu instid0(VALU_DEP_4) | instskip(NEXT) | instid1(VALU_DEP_4)
	v_add_f32_e32 v38, v38, v41
	v_exp_f32_e32 v37, v37
	s_delay_alu instid0(VALU_DEP_1) | instskip(NEXT) | instid1(TRANS32_DEP_2)
	v_exp_f32_e32 v38, v38
	v_ldexp_f32 v37, v37, v39
	s_delay_alu instid0(TRANS32_DEP_1) | instskip(NEXT) | instid1(VALU_DEP_1)
	v_ldexp_f32 v38, v38, v40
	v_dual_cndmask_b32 v35, 0, v37, vcc_lo :: v_dual_cndmask_b32 v36, 0, v38, s2
	s_delay_alu instid0(VALU_DEP_1) | instskip(NEXT) | instid1(VALU_DEP_2)
	v_cndmask_b32_e64 v97, 0x7f800000, v35, s3
	v_cndmask_b32_e64 v35, 0x7f800000, v36, s4
	s_delay_alu instid0(VALU_DEP_2) | instskip(NEXT) | instid1(VALU_DEP_2)
	v_cvt_f16_f32_e32 v36, v97
	v_dual_fmac_f32 v97, v34, v35 :: v_dual_add_nc_u32 v38, 0x800, v117
	ds_store_b16 v135, v36
	v_cvt_f16_f32_e32 v37, v35
	s_wait_loadcnt 0x7
	ds_store_b128 v127, v[0:3]
	s_wait_loadcnt 0x6
	ds_store_b128 v136, v[4:7]
	;; [unrolled: 2-line block ×8, first 2 shown]
	s_wait_dscnt 0x0
	s_barrier_signal -1
	s_barrier_wait -1
	ds_load_b128 v[10:13], v126
	ds_load_2addr_b64 v[14:17], v117 offset1:32
	v_and_b32_e32 v36, 0xffff, v37
	v_add_nc_u32_e32 v8, 0x1000, v117
	v_add_nc_u32_e32 v9, 0x1800, v117
	s_delay_alu instid0(VALU_DEP_3) | instskip(NEXT) | instid1(VALU_DEP_1)
	v_mul_u32_u24_e32 v26, 0x10001, v36
	v_pk_mul_f16 v27, v33, v26
	v_pk_mul_f16 v40, v32, v26
	ds_load_b128 v[32:35], v126 offset:16
	ds_load_b128 v[4:7], v126 offset:32
	;; [unrolled: 1-line block ×3, first 2 shown]
	ds_load_2addr_b64 v[18:21], v117 offset0:64 offset1:96
	ds_load_2addr_b64 v[22:25], v117 offset0:128 offset1:160
	ds_load_2addr_b64 v[28:31], v117 offset0:192 offset1:224
	ds_load_2addr_b64 v[146:149], v38 offset1:32
	ds_load_2addr_b64 v[150:153], v38 offset0:64 offset1:96
	ds_load_2addr_b64 v[154:157], v38 offset0:128 offset1:160
	ds_load_2addr_b64 v[36:39], v38 offset0:192 offset1:224
	ds_load_2addr_b64 v[44:47], v8 offset1:32
	;; [unrolled: 4-line block ×3, first 2 shown]
	ds_load_2addr_b64 v[64:67], v9 offset0:64 offset1:96
	s_wait_dscnt 0x11
	v_and_b32_e32 v41, 0xffff, v10
	v_lshrrev_b32_e32 v8, 16, v10
	s_delay_alu instid0(VALU_DEP_2) | instskip(NEXT) | instid1(VALU_DEP_2)
	v_mul_u32_u24_e32 v41, 0x10001, v41
	v_mul_u32_u24_e32 v8, 0x10001, v8
	s_wait_dscnt 0x10
	s_delay_alu instid0(VALU_DEP_2)
	v_pk_mul_f16 v10, v14, v41
	v_pk_mul_f16 v15, v15, v41
	v_pk_fma_f16 v14, v16, v41, v27
	v_pk_fma_f16 v16, v17, v41, v40
	v_and_b32_e32 v17, 0xffff, v11
	v_pk_fma_f16 v10, v56, v26, v10
	v_pk_fma_f16 v15, v120, v26, v15
	v_lshrrev_b32_e32 v11, 16, v11
	s_wait_dscnt 0xc
	v_pk_fma_f16 v14, v20, v8, v14
	v_mul_u32_u24_e32 v17, 0x10001, v17
	v_pk_fma_f16 v16, v21, v8, v16
	v_pk_fma_f16 v10, v18, v8, v10
	;; [unrolled: 1-line block ×3, first 2 shown]
	ds_load_2addr_b64 v[56:59], v9 offset0:128 offset1:160
	ds_load_2addr_b64 v[40:43], v9 offset0:192 offset1:224
	v_and_b32_e32 v9, 0xffff, v12
	s_wait_dscnt 0xd
	v_pk_fma_f16 v14, v24, v17, v14
	v_pk_fma_f16 v15, v25, v17, v16
	;; [unrolled: 1-line block ×4, first 2 shown]
	v_lshrrev_b32_e32 v12, 16, v12
	v_mul_u32_u24_e32 v11, 0x10001, v11
	v_mul_u32_u24_e32 v16, 0x10001, v9
	v_and_b32_e32 v20, 0xffff, v13
	ds_load_2addr_b64 v[24:27], v73 offset1:32
	v_mul_u32_u24_e32 v21, 0x10001, v12
	s_wait_dscnt 0xd
	v_pk_fma_f16 v14, v30, v11, v14
	v_pk_fma_f16 v15, v31, v11, v15
	;; [unrolled: 1-line block ×4, first 2 shown]
	ds_load_2addr_b64 v[8:11], v73 offset0:64 offset1:96
	s_wait_dscnt 0xd
	v_pk_fma_f16 v22, v148, v16, v14
	v_pk_fma_f16 v23, v149, v16, v15
	;; [unrolled: 1-line block ×4, first 2 shown]
	ds_load_2addr_b64 v[16:19], v73 offset0:128 offset1:160
	v_lshrrev_b32_e32 v30, 16, v13
	ds_load_2addr_b64 v[12:15], v73 offset0:192 offset1:224
	v_mul_u32_u24_e32 v31, 0x10001, v20
	s_wait_dscnt 0xe
	v_pk_fma_f16 v73, v152, v21, v22
	v_pk_fma_f16 v75, v153, v21, v23
	;; [unrolled: 1-line block ×4, first 2 shown]
	v_and_b32_e32 v120, 0xffff, v32
	s_wait_dscnt 0xd
	v_pk_fma_f16 v73, v156, v31, v73
	v_pk_fma_f16 v75, v157, v31, v75
	;; [unrolled: 1-line block ×4, first 2 shown]
	v_lshrrev_b32_e32 v32, 16, v32
	v_mul_u32_u24_e32 v145, 0x10001, v30
	v_mul_u32_u24_e32 v120, 0x10001, v120
	ds_load_2addr_b64 v[20:23], v74 offset1:32
	ds_load_2addr_b64 v[28:31], v74 offset0:64 offset1:96
	v_mul_u32_u24_e32 v32, 0x10001, v32
	s_wait_dscnt 0xe
	v_pk_fma_f16 v73, v38, v145, v73
	v_pk_fma_f16 v75, v39, v145, v75
	v_pk_fma_f16 v146, v36, v145, v146
	v_pk_fma_f16 v145, v37, v145, v147
	v_and_b32_e32 v147, 0xffff, v33
	s_wait_dscnt 0xd
	v_pk_fma_f16 v73, v46, v120, v73
	v_pk_fma_f16 v75, v47, v120, v75
	;; [unrolled: 1-line block ×4, first 2 shown]
	ds_load_2addr_b64 v[36:39], v74 offset0:128 offset1:160
	ds_load_2addr_b64 v[44:47], v74 offset0:192 offset1:224
	v_lshrrev_b32_e32 v33, 16, v33
	v_mul_u32_u24_e32 v74, 0x10001, v147
	s_wait_dscnt 0xe
	v_pk_fma_f16 v73, v50, v32, v73
	v_pk_fma_f16 v75, v51, v32, v75
	;; [unrolled: 1-line block ×4, first 2 shown]
	v_and_b32_e32 v120, 0xffff, v34
	s_wait_dscnt 0xd
	v_pk_fma_f16 v73, v54, v74, v73
	v_pk_fma_f16 v75, v55, v74, v75
	;; [unrolled: 1-line block ×4, first 2 shown]
	v_lshrrev_b32_e32 v34, 16, v34
	v_mul_u32_u24_e32 v33, 0x10001, v33
	v_mul_u32_u24_e32 v74, 0x10001, v120
	v_lshrrev_b32_e32 v149, 16, v35
	ds_load_2addr_b64 v[48:51], v72 offset1:32
	v_mul_u32_u24_e32 v34, 0x10001, v34
	s_wait_dscnt 0xd
	v_pk_fma_f16 v73, v62, v33, v73
	v_pk_fma_f16 v75, v63, v33, v75
	;; [unrolled: 1-line block ×4, first 2 shown]
	v_and_b32_e32 v33, 0xffff, v35
	s_wait_dscnt 0xc
	v_pk_fma_f16 v145, v70, v74, v73
	v_pk_fma_f16 v146, v71, v74, v75
	;; [unrolled: 1-line block ×4, first 2 shown]
	v_mul_u32_u24_e32 v147, 0x10001, v33
	s_wait_dscnt 0xb
	v_pk_fma_f16 v145, v66, v34, v145
	v_pk_fma_f16 v146, v67, v34, v146
	;; [unrolled: 1-line block ×4, first 2 shown]
	ds_load_2addr_b64 v[52:55], v72 offset0:64 offset1:96
	ds_load_2addr_b64 v[60:63], v72 offset0:128 offset1:160
	;; [unrolled: 1-line block ×3, first 2 shown]
	ds_load_2addr_b64 v[72:75], v144 offset1:32
	ds_load_2addr_b64 v[64:67], v144 offset0:64 offset1:96
	ds_load_2addr_b64 v[32:35], v144 offset0:128 offset1:160
	s_wait_dscnt 0x10
	v_pk_fma_f16 v145, v58, v147, v145
	v_pk_fma_f16 v146, v59, v147, v146
	;; [unrolled: 1-line block ×4, first 2 shown]
	ds_load_2addr_b64 v[56:59], v144 offset0:192 offset1:224
	v_lshrrev_b32_e32 v148, 16, v4
	v_mul_u32_u24_e32 v144, 0x10001, v149
	v_and_b32_e32 v4, 0xffff, v4
	v_lshrrev_b32_e32 v149, 16, v5
	v_and_b32_e32 v5, 0xffff, v5
	s_wait_dscnt 0x0
	v_pk_fma_f16 v42, v42, v144, v145
	v_pk_fma_f16 v43, v43, v144, v146
	;; [unrolled: 1-line block ×4, first 2 shown]
	v_mul_u32_u24_e32 v4, 0x10001, v4
	v_mul_u32_u24_e32 v5, 0x10001, v5
	v_lshrrev_b32_e32 v120, 16, v6
	v_and_b32_e32 v6, 0xffff, v6
	v_dual_lshrrev_b32 v144, 16, v7 :: v_dual_lshrrev_b32 v145, 16, v0
	v_pk_fma_f16 v26, v26, v4, v42
	v_pk_fma_f16 v27, v27, v4, v43
	;; [unrolled: 1-line block ×4, first 2 shown]
	v_mul_u32_u24_e32 v40, 0x10001, v148
	v_and_b32_e32 v7, 0xffff, v7
	v_and_b32_e32 v0, 0xffff, v0
	v_dual_lshrrev_b32 v146, 16, v1 :: v_dual_lshrrev_b32 v147, 16, v2
	s_delay_alu instid0(VALU_DEP_4)
	v_pk_fma_f16 v10, v10, v40, v26
	v_pk_fma_f16 v11, v11, v40, v27
	v_pk_fma_f16 v8, v8, v40, v24
	v_pk_fma_f16 v4, v9, v40, v4
	v_mul_u32_u24_e32 v9, 0x10001, v149
	v_pk_fma_f16 v10, v18, v5, v10
	v_pk_fma_f16 v11, v19, v5, v11
	v_pk_fma_f16 v8, v16, v5, v8
	v_pk_fma_f16 v4, v17, v5, v4
	v_mul_u32_u24_e32 v5, 0x10001, v6
	;; [unrolled: 5-line block ×6, first 2 shown]
	v_pk_fma_f16 v5, v46, v9, v6
	v_pk_fma_f16 v6, v47, v9, v7
	;; [unrolled: 1-line block ×4, first 2 shown]
	v_and_b32_e32 v1, 0xffff, v1
	v_mul_u32_u24_e32 v8, 0x10001, v145
	v_pk_fma_f16 v5, v50, v0, v5
	v_pk_fma_f16 v6, v51, v0, v6
	;; [unrolled: 1-line block ×4, first 2 shown]
	v_mul_u32_u24_e32 v1, 0x10001, v1
	v_pk_fma_f16 v4, v54, v8, v5
	v_pk_fma_f16 v5, v55, v8, v6
	;; [unrolled: 1-line block ×4, first 2 shown]
	v_and_b32_e32 v2, 0xffff, v2
	v_mul_u32_u24_e32 v7, 0x10001, v146
	v_pk_fma_f16 v4, v62, v1, v4
	v_pk_fma_f16 v5, v63, v1, v5
	;; [unrolled: 1-line block ×4, first 2 shown]
	s_barrier_signal -1
	s_barrier_wait -1
	s_load_b32 s2, s[8:9], 0x4
	v_mul_u32_u24_e32 v1, 0x10001, v2
	v_pk_fma_f16 v2, v70, v7, v4
	v_pk_fma_f16 v4, v71, v7, v5
	;; [unrolled: 1-line block ×4, first 2 shown]
	v_lshrrev_b32_e32 v25, 16, v3
	v_and_b32_e32 v3, 0xffff, v3
	v_mul_u32_u24_e32 v6, 0x10001, v147
	v_pk_fma_f16 v2, v74, v1, v2
	v_pk_fma_f16 v4, v75, v1, v4
	v_pk_fma_f16 v5, v72, v1, v5
	v_pk_fma_f16 v0, v73, v1, v0
	v_mul_u32_u24_e32 v1, 0x10001, v3
	v_pk_fma_f16 v2, v66, v6, v2
	v_pk_fma_f16 v3, v67, v6, v4
	v_pk_fma_f16 v4, v64, v6, v5
	v_pk_fma_f16 v0, v65, v6, v0
	;; [unrolled: 5-line block ×3, first 2 shown]
	s_wait_kmcnt 0x0
	s_lshl_b32 s2, s2, 5
	v_pk_fma_f16 v33, v58, v5, v2
	v_pk_fma_f16 v32, v59, v5, v3
	v_pk_fma_f16 v56, v56, v5, v4
	v_pk_fma_f16 v120, v57, v5, v0
	s_add_co_i32 s14, s2, s14
	s_delay_alu instid0(SALU_CYCLE_1)
	s_cmp_lt_i32 s14, s5
	s_cbranch_scc0 .LBB52_13
; %bb.11:                               ;   in Loop: Header=BB52_8 Depth=1
	v_dual_mov_b32 v35, v98 :: v_dual_mov_b32 v34, v97
	s_branch .LBB52_8
.LBB52_12:
	v_dual_mov_b32 v56, 0 :: v_dual_mov_b32 v120, 0
	v_dual_mov_b32 v98, 0xfeffffff :: v_dual_mov_b32 v33, 0
	v_mov_b32_e32 v32, 0
.LBB52_13:
	s_cmp_gt_i32 s34, s14
	s_cbranch_scc1 .LBB52_16
; %bb.14:
	v_mbcnt_lo_u32_b32 v0, -1, 0
	v_mov_b32_e32 v105, 32
	s_delay_alu instid0(VALU_DEP_2)
	v_xor_b32_e32 v102, 16, v0
	v_xor_b32_e32 v100, 8, v0
	;; [unrolled: 1-line block ×5, first 2 shown]
	s_cbranch_execz .LBB52_17
; %bb.15:
	v_mov_b32_e32 v99, v0
	s_branch .LBB52_22
.LBB52_16:
                                        ; implicit-def: $vgpr0
                                        ; implicit-def: $vgpr105
                                        ; implicit-def: $vgpr102
                                        ; implicit-def: $vgpr100
                                        ; implicit-def: $vgpr101
                                        ; implicit-def: $vgpr103
                                        ; implicit-def: $vgpr104
.LBB52_17:
	s_ashr_i32 s15, s14, 31
	s_ashr_i32 s37, s36, 31
	s_mov_b32 s4, 0
	s_mul_u64 s[2:3], s[14:15], s[36:37]
	v_dual_mov_b32 v0, 0 :: v_dual_lshlrev_b32 v1, 20, v99
	s_lshl_b64 s[2:3], s[2:3], 2
	s_mov_b32 s5, s4
	s_add_nc_u64 s[8:9], s[6:7], s[2:3]
	s_mov_b32 s6, s4
	s_delay_alu instid0(SALU_CYCLE_1) | instskip(SKIP_4) | instid1(VALU_DEP_3)
	v_dual_mov_b32 v77, 0 :: v_dual_mov_b32 v16, s6
	v_lshl_add_u64 v[2:3], v[80:81], 2, s[8:9]
	v_add_nc_u64_e32 v[18:19], src_flat_scratch_base_lo, v[0:1]
	s_sub_co_i32 s29, s34, s14
	v_dual_mov_b32 v15, s5 :: v_dual_mov_b32 v14, s4
	v_add_nc_u64_e32 v[2:3], v[2:3], v[76:77]
	v_cmp_gt_i32_e32 vcc_lo, s29, v119
	s_clause 0x1
	scratch_store_b32 off, v77, off
	scratch_store_b96 off, v[14:16], off offset:4
	s_lshl_b32 s11, s36, 2
	v_mad_u32_u24 v0, 0x210, v119, v76
	v_dual_cndmask_b32 v3, v19, v3 :: v_dual_add_nc_u32 v8, s11, v80
	v_cndmask_b32_e32 v2, v18, v2, vcc_lo
	flat_load_b128 v[4:7], v[2:3]
	s_wait_xcnt 0x0
	v_add_nc_u32_e32 v2, 4, v119
	s_clause 0x1
	scratch_store_b32 off, v77, off
	scratch_store_b96 off, v[14:16], off offset:4
	v_add_nc_u32_e32 v3, 8, v119
	v_cmp_gt_i32_e64 s2, s29, v2
	v_ashrrev_i32_e32 v9, 31, v8
	s_delay_alu instid0(VALU_DEP_3) | instskip(NEXT) | instid1(VALU_DEP_2)
	v_cmp_gt_i32_e64 s3, s29, v3
	v_lshl_add_u64 v[10:11], v[8:9], 2, s[8:9]
	s_delay_alu instid0(VALU_DEP_1) | instskip(NEXT) | instid1(VALU_DEP_1)
	v_add_nc_u64_e32 v[10:11], v[10:11], v[76:77]
	v_dual_cndmask_b32 v11, v19, v11, s2 :: v_dual_cndmask_b32 v10, v18, v10, s2
	s_wait_loadcnt_dscnt 0x0
	ds_store_b128 v0, v[4:7]
	flat_load_b128 v[4:7], v[10:11]
	s_wait_xcnt 0x0
	v_add_nc_u32_e32 v10, s11, v8
	s_clause 0x1
	scratch_store_b32 off, v77, off
	scratch_store_b96 off, v[14:16], off offset:4
	v_ashrrev_i32_e32 v11, 31, v10
	s_delay_alu instid0(VALU_DEP_1) | instskip(NEXT) | instid1(VALU_DEP_1)
	v_lshl_add_u64 v[8:9], v[10:11], 2, s[8:9]
	v_add_nc_u64_e32 v[8:9], v[8:9], v[76:77]
	s_delay_alu instid0(VALU_DEP_1)
	v_dual_cndmask_b32 v9, v19, v9, s3 :: v_dual_cndmask_b32 v8, v18, v8, s3
	s_wait_loadcnt_dscnt 0x0
	ds_store_b128 v0, v[4:7] offset:2112
	flat_load_b128 v[6:9], v[8:9]
	v_add_nc_u32_e32 v4, s11, v10
	s_clause 0x1
	scratch_store_b32 off, v77, off
	scratch_store_b96 off, v[14:16], off offset:4
	v_ashrrev_i32_e32 v5, 31, v4
	s_delay_alu instid0(VALU_DEP_1) | instskip(SKIP_2) | instid1(VALU_DEP_3)
	v_lshl_add_u64 v[10:11], v[4:5], 2, s[8:9]
	v_dual_add_nc_u32 v5, 12, v119 :: v_dual_add_nc_u32 v12, s11, v4
	v_add_nc_u32_e32 v4, 28, v119
	v_add_nc_u64_e32 v[10:11], v[10:11], v[76:77]
	s_delay_alu instid0(VALU_DEP_3) | instskip(NEXT) | instid1(VALU_DEP_1)
	v_cmp_gt_i32_e64 s4, s29, v5
	v_dual_ashrrev_i32 v13, 31, v12 :: v_dual_cndmask_b32 v11, v19, v11, s4
	s_delay_alu instid0(VALU_DEP_3)
	v_cndmask_b32_e64 v10, v18, v10, s4
	s_wait_loadcnt_dscnt 0x0
	ds_store_b128 v0, v[6:9] offset:4224
	flat_load_b128 v[8:11], v[10:11]
	v_add_nc_u32_e32 v6, 16, v119
	v_lshl_add_u64 v[20:21], v[12:13], 2, s[8:9]
	s_clause 0x1
	scratch_store_b32 off, v77, off
	scratch_store_b96 off, v[14:16], off offset:4
	v_add_nc_u32_e32 v7, 20, v119
	v_cmp_gt_i32_e64 s5, s29, v6
	v_add_nc_u64_e32 v[20:21], v[20:21], v[76:77]
	s_delay_alu instid0(VALU_DEP_3) | instskip(NEXT) | instid1(VALU_DEP_2)
	v_cmp_gt_i32_e64 s6, s29, v7
	v_dual_cndmask_b32 v21, v19, v21, s5 :: v_dual_cndmask_b32 v20, v18, v20, s5
	s_wait_loadcnt_dscnt 0x0
	ds_store_b128 v0, v[8:11] offset:6336
	flat_load_b128 v[8:11], v[20:21]
	s_wait_xcnt 0x0
	v_add_nc_u32_e32 v20, s11, v12
	s_clause 0x1
	scratch_store_b32 off, v77, off
	scratch_store_b96 off, v[14:16], off offset:4
	v_ashrrev_i32_e32 v21, 31, v20
	s_delay_alu instid0(VALU_DEP_1) | instskip(NEXT) | instid1(VALU_DEP_1)
	v_lshl_add_u64 v[12:13], v[20:21], 2, s[8:9]
	v_add_nc_u64_e32 v[12:13], v[12:13], v[76:77]
	s_delay_alu instid0(VALU_DEP_1)
	v_dual_cndmask_b32 v13, v19, v13, s6 :: v_dual_cndmask_b32 v12, v18, v12, s6
	s_wait_loadcnt_dscnt 0x0
	ds_store_b128 v0, v[8:11] offset:8448
	v_add_nc_u32_e32 v8, 24, v119
	flat_load_b128 v[10:13], v[12:13]
	s_clause 0x1
	scratch_store_b32 off, v77, off
	scratch_store_b96 off, v[14:16], off offset:4
	v_cmp_gt_i32_e64 s7, s29, v8
	v_add_nc_u32_e32 v20, s11, v20
	s_delay_alu instid0(VALU_DEP_1) | instskip(NEXT) | instid1(VALU_DEP_1)
	v_ashrrev_i32_e32 v21, 31, v20
	v_lshl_add_u64 v[22:23], v[20:21], 2, s[8:9]
	s_delay_alu instid0(VALU_DEP_1) | instskip(NEXT) | instid1(VALU_DEP_1)
	v_add_nc_u64_e32 v[22:23], v[22:23], v[76:77]
	v_dual_cndmask_b32 v23, v19, v23, s7 :: v_dual_cndmask_b32 v22, v18, v22, s7
	v_add_nc_u32_e32 v20, s11, v20
	s_mov_b32 s11, exec_lo
	s_delay_alu instid0(VALU_DEP_1) | instskip(NEXT) | instid1(VALU_DEP_1)
	v_ashrrev_i32_e32 v21, 31, v20
	v_lshl_add_u64 v[20:21], v[20:21], 2, s[8:9]
	v_cmp_gt_i32_e64 s8, s29, v4
	s_delay_alu instid0(VALU_DEP_2) | instskip(NEXT) | instid1(VALU_DEP_1)
	v_add_nc_u64_e32 v[20:21], v[20:21], v[76:77]
	v_dual_cndmask_b32 v19, v19, v21, s8 :: v_dual_cndmask_b32 v18, v18, v20, s8
	s_wait_loadcnt_dscnt 0x0
	ds_store_b128 v0, v[10:13] offset:10560
	flat_load_b128 v[10:13], v[22:23]
	s_clause 0x1
	scratch_store_b32 off, v77, off
	scratch_store_b96 off, v[14:16], off offset:4
	s_wait_loadcnt_dscnt 0x0
	ds_store_b128 v0, v[10:13] offset:12672
	flat_load_b128 v[10:13], v[18:19]
	s_wait_loadcnt_dscnt 0x0
	ds_store_b128 v0, v[10:13] offset:14784
	s_wait_storecnt_dscnt 0x0
	s_barrier_signal -1
	s_barrier_wait -1
	s_wait_xcnt 0x1
	ds_load_b128 v[12:15], v123
	s_wait_xcnt 0x0
	ds_load_b128 v[16:19], v122
	v_dual_mov_b32 v10, v77 :: v_dual_mov_b32 v0, v98
	s_wait_dscnt 0x0
	;;#ASMSTART
	v_dot2_f32_f16 v10, v12, v16, v10
	;;#ASMEND
	;;#ASMSTART
	v_dot2_f32_f16 v10, v13, v17, v10
	;;#ASMEND
	;;#ASMSTART
	v_dot2_f32_f16 v10, v14, v18, v10
	;;#ASMEND
	;;#ASMSTART
	v_dot2_f32_f16 v10, v15, v19, v10
	;;#ASMEND
	ds_load_b128 v[12:15], v123 offset:16
	ds_load_b128 v[16:19], v122 offset:16
	s_wait_dscnt 0x0
	;;#ASMSTART
	v_dot2_f32_f16 v10, v12, v16, v10
	;;#ASMEND
	;;#ASMSTART
	v_dot2_f32_f16 v10, v13, v17, v10
	;;#ASMEND
	;;#ASMSTART
	v_dot2_f32_f16 v10, v14, v18, v10
	;;#ASMEND
	;;#ASMSTART
	v_dot2_f32_f16 v10, v15, v19, v10
	;;#ASMEND
	ds_load_b128 v[12:15], v123 offset:32
	ds_load_b128 v[16:19], v122 offset:32
	;; [unrolled: 15-line block ×31, first 2 shown]
	s_wait_dscnt 0x0
	;;#ASMSTART
	v_dot2_f32_f16 v10, v12, v16, v10
	;;#ASMEND
	;;#ASMSTART
	v_dot2_f32_f16 v10, v13, v17, v10
	;;#ASMEND
	;; [unrolled: 3-line block ×4, first 2 shown]
	v_cmpx_gt_i32_e64 s29, v115
	s_cbranch_execz .LBB52_21
; %bb.18:
	s_cmp_eq_u64 s[30:31], 0
	s_cbranch_scc1 .LBB52_20
; %bb.19:
	v_mul_lo_u32 v0, v96, s35
	s_delay_alu instid0(VALU_DEP_1) | instskip(SKIP_3) | instid1(VALU_DEP_1)
	v_add3_u32 v0, v0, v115, s14
	global_load_u16 v0, v0, s[30:31] scale_offset
	s_wait_loadcnt 0x0
	v_cvt_f32_f16_e32 v0, v0
	v_mul_f32_e32 v77, v121, v0
.LBB52_20:
	v_max_num_f32_e32 v9, v98, v98
	s_delay_alu instid0(VALU_DEP_2) | instskip(NEXT) | instid1(VALU_DEP_1)
	v_add_f32_e32 v10, v10, v77
	v_add_f32_e32 v0, 0x40051340, v10
	s_delay_alu instid0(VALU_DEP_1)
	v_max_num_f32_e32 v0, v9, v0
.LBB52_21:
	s_or_b32 exec_lo, exec_lo, s11
	v_xor_b32_e32 v102, 16, v99
	s_mov_b32 s24, 0
	s_ashr_i32 s11, s10, 31
	s_mov_b32 s25, s24
	s_mov_b32 s26, s24
	v_cmp_gt_i32_e64 s9, 32, v102
	v_dual_mov_b32 v16, s24 :: v_dual_mov_b32 v18, s26
	s_mul_u64 s[14:15], s[14:15], s[10:11]
	v_dual_lshlrev_b32 v14, 1, v115 :: v_dual_cndmask_b32 v9, v99, v102, s9
	v_xor_b32_e32 v100, 8, v99
	s_lshl_b64 s[14:15], s[14:15], 2
	s_delay_alu instid0(SALU_CYCLE_1) | instskip(NEXT) | instid1(VALU_DEP_2)
	s_add_nc_u64 s[14:15], s[20:21], s[14:15]
	v_lshlrev_b32_e32 v9, 2, v9
	s_delay_alu instid0(VALU_DEP_2)
	v_cmp_gt_i32_e64 s9, 32, v100
	s_barrier_signal -1
	s_barrier_wait -1
	ds_bpermute_b32 v9, v9, v0
	v_max_num_f32_e32 v0, v0, v0
	v_lshl_add_u32 v5, v5, 9, v76
	v_lshl_add_u32 v4, v4, 9, v76
	v_add_nc_u32_e32 v34, 0x3000, v117
	v_add_nc_u32_e32 v112, 0x3800, v117
	v_dual_mov_b32 v77, 0 :: v_dual_bitop2_b32 v103, 2, v99 bitop3:0x14
	v_mov_b32_e32 v17, s25
	s_clause 0x1
	scratch_store_b32 off, v77, off
	scratch_store_b96 off, v[16:18], off offset:4
	s_wait_dscnt 0x0
	v_dual_mov_b32 v105, 32 :: v_dual_max_num_f32 v9, v9, v9
	s_delay_alu instid0(VALU_DEP_1) | instskip(NEXT) | instid1(VALU_DEP_1)
	v_dual_cndmask_b32 v11, v99, v100, s9 :: v_dual_max_num_f32 v0, v0, v9
	v_lshlrev_b32_e32 v11, 2, v11
	ds_bpermute_b32 v9, v11, v0
	s_wait_dscnt 0x0
	v_dual_max_num_f32 v9, v9, v9 :: v_dual_bitop2_b32 v101, 4, v99 bitop3:0x14
	s_delay_alu instid0(VALU_DEP_1) | instskip(NEXT) | instid1(VALU_DEP_2)
	v_max_num_f32_e32 v0, v0, v9
	v_cmp_gt_i32_e64 s9, 32, v101
	s_delay_alu instid0(VALU_DEP_1) | instskip(SKIP_1) | instid1(VALU_DEP_2)
	v_cndmask_b32_e64 v11, v99, v101, s9
	v_cmp_gt_i32_e64 s9, 32, v103
	v_lshlrev_b32_e32 v11, 2, v11
	ds_bpermute_b32 v9, v11, v0
	s_wait_dscnt 0x0
	v_dual_max_num_f32 v9, v9, v9 :: v_dual_cndmask_b32 v11, v99, v103, s9
	s_delay_alu instid0(VALU_DEP_1) | instskip(SKIP_3) | instid1(VALU_DEP_1)
	v_dual_max_num_f32 v0, v0, v9 :: v_dual_lshlrev_b32 v11, 2, v11
	ds_bpermute_b32 v9, v11, v0
	s_wait_dscnt 0x0
	v_dual_max_num_f32 v9, v9, v9 :: v_dual_bitop2_b32 v104, 1, v99 bitop3:0x14
	v_max_num_f32_e32 v0, v0, v9
	s_delay_alu instid0(VALU_DEP_2) | instskip(NEXT) | instid1(VALU_DEP_1)
	v_cmp_gt_i32_e64 s9, 32, v104
	v_cndmask_b32_e64 v11, v99, v104, s9
	s_delay_alu instid0(VALU_DEP_1) | instskip(SKIP_3) | instid1(VALU_DEP_1)
	v_lshlrev_b32_e32 v11, 2, v11
	ds_bpermute_b32 v9, v11, v0
	s_wait_dscnt 0x0
	v_max_num_f32_e32 v9, v9, v9
	v_max_num_f32_e32 v9, v0, v9
	s_delay_alu instid0(VALU_DEP_1) | instskip(NEXT) | instid1(VALU_DEP_1)
	v_sub_f32_e32 v11, v10, v9
	v_mul_f32_e32 v0, 0x3fb8aa3b, v11
	s_delay_alu instid0(VALU_DEP_1) | instskip(SKIP_1) | instid1(VALU_DEP_1)
	v_fma_f32 v10, 0x3fb8aa3b, v11, -v0
	v_rndne_f32_e32 v12, v0
	v_sub_f32_e32 v0, v0, v12
	s_delay_alu instid0(VALU_DEP_3) | instskip(SKIP_2) | instid1(VALU_DEP_3)
	v_fmac_f32_e32 v10, 0x32a5705f, v11
	v_cvt_i32_f32_e32 v12, v12
	v_cmp_ngt_f32_e64 s9, 0xc2ce8ed0, v11
	v_dual_add_f32 v0, v0, v10 :: v_dual_lshlrev_b32 v10, 6, v119
	s_delay_alu instid0(VALU_DEP_1) | instskip(SKIP_1) | instid1(TRANS32_DEP_1)
	v_exp_f32_e32 v0, v0
	v_nop
	v_ldexp_f32 v12, v0, v12
	s_delay_alu instid0(VALU_DEP_1) | instskip(SKIP_2) | instid1(VALU_DEP_3)
	v_dual_mov_b32 v0, 0 :: v_dual_cndmask_b32 v15, 0, v12, s9
	v_cmp_nlt_f32_e64 s9, 0x42b17218, v11
	v_lshl_add_u64 v[12:13], v[78:79], 2, s[14:15]
	v_add_nc_u64_e32 v[20:21], src_flat_scratch_base_lo, v[0:1]
	s_delay_alu instid0(VALU_DEP_3) | instskip(SKIP_1) | instid1(VALU_DEP_4)
	v_cndmask_b32_e64 v11, 0x7f800000, v15, s9
	v_cmp_gt_u32_e64 s9, s29, v115
	v_add_nc_u64_e32 v[0:1], v[12:13], v[76:77]
	s_delay_alu instid0(VALU_DEP_2) | instskip(SKIP_2) | instid1(VALU_DEP_3)
	v_cndmask_b32_e64 v96, 0, v11, s9
	v_add3_u32 v11, 0x4a00, v10, v14
	s_lshl_b32 s9, s10, 2
	v_dual_cndmask_b32 v1, v21, v1 :: v_dual_cndmask_b32 v0, v20, v0
	s_delay_alu instid0(VALU_DEP_3)
	v_cvt_f16_f32_e32 v12, v96
	ds_store_b16 v11, v12
	flat_load_b128 v[12:15], v[0:1]
	s_wait_xcnt 0x0
	v_add_nc_u32_e32 v0, s9, v78
	s_clause 0x1
	scratch_store_b32 off, v77, off
	scratch_store_b96 off, v[16:18], off offset:4
	v_add_nc_u32_e32 v11, 0x2000, v117
	v_ashrrev_i32_e32 v1, 31, v0
	s_delay_alu instid0(VALU_DEP_1) | instskip(SKIP_2) | instid1(VALU_DEP_3)
	v_lshl_add_u64 v[22:23], v[0:1], 2, s[14:15]
	v_add_nc_u32_e32 v1, v118, v76
	v_add_nc_u32_e32 v0, s9, v0
	v_add_nc_u64_e32 v[22:23], v[22:23], v[76:77]
	s_delay_alu instid0(VALU_DEP_1)
	v_dual_cndmask_b32 v23, v21, v23, s2 :: v_dual_cndmask_b32 v22, v20, v22, s2
	s_wait_loadcnt_dscnt 0x0
	ds_store_b128 v1, v[12:15]
	flat_load_b128 v[12:15], v[22:23]
	v_ashrrev_i32_e32 v1, 31, v0
	s_clause 0x1
	scratch_store_b32 off, v77, off
	scratch_store_b96 off, v[16:18], off offset:4
	s_wait_xcnt 0x2
	v_lshl_add_u64 v[22:23], v[0:1], 2, s[14:15]
	v_lshl_add_u32 v1, v2, 9, v76
	v_lshl_add_u32 v2, v3, 9, v76
	s_delay_alu instid0(VALU_DEP_3) | instskip(NEXT) | instid1(VALU_DEP_1)
	v_add_nc_u64_e32 v[22:23], v[22:23], v[76:77]
	v_dual_cndmask_b32 v23, v21, v23, s3 :: v_dual_cndmask_b32 v22, v20, v22, s3
	s_wait_loadcnt_dscnt 0x0
	ds_store_b128 v1, v[12:15]
	flat_load_b128 v[12:15], v[22:23]
	s_wait_xcnt 0x0
	v_add_nc_u32_e32 v22, s9, v0
	s_clause 0x1
	scratch_store_b32 off, v77, off
	scratch_store_b96 off, v[16:18], off offset:4
	v_ashrrev_i32_e32 v23, 31, v22
	s_delay_alu instid0(VALU_DEP_1) | instskip(NEXT) | instid1(VALU_DEP_1)
	v_lshl_add_u64 v[0:1], v[22:23], 2, s[14:15]
	v_add_nc_u64_e32 v[0:1], v[0:1], v[76:77]
	s_delay_alu instid0(VALU_DEP_1)
	v_dual_cndmask_b32 v1, v21, v1, s4 :: v_dual_cndmask_b32 v0, v20, v0, s4
	s_wait_loadcnt_dscnt 0x0
	ds_store_b128 v2, v[12:15]
	flat_load_b128 v[0:3], v[0:1]
	v_add_nc_u32_e32 v12, s9, v22
	s_clause 0x1
	scratch_store_b32 off, v77, off
	scratch_store_b96 off, v[16:18], off offset:4
	v_ashrrev_i32_e32 v13, 31, v12
	s_delay_alu instid0(VALU_DEP_1) | instskip(SKIP_1) | instid1(VALU_DEP_2)
	v_lshl_add_u64 v[14:15], v[12:13], 2, s[14:15]
	v_add_nc_u32_e32 v12, s9, v12
	v_add_nc_u64_e32 v[14:15], v[14:15], v[76:77]
	s_delay_alu instid0(VALU_DEP_1) | instskip(NEXT) | instid1(VALU_DEP_2)
	v_dual_ashrrev_i32 v13, 31, v12 :: v_dual_cndmask_b32 v15, v21, v15, s5
	v_cndmask_b32_e64 v14, v20, v14, s5
	s_wait_loadcnt_dscnt 0x0
	ds_store_b128 v5, v[0:3]
	flat_load_b128 v[0:3], v[14:15]
	s_wait_xcnt 0x0
	v_lshl_add_u64 v[14:15], v[12:13], 2, s[14:15]
	v_lshl_add_u32 v5, v6, 9, v76
	s_clause 0x1
	scratch_store_b32 off, v77, off
	scratch_store_b96 off, v[16:18], off offset:4
	v_add_nc_u32_e32 v12, s9, v12
	v_add_nc_u64_e32 v[14:15], v[14:15], v[76:77]
	s_delay_alu instid0(VALU_DEP_1) | instskip(NEXT) | instid1(VALU_DEP_2)
	v_dual_ashrrev_i32 v13, 31, v12 :: v_dual_cndmask_b32 v15, v21, v15, s6
	v_cndmask_b32_e64 v14, v20, v14, s6
	s_wait_loadcnt_dscnt 0x0
	ds_store_b128 v5, v[0:3]
	flat_load_b128 v[0:3], v[14:15]
	s_wait_xcnt 0x0
	v_lshl_add_u64 v[14:15], v[12:13], 2, s[14:15]
	v_lshl_add_u32 v5, v7, 9, v76
	s_clause 0x1
	scratch_store_b32 off, v77, off
	scratch_store_b96 off, v[16:18], off offset:4
	v_add_nc_u64_e32 v[14:15], v[14:15], v[76:77]
	s_delay_alu instid0(VALU_DEP_1)
	v_dual_cndmask_b32 v7, v21, v15, s7 :: v_dual_cndmask_b32 v6, v20, v14, s7
	s_wait_loadcnt_dscnt 0x0
	ds_store_b128 v5, v[0:3]
	flat_load_b128 v[0:3], v[6:7]
	s_wait_xcnt 0x0
	v_add_nc_u32_e32 v6, s9, v12
	v_lshl_add_u32 v5, v8, 9, v76
	s_clause 0x1
	scratch_store_b32 off, v77, off
	scratch_store_b96 off, v[16:18], off offset:4
	v_add_nc_u32_e32 v12, 0x2800, v117
	s_wait_loadcnt_dscnt 0x0
	ds_store_b128 v5, v[0:3]
	v_dual_sub_f32 v5, v98, v9 :: v_dual_ashrrev_i32 v7, 31, v6
	v_mov_b32_e32 v98, v9
	s_delay_alu instid0(VALU_DEP_2) | instskip(NEXT) | instid1(VALU_DEP_3)
	v_cmp_ngt_f32_e32 vcc_lo, 0xc2ce8ed0, v5
	v_lshl_add_u64 v[6:7], v[6:7], 2, s[14:15]
	s_delay_alu instid0(VALU_DEP_1) | instskip(NEXT) | instid1(VALU_DEP_1)
	v_add_nc_u64_e32 v[6:7], v[6:7], v[76:77]
	v_dual_cndmask_b32 v7, v21, v7, s8 :: v_dual_cndmask_b32 v6, v20, v6, s8
	flat_load_b128 v[0:3], v[6:7]
	s_wait_xcnt 0x0
	v_mul_f32_e32 v6, 0x3fb8aa3b, v5
	s_delay_alu instid0(VALU_DEP_1) | instskip(SKIP_1) | instid1(VALU_DEP_1)
	v_fma_f32 v7, 0x3fb8aa3b, v5, -v6
	v_rndne_f32_e32 v8, v6
	v_dual_fmac_f32 v7, 0x32a5705f, v5 :: v_dual_sub_f32 v6, v6, v8
	s_delay_alu instid0(VALU_DEP_1) | instskip(SKIP_2) | instid1(VALU_DEP_3)
	v_add_f32_e32 v6, v6, v7
	v_cvt_i32_f32_e32 v7, v8
	v_add_nc_u32_e32 v8, 0x1800, v117
	v_exp_f32_e32 v6, v6
	v_nop
	s_delay_alu instid0(TRANS32_DEP_1) | instskip(NEXT) | instid1(VALU_DEP_1)
	v_ldexp_f32 v6, v6, v7
	v_dual_cndmask_b32 v6, 0, v6 :: v_dual_add_nc_u32 v7, 0x1000, v117
	v_cmp_nlt_f32_e32 vcc_lo, 0x42b17218, v5
	s_delay_alu instid0(VALU_DEP_2) | instskip(SKIP_1) | instid1(VALU_DEP_2)
	v_cndmask_b32_e32 v106, 0x7f800000, v6, vcc_lo
	v_add_nc_u32_e32 v6, 0x800, v117
	v_cvt_f16_f32_e32 v5, v106
	s_delay_alu instid0(VALU_DEP_1) | instskip(NEXT) | instid1(VALU_DEP_1)
	v_and_b32_e32 v5, 0xffff, v5
	v_mul_u32_u24_e32 v107, 0x10001, v5
	s_delay_alu instid0(VALU_DEP_1)
	v_pk_mul_f16 v58, v32, v107
	v_pk_mul_f16 v57, v33, v107
	s_wait_loadcnt_dscnt 0x0
	ds_store_b128 v4, v[0:3]
	s_wait_storecnt_dscnt 0x0
	s_barrier_signal -1
	s_barrier_wait -1
	ds_load_2addr_b64 v[108:111], v117 offset1:32
	ds_load_b128 v[122:125], v10 offset:18944
	ds_load_b128 v[126:129], v10 offset:18960
	ds_load_b128 v[130:133], v10 offset:18976
	ds_load_b128 v[134:137], v10 offset:18992
	ds_load_2addr_b64 v[138:141], v117 offset0:64 offset1:96
	ds_load_2addr_b64 v[142:145], v117 offset0:128 offset1:160
	ds_load_2addr_b64 v[146:149], v117 offset0:192 offset1:224
	ds_load_2addr_b64 v[150:153], v6 offset1:32
	ds_load_2addr_b64 v[154:157], v6 offset0:64 offset1:96
	ds_load_2addr_b64 v[92:95], v6 offset0:128 offset1:160
	ds_load_2addr_b64 v[88:91], v6 offset0:192 offset1:224
	ds_load_2addr_b64 v[84:87], v7 offset1:32
	;; [unrolled: 4-line block ×5, first 2 shown]
	ds_load_2addr_b64 v[8:11], v12 offset0:64 offset1:96
	ds_load_2addr_b64 v[4:7], v12 offset0:128 offset1:160
	s_wait_dscnt 0x19
	v_and_b32_e32 v32, 0xffff, v122
	v_lshrrev_b32_e32 v113, 16, v122
	v_and_b32_e32 v118, 0xffff, v123
	v_lshrrev_b32_e32 v117, 16, v123
	v_and_b32_e32 v119, 0xffff, v124
	v_mul_u32_u24_e32 v59, 0x10001, v32
	v_mul_u32_u24_e32 v113, 0x10001, v113
	v_dual_lshrrev_b32 v122, 16, v124 :: v_dual_lshrrev_b32 v158, 16, v125
	v_mul_u32_u24_e32 v117, 0x10001, v117
	s_delay_alu instid0(VALU_DEP_4)
	v_pk_mul_f16 v108, v108, v59
	v_pk_mul_f16 v109, v109, v59
	v_pk_fma_f16 v110, v110, v59, v57
	v_pk_fma_f16 v111, v111, v59, v58
	v_and_b32_e32 v123, 0xffff, v125
	v_pk_fma_f16 v108, v56, v107, v108
	v_pk_fma_f16 v107, v120, v107, v109
	s_wait_dscnt 0x15
	v_pk_fma_f16 v109, v140, v113, v110
	v_pk_fma_f16 v110, v141, v113, v111
	v_mul_u32_u24_e32 v111, 0x10001, v118
	v_pk_fma_f16 v108, v138, v113, v108
	v_pk_fma_f16 v107, v139, v113, v107
	v_mul_u32_u24_e32 v122, 0x10001, v122
	v_mul_u32_u24_e32 v123, 0x10001, v123
	s_wait_dscnt 0x14
	v_pk_fma_f16 v118, v144, v111, v109
	v_pk_fma_f16 v120, v145, v111, v110
	;; [unrolled: 1-line block ×4, first 2 shown]
	v_mul_u32_u24_e32 v143, 0x10001, v119
	s_wait_dscnt 0x13
	v_pk_fma_f16 v144, v148, v117, v118
	v_pk_fma_f16 v145, v149, v117, v120
	;; [unrolled: 1-line block ×4, first 2 shown]
	v_dual_lshrrev_b32 v124, 16, v126 :: v_dual_lshrrev_b32 v125, 16, v127
	s_wait_dscnt 0x12
	v_pk_fma_f16 v144, v152, v143, v144
	v_pk_fma_f16 v145, v153, v143, v145
	;; [unrolled: 1-line block ×4, first 2 shown]
	v_and_b32_e32 v126, 0xffff, v126
	s_wait_dscnt 0x11
	v_pk_fma_f16 v144, v156, v122, v144
	v_pk_fma_f16 v145, v157, v122, v145
	;; [unrolled: 1-line block ×4, first 2 shown]
	v_mul_u32_u24_e32 v122, 0x10001, v158
	s_wait_dscnt 0x10
	v_pk_fma_f16 v94, v94, v123, v144
	v_pk_fma_f16 v95, v95, v123, v145
	v_pk_fma_f16 v92, v92, v123, v146
	v_pk_fma_f16 v93, v93, v123, v107
	v_mul_u32_u24_e32 v107, 0x10001, v126
	s_wait_dscnt 0xf
	v_pk_fma_f16 v90, v90, v122, v94
	v_pk_fma_f16 v91, v91, v122, v95
	v_pk_fma_f16 v88, v88, v122, v92
	v_pk_fma_f16 v89, v89, v122, v93
	v_and_b32_e32 v127, 0xffff, v127
	v_mul_u32_u24_e32 v92, 0x10001, v124
	s_wait_dscnt 0xe
	v_pk_fma_f16 v86, v86, v107, v90
	v_pk_fma_f16 v87, v87, v107, v91
	v_pk_fma_f16 v84, v84, v107, v88
	v_pk_fma_f16 v85, v85, v107, v89
	v_mul_u32_u24_e32 v88, 0x10001, v127
	s_wait_dscnt 0xd
	v_pk_fma_f16 v82, v82, v92, v86
	v_pk_fma_f16 v83, v83, v92, v87
	v_pk_fma_f16 v80, v80, v92, v84
	v_pk_fma_f16 v81, v81, v92, v85
	v_dual_lshrrev_b32 v113, 16, v128 :: v_dual_lshrrev_b32 v138, 16, v129
	v_and_b32_e32 v128, 0xffff, v128
	v_mul_u32_u24_e32 v84, 0x10001, v125
	s_wait_dscnt 0xc
	v_pk_fma_f16 v78, v78, v88, v82
	v_pk_fma_f16 v79, v79, v88, v83
	v_pk_fma_f16 v76, v76, v88, v80
	v_pk_fma_f16 v77, v77, v88, v81
	v_mul_u32_u24_e32 v80, 0x10001, v128
	s_wait_dscnt 0xb
	v_pk_fma_f16 v74, v74, v84, v78
	v_pk_fma_f16 v75, v75, v84, v79
	v_pk_fma_f16 v72, v72, v84, v76
	v_pk_fma_f16 v73, v73, v84, v77
	v_and_b32_e32 v129, 0xffff, v129
	v_mul_u32_u24_e32 v76, 0x10001, v113
	s_wait_dscnt 0xa
	v_pk_fma_f16 v70, v70, v80, v74
	v_pk_fma_f16 v71, v71, v80, v75
	v_pk_fma_f16 v68, v68, v80, v72
	v_pk_fma_f16 v69, v69, v80, v73
	v_mul_u32_u24_e32 v72, 0x10001, v129
	s_wait_dscnt 0x9
	v_pk_fma_f16 v66, v66, v76, v70
	v_pk_fma_f16 v67, v67, v76, v71
	v_pk_fma_f16 v64, v64, v76, v68
	v_pk_fma_f16 v65, v65, v76, v69
	v_dual_lshrrev_b32 v139, 16, v130 :: v_dual_lshrrev_b32 v140, 16, v131
	v_and_b32_e32 v130, 0xffff, v130
	;; [unrolled: 27-line block ×3, first 2 shown]
	v_mul_u32_u24_e32 v48, 0x10001, v140
	s_wait_dscnt 0x4
	v_pk_fma_f16 v38, v38, v52, v46
	v_pk_fma_f16 v39, v39, v52, v47
	;; [unrolled: 1-line block ×4, first 2 shown]
	v_mul_u32_u24_e32 v44, 0x10001, v132
	s_wait_dscnt 0x3
	v_pk_fma_f16 v30, v30, v48, v38
	v_pk_fma_f16 v31, v31, v48, v39
	;; [unrolled: 1-line block ×4, first 2 shown]
	ds_load_2addr_b64 v[0:3], v12 offset0:192 offset1:224
	ds_load_2addr_b64 v[16:19], v34 offset1:32
	ds_load_2addr_b64 v[12:15], v34 offset0:64 offset1:96
	ds_load_2addr_b64 v[20:23], v34 offset0:128 offset1:160
	v_and_b32_e32 v133, 0xffff, v133
	v_mul_u32_u24_e32 v36, 0x10001, v141
	s_wait_dscnt 0x6
	v_pk_fma_f16 v26, v26, v44, v30
	v_pk_fma_f16 v27, v27, v44, v31
	;; [unrolled: 1-line block ×4, first 2 shown]
	v_mul_u32_u24_e32 v28, 0x10001, v133
	s_wait_dscnt 0x5
	v_pk_fma_f16 v10, v10, v36, v26
	v_pk_fma_f16 v11, v11, v36, v27
	;; [unrolled: 1-line block ×4, first 2 shown]
	ds_load_2addr_b64 v[32:35], v34 offset0:192 offset1:224
	ds_load_2addr_b64 v[40:43], v112 offset1:32
	ds_load_2addr_b64 v[56:59], v112 offset0:64 offset1:96
	ds_load_2addr_b64 v[108:111], v112 offset0:128 offset1:160
	;; [unrolled: 1-line block ×3, first 2 shown]
	v_dual_lshrrev_b32 v112, 16, v134 :: v_dual_lshrrev_b32 v117, 16, v135
	v_and_b32_e32 v134, 0xffff, v134
	v_mul_u32_u24_e32 v24, 0x10001, v142
	s_wait_dscnt 0x9
	v_pk_fma_f16 v6, v6, v28, v10
	v_pk_fma_f16 v7, v7, v28, v11
	;; [unrolled: 1-line block ×4, first 2 shown]
	v_mul_u32_u24_e32 v8, 0x10001, v134
	s_wait_dscnt 0x8
	v_pk_fma_f16 v2, v2, v24, v6
	v_pk_fma_f16 v3, v3, v24, v7
	;; [unrolled: 1-line block ×4, first 2 shown]
	v_and_b32_e32 v135, 0xffff, v135
	v_mul_u32_u24_e32 v4, 0x10001, v112
	s_wait_dscnt 0x7
	v_pk_fma_f16 v2, v18, v8, v2
	v_pk_fma_f16 v3, v19, v8, v3
	;; [unrolled: 1-line block ×4, first 2 shown]
	v_mul_u32_u24_e32 v5, 0x10001, v135
	s_wait_dscnt 0x6
	v_pk_fma_f16 v2, v14, v4, v2
	v_pk_fma_f16 v3, v15, v4, v3
	;; [unrolled: 1-line block ×4, first 2 shown]
	v_dual_lshrrev_b32 v143, 16, v136 :: v_dual_lshrrev_b32 v147, 16, v137
	v_and_b32_e32 v136, 0xffff, v136
	v_mul_u32_u24_e32 v4, 0x10001, v117
	s_wait_dscnt 0x5
	v_pk_fma_f16 v2, v22, v5, v2
	v_pk_fma_f16 v3, v23, v5, v3
	;; [unrolled: 1-line block ×4, first 2 shown]
	v_mul_u32_u24_e32 v5, 0x10001, v136
	s_wait_dscnt 0x4
	v_pk_fma_f16 v2, v34, v4, v2
	v_pk_fma_f16 v3, v35, v4, v3
	;; [unrolled: 1-line block ×4, first 2 shown]
	v_and_b32_e32 v137, 0xffff, v137
	v_mul_u32_u24_e32 v4, 0x10001, v143
	s_wait_dscnt 0x3
	v_pk_fma_f16 v2, v42, v5, v2
	v_pk_fma_f16 v3, v43, v5, v3
	v_pk_fma_f16 v0, v40, v5, v0
	v_pk_fma_f16 v1, v41, v5, v1
	v_mul_u32_u24_e32 v5, 0x10001, v137
	s_wait_dscnt 0x2
	v_pk_fma_f16 v2, v58, v4, v2
	v_pk_fma_f16 v3, v59, v4, v3
	v_pk_fma_f16 v0, v56, v4, v0
	v_pk_fma_f16 v1, v57, v4, v1
	;; [unrolled: 6-line block ×3, first 2 shown]
	v_fmac_f32_e32 v96, v97, v106
	s_wait_dscnt 0x0
	v_pk_fma_f16 v33, v120, v4, v2
	v_pk_fma_f16 v32, v121, v4, v3
	;; [unrolled: 1-line block ×4, first 2 shown]
	v_mov_b32_e32 v97, v96
	s_barrier_signal -1
	s_barrier_wait -1
.LBB52_22:
	v_cmp_lt_i32_e32 vcc_lo, v102, v105
	s_cmp_eq_u64 s[12:13], 0
	s_cselect_b32 s2, -1, 0
	s_cmp_lg_u32 s27, 0
	v_cndmask_b32_e32 v0, v99, v102, vcc_lo
	v_cmp_lt_i32_e32 vcc_lo, v100, v105
	s_cselect_b32 s3, -1, 0
	s_delay_alu instid0(SALU_CYCLE_1) | instskip(SKIP_3) | instid1(VALU_DEP_3)
	s_or_b32 s2, s3, s2
	v_cndmask_b32_e32 v1, v99, v100, vcc_lo
	v_lshlrev_b32_e32 v0, 2, v0
	v_cmp_lt_i32_e32 vcc_lo, v101, v105
	v_lshlrev_b32_e32 v1, 2, v1
	ds_bpermute_b32 v0, v0, v97
	v_cndmask_b32_e32 v2, v99, v101, vcc_lo
	v_cmp_lt_i32_e32 vcc_lo, v103, v105
	s_wait_dscnt 0x0
	v_add_f32_e32 v0, v97, v0
	ds_bpermute_b32 v1, v1, v0
	s_wait_dscnt 0x0
	v_dual_lshlrev_b32 v2, 2, v2 :: v_dual_add_f32 v0, v0, v1
	ds_bpermute_b32 v1, v2, v0
	v_cndmask_b32_e32 v2, v99, v103, vcc_lo
	v_cmp_lt_i32_e32 vcc_lo, v104, v105
	s_wait_dscnt 0x0
	s_delay_alu instid0(VALU_DEP_2) | instskip(SKIP_4) | instid1(VALU_DEP_1)
	v_dual_add_f32 v0, v0, v1 :: v_dual_lshlrev_b32 v2, 2, v2
	ds_bpermute_b32 v1, v2, v0
	s_wait_dscnt 0x0
	v_dual_add_f32 v0, v0, v1 :: v_dual_cndmask_b32 v2, v99, v104, vcc_lo
	s_and_b32 vcc_lo, exec_lo, s2
	v_lshlrev_b32_e32 v2, 2, v2
	ds_bpermute_b32 v1, v2, v0
	s_wait_dscnt 0x0
	v_add_f32_e32 v99, v0, v1
	s_cbranch_vccnz .LBB52_25
; %bb.23:
	v_mov_b32_e32 v0, s33
	global_load_b32 v1, v0, s[12:13] scale_offset
	s_wait_loadcnt 0x0
	v_dual_max_num_f32 v0, v98, v98 :: v_dual_max_num_f32 v2, v1, v1
	s_delay_alu instid0(VALU_DEP_1) | instskip(NEXT) | instid1(VALU_DEP_1)
	v_max_num_f32_e32 v0, v0, v2
	v_sub_f32_e32 v2, v98, v0
	s_delay_alu instid0(VALU_DEP_1) | instskip(SKIP_2) | instid1(VALU_DEP_3)
	v_mul_f32_e32 v3, 0x3fb8aa3b, v2
	v_sub_f32_e32 v1, v1, v0
	v_cmp_ngt_f32_e32 vcc_lo, 0xc2ce8ed0, v2
	v_fma_f32 v4, 0x3fb8aa3b, v2, -v3
	v_rndne_f32_e32 v5, v3
	s_delay_alu instid0(VALU_DEP_1) | instskip(SKIP_2) | instid1(VALU_DEP_3)
	v_dual_fmac_f32 v4, 0x32a5705f, v2 :: v_dual_sub_f32 v3, v3, v5
	v_mul_f32_e32 v6, 0x3fb8aa3b, v1
	v_cvt_i32_f32_e32 v5, v5
	v_add_f32_e32 v3, v3, v4
	s_delay_alu instid0(VALU_DEP_3) | instskip(SKIP_1) | instid1(VALU_DEP_3)
	v_fma_f32 v4, 0x3fb8aa3b, v1, -v6
	v_rndne_f32_e32 v7, v6
	v_exp_f32_e32 v3, v3
	v_nop
	s_delay_alu instid0(TRANS32_DEP_1) | instskip(NEXT) | instid1(VALU_DEP_3)
	v_ldexp_f32 v3, v3, v5
	v_cvt_i32_f32_e32 v5, v7
	s_delay_alu instid0(VALU_DEP_2) | instskip(SKIP_1) | instid1(VALU_DEP_2)
	v_cndmask_b32_e32 v3, 0, v3, vcc_lo
	v_cmp_nlt_f32_e32 vcc_lo, 0x42b17218, v2
	v_cndmask_b32_e32 v2, 0x7f800000, v3, vcc_lo
	v_sub_f32_e32 v6, v6, v7
	v_cmp_ngt_f32_e32 vcc_lo, 0xc2ce8ed0, v1
	v_fmac_f32_e32 v4, 0x32a5705f, v1
	s_delay_alu instid0(VALU_DEP_1) | instskip(NEXT) | instid1(VALU_DEP_1)
	v_add_f32_e32 v4, v6, v4
	v_exp_f32_e32 v4, v4
	v_nop
	s_delay_alu instid0(TRANS32_DEP_1) | instskip(SKIP_1) | instid1(VALU_DEP_2)
	v_ldexp_f32 v3, v4, v5
	v_cvt_f16_f32_e32 v4, v2
	v_cndmask_b32_e32 v3, 0, v3, vcc_lo
	v_cmp_nlt_f32_e32 vcc_lo, 0x42b17218, v1
	s_delay_alu instid0(VALU_DEP_3) | instskip(NEXT) | instid1(VALU_DEP_3)
	v_and_b32_e32 v4, 0xffff, v4
	v_cndmask_b32_e32 v1, 0x7f800000, v3, vcc_lo
	s_delay_alu instid0(VALU_DEP_2) | instskip(NEXT) | instid1(VALU_DEP_2)
	v_mul_u32_u24_e32 v3, 0x10001, v4
	v_fmac_f32_e32 v1, v99, v2
	s_delay_alu instid0(VALU_DEP_2)
	v_pk_mul_f16 v56, v56, v3
	v_pk_mul_f16 v120, v120, v3
	;; [unrolled: 1-line block ×4, first 2 shown]
	v_mov_b64_e32 v[98:99], v[0:1]
	s_mov_b32 s2, exec_lo
	v_cmpx_gt_i32_e64 s22, v114
	s_cbranch_execnz .LBB52_26
.LBB52_24:
	s_sendmsg sendmsg(MSG_DEALLOC_VGPRS)
	s_endpgm
.LBB52_25:
	s_delay_alu instid0(VALU_DEP_1)
	v_mov_b32_e32 v1, v99
	s_mov_b32 s2, exec_lo
	v_cmpx_gt_i32_e64 s22, v114
	s_cbranch_execz .LBB52_24
.LBB52_26:
	s_delay_alu instid0(VALU_DEP_2) | instskip(SKIP_3) | instid1(VALU_DEP_3)
	v_div_scale_f32 v2, null, v1, v1, 1.0
	v_mad_u32 v0, s28, s22, v114
	s_load_b32 s1, s[0:1], 0xd4
	v_div_scale_f32 v7, vcc_lo, 1.0, v1, 1.0
	v_rcp_f32_e32 v5, v2
	v_lshrrev_b32_e32 v16, 16, v33
	v_cvt_f32_f16_e32 v6, v120
	v_cvt_f32_f16_e32 v8, v33
	;; [unrolled: 1-line block ×3, first 2 shown]
	s_wait_xcnt 0x0
	v_cmp_eq_u32_e64 s0, 0, v115
	v_lshrrev_b32_e32 v11, 16, v56
	v_fma_f32 v3, -v2, v5, 1.0
	v_mad_u32 v0, v0, s23, s33
	v_lshrrev_b32_e32 v15, 16, v120
	s_delay_alu instid0(VALU_DEP_3) | instskip(NEXT) | instid1(VALU_DEP_1)
	v_dual_lshrrev_b32 v17, 16, v32 :: v_dual_fmac_f32 v5, v3, v5
	v_dual_mov_b32 v3, 0 :: v_dual_mul_f32 v9, v7, v5
	s_wait_kmcnt 0x0
	s_cmp_lg_u32 s1, 1
	s_delay_alu instid0(VALU_DEP_4) | instskip(SKIP_3) | instid1(VALU_DEP_1)
	v_mad_u32 v0, s1, v0, s27
	s_cselect_b32 s1, -1, 0
	v_fma_f32 v4, -v2, v9, v7
	s_and_b32 s0, s0, s1
	v_fmac_f32_e32 v9, v4, v5
	v_cvt_f32_f16_e32 v4, v56
	s_delay_alu instid0(VALU_DEP_2) | instskip(NEXT) | instid1(VALU_DEP_1)
	v_fma_f32 v2, -v2, v9, v7
	v_div_fmas_f32 v7, v2, v5, v9
	v_lshl_add_u32 v2, v0, 8, v116
	v_cvt_f32_f16_e32 v5, v11
	v_cvt_f32_f16_e32 v9, v16
	v_cvt_f32_f16_e32 v11, v17
	v_div_fixup_f32 v1, v7, v1, 1.0
	v_lshl_add_u64 v[12:13], v[2:3], 2, s[16:17]
	v_add_nc_u32_e32 v2, 0x80, v2
	v_cvt_f32_f16_e32 v7, v15
	s_delay_alu instid0(VALU_DEP_4) | instskip(NEXT) | instid1(VALU_DEP_3)
	v_cndmask_b32_e64 v14, v1, 1.0, s1
	v_lshl_add_u64 v[16:17], v[2:3], 2, s[16:17]
	s_delay_alu instid0(VALU_DEP_2) | instskip(NEXT) | instid1(VALU_DEP_4)
	v_pk_mul_f32 v[2:3], v[14:15], v[4:5] op_sel_hi:[0,1]
	v_pk_mul_f32 v[4:5], v[14:15], v[6:7] op_sel_hi:[0,1]
	;; [unrolled: 1-line block ×4, first 2 shown]
	s_clause 0x1
	global_store_b128 v[12:13], v[2:5], off
	global_store_b128 v[16:17], v[6:9], off
	s_wait_xcnt 0x0
	s_and_b32 exec_lo, exec_lo, s0
	s_cbranch_execz .LBB52_24
; %bb.27:
	global_store_b64 v0, v[98:99], s[18:19] scale_offset
	s_sendmsg sendmsg(MSG_DEALLOC_VGPRS)
	s_endpgm
	.section	.rodata,"a",@progbits
	.p2align	6, 0x0
	.amdhsa_kernel _ZL15flash_attn_tileILi256ELi256ELi4ELi1ELb0EEvPKcS1_S1_S1_S1_PKiPfP15HIP_vector_typeIfLj2EEffffjfiS5_IjLj3EEiiiiiiiiiiiliiliiiiil
		.amdhsa_group_segment_fixed_size 19200
		.amdhsa_private_segment_fixed_size 32
		.amdhsa_kernarg_size 464
		.amdhsa_user_sgpr_count 2
		.amdhsa_user_sgpr_dispatch_ptr 0
		.amdhsa_user_sgpr_queue_ptr 0
		.amdhsa_user_sgpr_kernarg_segment_ptr 1
		.amdhsa_user_sgpr_dispatch_id 0
		.amdhsa_user_sgpr_kernarg_preload_length 0
		.amdhsa_user_sgpr_kernarg_preload_offset 0
		.amdhsa_user_sgpr_private_segment_size 0
		.amdhsa_wavefront_size32 1
		.amdhsa_uses_dynamic_stack 0
		.amdhsa_enable_private_segment 1
		.amdhsa_system_sgpr_workgroup_id_x 1
		.amdhsa_system_sgpr_workgroup_id_y 1
		.amdhsa_system_sgpr_workgroup_id_z 1
		.amdhsa_system_sgpr_workgroup_info 0
		.amdhsa_system_vgpr_workitem_id 1
		.amdhsa_next_free_vgpr 159
		.amdhsa_next_free_sgpr 47
		.amdhsa_named_barrier_count 0
		.amdhsa_reserve_vcc 1
		.amdhsa_float_round_mode_32 0
		.amdhsa_float_round_mode_16_64 0
		.amdhsa_float_denorm_mode_32 3
		.amdhsa_float_denorm_mode_16_64 3
		.amdhsa_fp16_overflow 0
		.amdhsa_memory_ordered 1
		.amdhsa_forward_progress 1
		.amdhsa_inst_pref_size 104
		.amdhsa_round_robin_scheduling 0
		.amdhsa_exception_fp_ieee_invalid_op 0
		.amdhsa_exception_fp_denorm_src 0
		.amdhsa_exception_fp_ieee_div_zero 0
		.amdhsa_exception_fp_ieee_overflow 0
		.amdhsa_exception_fp_ieee_underflow 0
		.amdhsa_exception_fp_ieee_inexact 0
		.amdhsa_exception_int_div_zero 0
	.end_amdhsa_kernel
	.section	.text._ZL15flash_attn_tileILi256ELi256ELi4ELi1ELb0EEvPKcS1_S1_S1_S1_PKiPfP15HIP_vector_typeIfLj2EEffffjfiS5_IjLj3EEiiiiiiiiiiiliiliiiiil,"axG",@progbits,_ZL15flash_attn_tileILi256ELi256ELi4ELi1ELb0EEvPKcS1_S1_S1_S1_PKiPfP15HIP_vector_typeIfLj2EEffffjfiS5_IjLj3EEiiiiiiiiiiiliiliiiiil,comdat
.Lfunc_end52:
	.size	_ZL15flash_attn_tileILi256ELi256ELi4ELi1ELb0EEvPKcS1_S1_S1_S1_PKiPfP15HIP_vector_typeIfLj2EEffffjfiS5_IjLj3EEiiiiiiiiiiiliiliiiiil, .Lfunc_end52-_ZL15flash_attn_tileILi256ELi256ELi4ELi1ELb0EEvPKcS1_S1_S1_S1_PKiPfP15HIP_vector_typeIfLj2EEffffjfiS5_IjLj3EEiiiiiiiiiiiliiliiiiil
                                        ; -- End function
	.set _ZL15flash_attn_tileILi256ELi256ELi4ELi1ELb0EEvPKcS1_S1_S1_S1_PKiPfP15HIP_vector_typeIfLj2EEffffjfiS5_IjLj3EEiiiiiiiiiiiliiliiiiil.num_vgpr, 159
	.set _ZL15flash_attn_tileILi256ELi256ELi4ELi1ELb0EEvPKcS1_S1_S1_S1_PKiPfP15HIP_vector_typeIfLj2EEffffjfiS5_IjLj3EEiiiiiiiiiiiliiliiiiil.num_agpr, 0
	.set _ZL15flash_attn_tileILi256ELi256ELi4ELi1ELb0EEvPKcS1_S1_S1_S1_PKiPfP15HIP_vector_typeIfLj2EEffffjfiS5_IjLj3EEiiiiiiiiiiiliiliiiiil.numbered_sgpr, 47
	.set _ZL15flash_attn_tileILi256ELi256ELi4ELi1ELb0EEvPKcS1_S1_S1_S1_PKiPfP15HIP_vector_typeIfLj2EEffffjfiS5_IjLj3EEiiiiiiiiiiiliiliiiiil.num_named_barrier, 0
	.set _ZL15flash_attn_tileILi256ELi256ELi4ELi1ELb0EEvPKcS1_S1_S1_S1_PKiPfP15HIP_vector_typeIfLj2EEffffjfiS5_IjLj3EEiiiiiiiiiiiliiliiiiil.private_seg_size, 32
	.set _ZL15flash_attn_tileILi256ELi256ELi4ELi1ELb0EEvPKcS1_S1_S1_S1_PKiPfP15HIP_vector_typeIfLj2EEffffjfiS5_IjLj3EEiiiiiiiiiiiliiliiiiil.uses_vcc, 1
	.set _ZL15flash_attn_tileILi256ELi256ELi4ELi1ELb0EEvPKcS1_S1_S1_S1_PKiPfP15HIP_vector_typeIfLj2EEffffjfiS5_IjLj3EEiiiiiiiiiiiliiliiiiil.uses_flat_scratch, 1
	.set _ZL15flash_attn_tileILi256ELi256ELi4ELi1ELb0EEvPKcS1_S1_S1_S1_PKiPfP15HIP_vector_typeIfLj2EEffffjfiS5_IjLj3EEiiiiiiiiiiiliiliiiiil.has_dyn_sized_stack, 0
	.set _ZL15flash_attn_tileILi256ELi256ELi4ELi1ELb0EEvPKcS1_S1_S1_S1_PKiPfP15HIP_vector_typeIfLj2EEffffjfiS5_IjLj3EEiiiiiiiiiiiliiliiiiil.has_recursion, 0
	.set _ZL15flash_attn_tileILi256ELi256ELi4ELi1ELb0EEvPKcS1_S1_S1_S1_PKiPfP15HIP_vector_typeIfLj2EEffffjfiS5_IjLj3EEiiiiiiiiiiiliiliiiiil.has_indirect_call, 0
	.section	.AMDGPU.csdata,"",@progbits
; Kernel info:
; codeLenInByte = 13280
; TotalNumSgprs: 49
; NumVgprs: 159
; ScratchSize: 32
; MemoryBound: 0
; FloatMode: 240
; IeeeMode: 1
; LDSByteSize: 19200 bytes/workgroup (compile time only)
; SGPRBlocks: 0
; VGPRBlocks: 9
; NumSGPRsForWavesPerEU: 49
; NumVGPRsForWavesPerEU: 159
; NamedBarCnt: 0
; Occupancy: 6
; WaveLimiterHint : 1
; COMPUTE_PGM_RSRC2:SCRATCH_EN: 1
; COMPUTE_PGM_RSRC2:USER_SGPR: 2
; COMPUTE_PGM_RSRC2:TRAP_HANDLER: 0
; COMPUTE_PGM_RSRC2:TGID_X_EN: 1
; COMPUTE_PGM_RSRC2:TGID_Y_EN: 1
; COMPUTE_PGM_RSRC2:TGID_Z_EN: 1
; COMPUTE_PGM_RSRC2:TIDIG_COMP_CNT: 1
	.section	.text._ZL33flash_attn_stream_k_fixup_uniformILi256ELi4ELi1EEvPfPK15HIP_vector_typeIfLj2EEiiiiiiS1_IjLj3EES5_S5_,"axG",@progbits,_ZL33flash_attn_stream_k_fixup_uniformILi256ELi4ELi1EEvPfPK15HIP_vector_typeIfLj2EEiiiiiiS1_IjLj3EES5_S5_,comdat
	.globl	_ZL33flash_attn_stream_k_fixup_uniformILi256ELi4ELi1EEvPfPK15HIP_vector_typeIfLj2EEiiiiiiS1_IjLj3EES5_S5_ ; -- Begin function _ZL33flash_attn_stream_k_fixup_uniformILi256ELi4ELi1EEvPfPK15HIP_vector_typeIfLj2EEiiiiiiS1_IjLj3EES5_S5_
	.p2align	8
	.type	_ZL33flash_attn_stream_k_fixup_uniformILi256ELi4ELi1EEvPfPK15HIP_vector_typeIfLj2EEiiiiiiS1_IjLj3EES5_S5_,@function
_ZL33flash_attn_stream_k_fixup_uniformILi256ELi4ELi1EEvPfPK15HIP_vector_typeIfLj2EEiiiiiiS1_IjLj3EES5_S5_: ; @_ZL33flash_attn_stream_k_fixup_uniformILi256ELi4ELi1EEvPfPK15HIP_vector_typeIfLj2EEiiiiiiS1_IjLj3EES5_S5_
; %bb.0:
	s_load_b256 s[4:11], s[0:1], 0x1c
	s_bfe_u32 s2, ttmp6, 0x40014
	s_lshr_b32 s3, ttmp7, 16
	s_add_co_i32 s2, s2, 1
	s_bfe_u32 s13, ttmp6, 0x40010
	s_mul_i32 s2, s3, s2
	s_bfe_u32 s12, ttmp6, 0x40008
	s_and_b32 s14, ttmp7, 0xffff
	s_add_co_i32 s13, s13, 1
	s_bfe_u32 s15, ttmp6, 0x4000c
	s_add_co_i32 s2, s12, s2
	s_mul_i32 s12, s14, s13
	s_bfe_u32 s13, ttmp6, 0x40004
	s_add_co_i32 s15, s15, 1
	s_add_co_i32 s13, s13, s12
	s_and_b32 s12, ttmp6, 15
	s_mul_i32 s15, ttmp9, s15
	s_getreg_b32 s20, hwreg(HW_REG_IB_STS2, 6, 4)
	s_add_co_i32 s12, s12, s15
	s_load_b128 s[16:19], s[0:1], 0x3c
	s_cmp_eq_u32 s20, 0
	s_cselect_b32 s12, ttmp9, s12
	s_cselect_b32 s13, s14, s13
	s_wait_kmcnt 0x0
	s_mul_hi_u32 s7, s7, s12
	s_cselect_b32 s14, s3, s2
	s_add_co_i32 s2, s12, s7
	s_delay_alu instid0(SALU_CYCLE_1) | instskip(NEXT) | instid1(SALU_CYCLE_1)
	s_lshr_b32 s7, s2, s8
	s_mul_i32 s2, s7, s9
	s_delay_alu instid0(SALU_CYCLE_1) | instskip(NEXT) | instid1(SALU_CYCLE_1)
	s_sub_co_i32 s8, s12, s2
	s_mul_hi_u32 s2, s8, s10
	s_delay_alu instid0(SALU_CYCLE_1) | instskip(SKIP_2) | instid1(SALU_CYCLE_1)
	s_add_co_i32 s9, s8, s2
	s_load_b64 s[2:3], s[0:1], 0x10
	s_lshr_b32 s15, s9, s11
	s_mul_i32 s9, s15, s16
	s_delay_alu instid0(SALU_CYCLE_1) | instskip(NEXT) | instid1(SALU_CYCLE_1)
	s_sub_co_i32 s8, s8, s9
	s_mul_hi_u32 s9, s8, s17
	s_delay_alu instid0(SALU_CYCLE_1) | instskip(NEXT) | instid1(SALU_CYCLE_1)
	s_add_co_i32 s9, s8, s9
	s_lshr_b32 s16, s9, s18
	s_delay_alu instid0(SALU_CYCLE_1) | instskip(NEXT) | instid1(SALU_CYCLE_1)
	s_mul_i32 s9, s16, s19
	s_sub_co_i32 s17, s8, s9
	s_delay_alu instid0(SALU_CYCLE_1) | instskip(NEXT) | instid1(SALU_CYCLE_1)
	s_lshl_b32 s8, s17, 2
	s_add_co_i32 s8, s8, s13
	s_wait_kmcnt 0x0
	s_cmp_lt_i32 s8, s2
	s_cselect_b32 s8, -1, 0
	s_add_co_i32 s9, s16, s14
	s_delay_alu instid0(SALU_CYCLE_1) | instskip(SKIP_1) | instid1(SALU_CYCLE_1)
	s_cmp_lt_i32 s9, s5
	s_cselect_b32 s9, -1, 0
	s_and_b32 s8, s8, s9
	s_delay_alu instid0(SALU_CYCLE_1)
	s_and_not1_b32 vcc_lo, exec_lo, s8
	s_cbranch_vccnz .LBB53_6
; %bb.1:
	s_mul_i32 s2, s7, s2
	s_load_b128 s[8:11], s[0:1], 0x0
	s_wait_xcnt 0x0
	s_add_co_i32 s0, s2, s13
	s_mul_i32 s15, s15, s5
	s_mul_i32 s0, s0, s3
	;; [unrolled: 1-line block ×3, first 2 shown]
	s_add_co_i32 s0, s0, s14
	s_lshl_b32 s1, s1, 10
	s_add_co_i32 s0, s0, s15
	s_mul_i32 s7, s6, s12
	s_add_co_i32 s0, s0, s16
	s_add_co_i32 s5, s7, s6
	s_lshl_b32 s0, s0, 8
	s_add_co_i32 s13, s13, s14
	s_add_co_i32 s1, s1, s0
	s_lshl_b32 s0, s5, 2
	v_or_b32_e32 v4, s1, v0
	s_add_co_i32 s0, s13, s0
	s_add_co_i32 s2, s5, -2
	s_add_co_i32 s0, s0, -4
	s_delay_alu instid0(SALU_CYCLE_1)
	s_ashr_i32 s1, s0, 31
	s_wait_kmcnt 0x0
	global_load_b32 v3, v4, s[8:9] scale_offset
	s_lshl_b64 s[0:1], s[0:1], 3
	v_ashrrev_i32_e32 v5, 31, v4
	s_add_nc_u64 s[0:1], s[10:11], s[0:1]
	s_cmp_lt_i32 s2, s7
	s_load_b32 s14, s[0:1], 0x4
	s_cbranch_scc1 .LBB53_4
; %bb.2:
	s_wait_xcnt 0x0
	s_load_b32 s0, s[0:1], 0x0
	s_add_co_i32 s12, s12, 1
	s_lshl_b32 s3, s13, 8
	s_wait_xcnt 0x0
	s_mul_i32 s1, s6, s12
	s_lshl_b32 s2, s4, 4
	s_lshl_b32 s6, s1, 10
	;; [unrolled: 1-line block ×3, first 2 shown]
	s_add_co_i32 s6, s3, s6
	s_ashr_i32 s3, s2, 31
	s_wait_kmcnt 0x0
	v_dual_mov_b32 v2, s14 :: v_dual_bitop2_b32 v0, s6, v0 bitop3:0x54
	s_add_co_i32 s1, s13, s1
	s_lshl_b32 s4, s4, 2
	s_lshl_b64 s[2:3], s[2:3], 2
	s_delay_alu instid0(VALU_DEP_1)
	v_add_nc_u32_e32 v0, 0xfffff800, v0
	s_add_co_i32 s4, s1, s4
	s_add_nc_u64 s[2:3], s[10:11], s[2:3]
	s_add_co_i32 s1, s5, -1
	s_add_co_i32 s4, s4, -8
.LBB53_3:                               ; =>This Inner Loop Header: Depth=1
	global_load_b32 v7, v0, s[2:3] scale_offset
	s_ashr_i32 s5, s4, 31
	v_max_num_f32_e64 v1, s0, s0
	s_lshl_b64 s[12:13], s[4:5], 3
	s_delay_alu instid0(SALU_CYCLE_1) | instskip(SKIP_1) | instid1(VALU_DEP_1)
	s_add_nc_u64 s[12:13], s[10:11], s[12:13]
	s_load_b64 s[12:13], s[12:13], 0x0
	v_readfirstlane_b32 s5, v1
	v_add_nc_u32_e32 v0, 0xfffffc00, v0
	s_wait_kmcnt 0x0
	v_max_num_f32_e64 v1, s12, s12
	s_delay_alu instid0(VALU_DEP_1) | instskip(SKIP_1) | instid1(SALU_CYCLE_3)
	v_readfirstlane_b32 s6, v1
	s_max_num_f32 s5, s5, s6
	s_sub_f32 s0, s0, s5
	s_sub_f32 s6, s12, s5
	s_delay_alu instid0(SALU_CYCLE_2) | instskip(NEXT) | instid1(SALU_CYCLE_2)
	s_mul_f32 s12, s0, 0x3fb8aa3b
	s_mul_f32 s14, s6, 0x3fb8aa3b
	s_delay_alu instid0(SALU_CYCLE_2)
	s_xor_b32 s15, s12, 0x80000000
	s_rndne_f32 s16, s12
	s_fmamk_f32 s15, s0, 0x3fb8aa3b, s15
	s_cmp_nlt_f32 s0, 0xc2ce8ed0
	s_rndne_f32 s17, s14
	s_sub_f32 s12, s12, s16
	s_fmamk_f32 s15, s0, 0x32a5705f, s15
	s_cselect_b32 vcc_lo, -1, 0
	s_cmp_ngt_f32 s0, 0x42b17218
	s_delay_alu instid0(SALU_CYCLE_1) | instskip(SKIP_2) | instid1(SALU_CYCLE_1)
	s_add_f32 s12, s12, s15
	s_cvt_i32_f32 s15, s16
	s_sub_f32 s16, s14, s17
	v_s_exp_f32 s12, s12
	v_nop
	s_delay_alu instid0(TRANS32_DEP_1) | instskip(SKIP_1) | instid1(VALU_DEP_1)
	v_ldexp_f32 v1, s12, s15
	s_cvt_i32_f32 s12, s17
	v_cndmask_b32_e32 v1, 0, v1, vcc_lo
	s_cselect_b32 vcc_lo, -1, 0
	s_cmp_ge_f32 s0, 0xc1a00000
	s_delay_alu instid0(VALU_DEP_1)
	v_cndmask_b32_e32 v1, 0x7f800000, v1, vcc_lo
	s_cselect_b32 vcc_lo, -1, 0
	s_xor_b32 s0, s14, 0x80000000
	s_cmp_nlt_f32 s6, 0xc2ce8ed0
	s_fmamk_f32 s0, s6, 0x3fb8aa3b, s0
	v_cndmask_b32_e32 v10, 0, v1, vcc_lo
	s_delay_alu instid0(SALU_CYCLE_2) | instskip(NEXT) | instid1(SALU_CYCLE_3)
	s_fmamk_f32 s0, s6, 0x32a5705f, s0
	s_add_f32 s0, s16, s0
	s_delay_alu instid0(SALU_CYCLE_3) | instskip(SKIP_1) | instid1(TRANS32_DEP_1)
	v_s_exp_f32 s0, s0
	v_nop
	v_ldexp_f32 v6, s0, s12
	s_cselect_b32 s0, -1, 0
	s_cmp_ngt_f32 s6, 0x42b17218
	s_delay_alu instid0(VALU_DEP_1) | instskip(SKIP_2) | instid1(VALU_DEP_1)
	v_cndmask_b32_e64 v6, 0, v6, s0
	s_cselect_b32 s0, -1, 0
	s_cmp_ge_f32 s6, 0xc1a00000
	v_cndmask_b32_e64 v8, 0x7f800000, v6, s0
	s_cselect_b32 s0, -1, 0
	v_mov_b32_e32 v6, s13
	s_add_co_i32 s1, s1, -1
	s_add_co_i32 s4, s4, -4
	v_cndmask_b32_e64 v8, 0, v8, s0
	s_cmp_le_i32 s1, s7
	s_mov_b32 s0, s5
	s_wait_loadcnt 0x0
	s_delay_alu instid0(VALU_DEP_1) | instskip(NEXT) | instid1(VALU_DEP_1)
	v_pk_mul_f32 v[6:7], v[6:7], v[8:9] op_sel_hi:[1,0]
	v_pk_fma_f32 v[2:3], v[2:3], v[10:11], v[6:7] op_sel_hi:[1,0,1]
	s_cbranch_scc0 .LBB53_3
	s_branch .LBB53_5
.LBB53_4:
	s_wait_kmcnt 0x0
	v_mov_b32_e32 v2, s14
.LBB53_5:
	v_lshl_add_u64 v[0:1], v[4:5], 2, s[8:9]
	s_wait_loadcnt 0x0
	s_delay_alu instid0(VALU_DEP_2) | instskip(NEXT) | instid1(VALU_DEP_1)
	v_div_scale_f32 v4, null, v2, v2, v3
	v_rcp_f32_e32 v5, v4
	v_nop
	s_delay_alu instid0(TRANS32_DEP_1) | instskip(NEXT) | instid1(VALU_DEP_1)
	v_fma_f32 v6, -v4, v5, 1.0
	v_fmac_f32_e32 v5, v6, v5
	v_div_scale_f32 v6, vcc_lo, v3, v2, v3
	s_delay_alu instid0(VALU_DEP_1) | instskip(NEXT) | instid1(VALU_DEP_1)
	v_mul_f32_e32 v7, v6, v5
	v_fma_f32 v8, -v4, v7, v6
	s_delay_alu instid0(VALU_DEP_1) | instskip(NEXT) | instid1(VALU_DEP_1)
	v_fmac_f32_e32 v7, v8, v5
	v_fma_f32 v4, -v4, v7, v6
	s_delay_alu instid0(VALU_DEP_1) | instskip(NEXT) | instid1(VALU_DEP_1)
	v_div_fmas_f32 v4, v4, v5, v7
	v_div_fixup_f32 v2, v4, v2, v3
	global_store_b32 v[0:1], v2, off
.LBB53_6:
	s_endpgm
	.section	.rodata,"a",@progbits
	.p2align	6, 0x0
	.amdhsa_kernel _ZL33flash_attn_stream_k_fixup_uniformILi256ELi4ELi1EEvPfPK15HIP_vector_typeIfLj2EEiiiiiiS1_IjLj3EES5_S5_
		.amdhsa_group_segment_fixed_size 0
		.amdhsa_private_segment_fixed_size 0
		.amdhsa_kernarg_size 76
		.amdhsa_user_sgpr_count 2
		.amdhsa_user_sgpr_dispatch_ptr 0
		.amdhsa_user_sgpr_queue_ptr 0
		.amdhsa_user_sgpr_kernarg_segment_ptr 1
		.amdhsa_user_sgpr_dispatch_id 0
		.amdhsa_user_sgpr_kernarg_preload_length 0
		.amdhsa_user_sgpr_kernarg_preload_offset 0
		.amdhsa_user_sgpr_private_segment_size 0
		.amdhsa_wavefront_size32 1
		.amdhsa_uses_dynamic_stack 0
		.amdhsa_enable_private_segment 0
		.amdhsa_system_sgpr_workgroup_id_x 1
		.amdhsa_system_sgpr_workgroup_id_y 1
		.amdhsa_system_sgpr_workgroup_id_z 1
		.amdhsa_system_sgpr_workgroup_info 0
		.amdhsa_system_vgpr_workitem_id 0
		.amdhsa_next_free_vgpr 12
		.amdhsa_next_free_sgpr 21
		.amdhsa_named_barrier_count 0
		.amdhsa_reserve_vcc 1
		.amdhsa_float_round_mode_32 0
		.amdhsa_float_round_mode_16_64 0
		.amdhsa_float_denorm_mode_32 3
		.amdhsa_float_denorm_mode_16_64 3
		.amdhsa_fp16_overflow 0
		.amdhsa_memory_ordered 1
		.amdhsa_forward_progress 1
		.amdhsa_inst_pref_size 9
		.amdhsa_round_robin_scheduling 0
		.amdhsa_exception_fp_ieee_invalid_op 0
		.amdhsa_exception_fp_denorm_src 0
		.amdhsa_exception_fp_ieee_div_zero 0
		.amdhsa_exception_fp_ieee_overflow 0
		.amdhsa_exception_fp_ieee_underflow 0
		.amdhsa_exception_fp_ieee_inexact 0
		.amdhsa_exception_int_div_zero 0
	.end_amdhsa_kernel
	.section	.text._ZL33flash_attn_stream_k_fixup_uniformILi256ELi4ELi1EEvPfPK15HIP_vector_typeIfLj2EEiiiiiiS1_IjLj3EES5_S5_,"axG",@progbits,_ZL33flash_attn_stream_k_fixup_uniformILi256ELi4ELi1EEvPfPK15HIP_vector_typeIfLj2EEiiiiiiS1_IjLj3EES5_S5_,comdat
.Lfunc_end53:
	.size	_ZL33flash_attn_stream_k_fixup_uniformILi256ELi4ELi1EEvPfPK15HIP_vector_typeIfLj2EEiiiiiiS1_IjLj3EES5_S5_, .Lfunc_end53-_ZL33flash_attn_stream_k_fixup_uniformILi256ELi4ELi1EEvPfPK15HIP_vector_typeIfLj2EEiiiiiiS1_IjLj3EES5_S5_
                                        ; -- End function
	.set _ZL33flash_attn_stream_k_fixup_uniformILi256ELi4ELi1EEvPfPK15HIP_vector_typeIfLj2EEiiiiiiS1_IjLj3EES5_S5_.num_vgpr, 12
	.set _ZL33flash_attn_stream_k_fixup_uniformILi256ELi4ELi1EEvPfPK15HIP_vector_typeIfLj2EEiiiiiiS1_IjLj3EES5_S5_.num_agpr, 0
	.set _ZL33flash_attn_stream_k_fixup_uniformILi256ELi4ELi1EEvPfPK15HIP_vector_typeIfLj2EEiiiiiiS1_IjLj3EES5_S5_.numbered_sgpr, 21
	.set _ZL33flash_attn_stream_k_fixup_uniformILi256ELi4ELi1EEvPfPK15HIP_vector_typeIfLj2EEiiiiiiS1_IjLj3EES5_S5_.num_named_barrier, 0
	.set _ZL33flash_attn_stream_k_fixup_uniformILi256ELi4ELi1EEvPfPK15HIP_vector_typeIfLj2EEiiiiiiS1_IjLj3EES5_S5_.private_seg_size, 0
	.set _ZL33flash_attn_stream_k_fixup_uniformILi256ELi4ELi1EEvPfPK15HIP_vector_typeIfLj2EEiiiiiiS1_IjLj3EES5_S5_.uses_vcc, 1
	.set _ZL33flash_attn_stream_k_fixup_uniformILi256ELi4ELi1EEvPfPK15HIP_vector_typeIfLj2EEiiiiiiS1_IjLj3EES5_S5_.uses_flat_scratch, 0
	.set _ZL33flash_attn_stream_k_fixup_uniformILi256ELi4ELi1EEvPfPK15HIP_vector_typeIfLj2EEiiiiiiS1_IjLj3EES5_S5_.has_dyn_sized_stack, 0
	.set _ZL33flash_attn_stream_k_fixup_uniformILi256ELi4ELi1EEvPfPK15HIP_vector_typeIfLj2EEiiiiiiS1_IjLj3EES5_S5_.has_recursion, 0
	.set _ZL33flash_attn_stream_k_fixup_uniformILi256ELi4ELi1EEvPfPK15HIP_vector_typeIfLj2EEiiiiiiS1_IjLj3EES5_S5_.has_indirect_call, 0
	.section	.AMDGPU.csdata,"",@progbits
; Kernel info:
; codeLenInByte = 1080
; TotalNumSgprs: 23
; NumVgprs: 12
; ScratchSize: 0
; MemoryBound: 0
; FloatMode: 240
; IeeeMode: 1
; LDSByteSize: 0 bytes/workgroup (compile time only)
; SGPRBlocks: 0
; VGPRBlocks: 0
; NumSGPRsForWavesPerEU: 23
; NumVGPRsForWavesPerEU: 12
; NamedBarCnt: 0
; Occupancy: 16
; WaveLimiterHint : 0
; COMPUTE_PGM_RSRC2:SCRATCH_EN: 0
; COMPUTE_PGM_RSRC2:USER_SGPR: 2
; COMPUTE_PGM_RSRC2:TRAP_HANDLER: 0
; COMPUTE_PGM_RSRC2:TGID_X_EN: 1
; COMPUTE_PGM_RSRC2:TGID_Y_EN: 1
; COMPUTE_PGM_RSRC2:TGID_Z_EN: 1
; COMPUTE_PGM_RSRC2:TIDIG_COMP_CNT: 0
	.section	.text._ZL33flash_attn_stream_k_fixup_generalILi256ELi4ELi1EEvPfPK15HIP_vector_typeIfLj2EEiiiiS1_IjLj3EES5_S5_S5_,"axG",@progbits,_ZL33flash_attn_stream_k_fixup_generalILi256ELi4ELi1EEvPfPK15HIP_vector_typeIfLj2EEiiiiS1_IjLj3EES5_S5_S5_,comdat
	.globl	_ZL33flash_attn_stream_k_fixup_generalILi256ELi4ELi1EEvPfPK15HIP_vector_typeIfLj2EEiiiiS1_IjLj3EES5_S5_S5_ ; -- Begin function _ZL33flash_attn_stream_k_fixup_generalILi256ELi4ELi1EEvPfPK15HIP_vector_typeIfLj2EEiiiiS1_IjLj3EES5_S5_S5_
	.p2align	8
	.type	_ZL33flash_attn_stream_k_fixup_generalILi256ELi4ELi1EEvPfPK15HIP_vector_typeIfLj2EEiiiiS1_IjLj3EES5_S5_S5_,@function
_ZL33flash_attn_stream_k_fixup_generalILi256ELi4ELi1EEvPfPK15HIP_vector_typeIfLj2EEiiiiS1_IjLj3EES5_S5_S5_: ; @_ZL33flash_attn_stream_k_fixup_generalILi256ELi4ELi1EEvPfPK15HIP_vector_typeIfLj2EEiiiiS1_IjLj3EES5_S5_S5_
; %bb.0:
	s_clause 0x1
	s_load_b128 s[4:7], s[0:1], 0x10
	s_load_b32 s16, s[0:1], 0x50
	s_bfe_u32 s2, ttmp6, 0x4000c
	s_and_b32 s3, ttmp6, 15
	s_add_co_i32 s2, s2, 1
	s_getreg_b32 s15, hwreg(HW_REG_IB_STS2, 6, 4)
	s_mul_i32 s2, ttmp9, s2
	s_mov_b32 s17, 0
	s_add_co_i32 s3, s3, s2
	s_cmp_eq_u32 s15, 0
	s_cselect_b32 s2, ttmp9, s3
	s_delay_alu instid0(SALU_CYCLE_1) | instskip(SKIP_3) | instid1(SALU_CYCLE_1)
	s_ashr_i32 s3, s2, 31
	s_wait_kmcnt 0x0
	s_ashr_i32 s19, s7, 31
	s_mov_b32 s18, s7
	s_mul_u64 s[8:9], s[18:19], s[2:3]
	s_delay_alu instid0(SALU_CYCLE_1) | instskip(NEXT) | instid1(SALU_CYCLE_1)
	s_and_b64 s[10:11], s[8:9], 0xffffffff00000000
	s_cmp_lg_u64 s[10:11], 0
	s_cbranch_scc0 .LBB54_21
; %bb.1:
	s_add_nc_u64 s[10:11], s[16:17], 0
	s_mov_b32 s23, s17
	s_xor_b64 s[10:11], s[10:11], 0
	s_mov_b32 s27, s17
	s_cvt_f32_u32 s3, s10
	s_cvt_f32_u32 s7, s11
	s_sub_nc_u64 s[20:21], 0, s[10:11]
	s_delay_alu instid0(SALU_CYCLE_2) | instskip(NEXT) | instid1(SALU_CYCLE_3)
	s_fmamk_f32 s3, s7, 0x4f800000, s3
	v_s_rcp_f32 s3, s3
	s_delay_alu instid0(TRANS32_DEP_1) | instskip(NEXT) | instid1(SALU_CYCLE_3)
	s_mul_f32 s3, s3, 0x5f7ffffc
	s_mul_f32 s7, s3, 0x2f800000
	s_delay_alu instid0(SALU_CYCLE_3) | instskip(NEXT) | instid1(SALU_CYCLE_3)
	s_trunc_f32 s7, s7
	s_fmamk_f32 s3, s7, 0xcf800000, s3
	s_cvt_u32_f32 s13, s7
	s_delay_alu instid0(SALU_CYCLE_2) | instskip(NEXT) | instid1(SALU_CYCLE_3)
	s_cvt_u32_f32 s12, s3
	s_mul_u64 s[24:25], s[20:21], s[12:13]
	s_delay_alu instid0(SALU_CYCLE_1)
	s_mul_hi_u32 s29, s12, s25
	s_mul_i32 s28, s12, s25
	s_mul_hi_u32 s22, s12, s24
	s_mul_i32 s7, s13, s24
	s_add_nc_u64 s[22:23], s[22:23], s[28:29]
	s_mul_hi_u32 s3, s13, s24
	s_mul_hi_u32 s14, s13, s25
	s_add_co_u32 s7, s22, s7
	s_add_co_ci_u32 s26, s23, s3
	s_mul_i32 s24, s13, s25
	s_add_co_ci_u32 s25, s14, 0
	s_delay_alu instid0(SALU_CYCLE_1) | instskip(SKIP_3) | instid1(SALU_CYCLE_1)
	s_add_nc_u64 s[22:23], s[26:27], s[24:25]
	s_mov_b32 s25, s17
	s_add_co_u32 s12, s12, s22
	s_cselect_b32 s3, -1, 0
	s_cmp_lg_u32 s3, 0
	s_add_co_ci_u32 s13, s13, s23
	s_mov_b32 s23, s17
	s_mul_u64 s[20:21], s[20:21], s[12:13]
	s_delay_alu instid0(SALU_CYCLE_1)
	s_mul_hi_u32 s27, s12, s21
	s_mul_i32 s26, s12, s21
	s_mul_hi_u32 s22, s12, s20
	s_mul_i32 s7, s13, s20
	s_add_nc_u64 s[22:23], s[22:23], s[26:27]
	s_mul_hi_u32 s3, s13, s20
	s_mul_hi_u32 s14, s13, s21
	s_add_co_u32 s7, s22, s7
	s_add_co_ci_u32 s24, s23, s3
	s_mul_i32 s20, s13, s21
	s_add_co_ci_u32 s21, s14, 0
	s_mov_b32 s23, s17
	s_add_nc_u64 s[20:21], s[24:25], s[20:21]
	s_delay_alu instid0(SALU_CYCLE_1) | instskip(SKIP_1) | instid1(SALU_CYCLE_1)
	s_add_co_u32 s3, s12, s20
	s_cselect_b32 s7, -1, 0
	s_cmp_lg_u32 s7, 0
	s_add_co_ci_u32 s7, s13, s21
	s_ashr_i32 s12, s9, 31
	s_delay_alu instid0(SALU_CYCLE_1) | instskip(NEXT) | instid1(SALU_CYCLE_1)
	s_mov_b32 s13, s12
	s_add_nc_u64 s[20:21], s[8:9], s[12:13]
	s_delay_alu instid0(SALU_CYCLE_1) | instskip(NEXT) | instid1(SALU_CYCLE_1)
	s_xor_b64 s[20:21], s[20:21], s[12:13]
	s_mul_hi_u32 s27, s20, s7
	s_mul_i32 s26, s20, s7
	s_mul_hi_u32 s22, s20, s3
	s_mul_hi_u32 s14, s21, s3
	s_mul_i32 s3, s21, s3
	s_add_nc_u64 s[22:23], s[22:23], s[26:27]
	s_mul_hi_u32 s9, s21, s7
	s_add_co_u32 s3, s22, s3
	s_add_co_ci_u32 s24, s23, s14
	s_mul_i32 s26, s21, s7
	s_add_co_ci_u32 s27, s9, 0
	s_delay_alu instid0(SALU_CYCLE_1) | instskip(NEXT) | instid1(SALU_CYCLE_1)
	s_add_nc_u64 s[22:23], s[24:25], s[26:27]
	s_and_b64 s[24:25], s[22:23], 0xffffffff00000000
	s_delay_alu instid0(SALU_CYCLE_1) | instskip(NEXT) | instid1(SALU_CYCLE_1)
	s_or_b32 s24, s24, s22
	s_mul_u64 s[22:23], s[10:11], s[24:25]
	s_add_nc_u64 s[26:27], s[24:25], 1
	s_sub_co_u32 s3, s20, s22
	s_cselect_b32 s7, -1, 0
	s_sub_co_i32 s9, s21, s23
	s_cmp_lg_u32 s7, 0
	s_add_nc_u64 s[28:29], s[24:25], 2
	s_sub_co_ci_u32 s9, s9, s11
	s_sub_co_u32 s14, s3, s10
	s_cselect_b32 s20, -1, 0
	s_delay_alu instid0(SALU_CYCLE_1) | instskip(SKIP_1) | instid1(SALU_CYCLE_1)
	s_cmp_lg_u32 s20, 0
	s_sub_co_ci_u32 s9, s9, 0
	s_cmp_ge_u32 s9, s11
	s_cselect_b32 s20, -1, 0
	s_cmp_ge_u32 s14, s10
	s_cselect_b32 s14, -1, 0
	s_cmp_eq_u32 s9, s11
	s_cselect_b32 s9, s14, s20
	s_delay_alu instid0(SALU_CYCLE_1) | instskip(SKIP_4) | instid1(SALU_CYCLE_1)
	s_cmp_lg_u32 s9, 0
	s_cselect_b32 s9, s28, s26
	s_cselect_b32 s14, s29, s27
	s_cmp_lg_u32 s7, 0
	s_sub_co_ci_u32 s7, s21, s23
	s_cmp_ge_u32 s7, s11
	s_cselect_b32 s20, -1, 0
	s_cmp_ge_u32 s3, s10
	s_cselect_b32 s3, -1, 0
	s_cmp_eq_u32 s7, s11
	s_cselect_b32 s3, s3, s20
	s_delay_alu instid0(SALU_CYCLE_1) | instskip(SKIP_4) | instid1(SALU_CYCLE_1)
	s_cmp_lg_u32 s3, 0
	s_mov_b32 s3, s17
	s_cselect_b32 s11, s14, s25
	s_cselect_b32 s10, s9, s24
	s_xor_b64 s[12:13], s[12:13], 0
	s_xor_b64 s[10:11], s[10:11], s[12:13]
	s_delay_alu instid0(SALU_CYCLE_1)
	s_sub_nc_u64 s[20:21], s[10:11], s[12:13]
	s_and_not1_b32 vcc_lo, exec_lo, s3
	s_cbranch_vccnz .LBB54_3
.LBB54_2:
	v_cvt_f32_u32_e32 v1, s16
	s_sub_co_i32 s7, 0, s16
	s_mov_b32 s21, 0
	s_delay_alu instid0(VALU_DEP_1) | instskip(SKIP_1) | instid1(TRANS32_DEP_1)
	v_rcp_iflag_f32_e32 v1, v1
	v_nop
	v_mul_f32_e32 v1, 0x4f7ffffe, v1
	s_delay_alu instid0(VALU_DEP_1) | instskip(NEXT) | instid1(VALU_DEP_1)
	v_cvt_u32_f32_e32 v1, v1
	v_readfirstlane_b32 s3, v1
	s_mul_i32 s7, s7, s3
	s_delay_alu instid0(SALU_CYCLE_1) | instskip(NEXT) | instid1(SALU_CYCLE_1)
	s_mul_hi_u32 s7, s3, s7
	s_add_co_i32 s3, s3, s7
	s_delay_alu instid0(SALU_CYCLE_1) | instskip(NEXT) | instid1(SALU_CYCLE_1)
	s_mul_hi_u32 s3, s8, s3
	s_mul_i32 s7, s3, s16
	s_delay_alu instid0(SALU_CYCLE_1)
	s_sub_co_i32 s7, s8, s7
	s_add_co_i32 s8, s3, 1
	s_sub_co_i32 s9, s7, s16
	s_cmp_ge_u32 s7, s16
	s_cselect_b32 s3, s8, s3
	s_cselect_b32 s7, s9, s7
	s_add_co_i32 s8, s3, 1
	s_cmp_ge_u32 s7, s16
	s_cselect_b32 s20, s8, s3
.LBB54_3:
	s_add_co_i32 s8, s2, 1
	s_delay_alu instid0(SALU_CYCLE_1) | instskip(NEXT) | instid1(SALU_CYCLE_1)
	s_ashr_i32 s9, s8, 31
	s_mul_u64 s[8:9], s[18:19], s[8:9]
	s_delay_alu instid0(SALU_CYCLE_1) | instskip(NEXT) | instid1(SALU_CYCLE_1)
	s_and_b64 s[10:11], s[8:9], 0xffffffff00000000
	s_cmp_lg_u64 s[10:11], 0
	s_cbranch_scc0 .LBB54_22
; %bb.4:
	s_add_nc_u64 s[10:11], s[16:17], 0
	s_delay_alu instid0(SALU_CYCLE_1) | instskip(SKIP_4) | instid1(SALU_CYCLE_2)
	s_xor_b64 s[12:13], s[10:11], 0
	s_mov_b32 s11, 0
	s_cvt_f32_u32 s3, s12
	s_cvt_f32_u32 s7, s13
	s_sub_nc_u64 s[24:25], 0, s[12:13]
	s_fmamk_f32 s3, s7, 0x4f800000, s3
	s_delay_alu instid0(SALU_CYCLE_3) | instskip(NEXT) | instid1(TRANS32_DEP_1)
	v_s_rcp_f32 s3, s3
	s_mul_f32 s3, s3, 0x5f7ffffc
	s_delay_alu instid0(SALU_CYCLE_3) | instskip(NEXT) | instid1(SALU_CYCLE_3)
	s_mul_f32 s7, s3, 0x2f800000
	s_trunc_f32 s7, s7
	s_delay_alu instid0(SALU_CYCLE_3) | instskip(SKIP_1) | instid1(SALU_CYCLE_2)
	s_fmamk_f32 s3, s7, 0xcf800000, s3
	s_cvt_u32_f32 s23, s7
	s_cvt_u32_f32 s22, s3
	s_delay_alu instid0(SALU_CYCLE_3) | instskip(NEXT) | instid1(SALU_CYCLE_1)
	s_mul_u64 s[26:27], s[24:25], s[22:23]
	s_mul_hi_u32 s29, s22, s27
	s_mul_i32 s28, s22, s27
	s_mul_hi_u32 s10, s22, s26
	s_mul_i32 s7, s23, s26
	s_add_nc_u64 s[28:29], s[10:11], s[28:29]
	s_mul_hi_u32 s3, s23, s26
	s_mul_hi_u32 s14, s23, s27
	s_add_co_u32 s7, s28, s7
	s_add_co_ci_u32 s10, s29, s3
	s_mul_i32 s26, s23, s27
	s_add_co_ci_u32 s27, s14, 0
	s_delay_alu instid0(SALU_CYCLE_1) | instskip(NEXT) | instid1(SALU_CYCLE_1)
	s_add_nc_u64 s[26:27], s[10:11], s[26:27]
	s_add_co_u32 s22, s22, s26
	s_cselect_b32 s3, -1, 0
	s_delay_alu instid0(SALU_CYCLE_1) | instskip(SKIP_1) | instid1(SALU_CYCLE_1)
	s_cmp_lg_u32 s3, 0
	s_add_co_ci_u32 s23, s23, s27
	s_mul_u64 s[24:25], s[24:25], s[22:23]
	s_delay_alu instid0(SALU_CYCLE_1)
	s_mul_hi_u32 s27, s22, s25
	s_mul_i32 s26, s22, s25
	s_mul_hi_u32 s10, s22, s24
	s_mul_i32 s7, s23, s24
	s_add_nc_u64 s[26:27], s[10:11], s[26:27]
	s_mul_hi_u32 s3, s23, s24
	s_mul_hi_u32 s14, s23, s25
	s_add_co_u32 s7, s26, s7
	s_add_co_ci_u32 s10, s27, s3
	s_mul_i32 s24, s23, s25
	s_add_co_ci_u32 s25, s14, 0
	s_delay_alu instid0(SALU_CYCLE_1) | instskip(NEXT) | instid1(SALU_CYCLE_1)
	s_add_nc_u64 s[24:25], s[10:11], s[24:25]
	s_add_co_u32 s3, s22, s24
	s_cselect_b32 s7, -1, 0
	s_delay_alu instid0(SALU_CYCLE_1) | instskip(SKIP_2) | instid1(SALU_CYCLE_1)
	s_cmp_lg_u32 s7, 0
	s_add_co_ci_u32 s7, s23, s25
	s_ashr_i32 s22, s9, 31
	s_mov_b32 s23, s22
	s_delay_alu instid0(SALU_CYCLE_1) | instskip(NEXT) | instid1(SALU_CYCLE_1)
	s_add_nc_u64 s[24:25], s[8:9], s[22:23]
	s_xor_b64 s[24:25], s[24:25], s[22:23]
	s_delay_alu instid0(SALU_CYCLE_1)
	s_mul_hi_u32 s27, s24, s7
	s_mul_i32 s26, s24, s7
	s_mul_hi_u32 s10, s24, s3
	s_mul_hi_u32 s14, s25, s3
	s_mul_i32 s3, s25, s3
	s_add_nc_u64 s[26:27], s[10:11], s[26:27]
	s_mul_hi_u32 s9, s25, s7
	s_add_co_u32 s3, s26, s3
	s_add_co_ci_u32 s10, s27, s14
	s_mul_i32 s28, s25, s7
	s_add_co_ci_u32 s29, s9, 0
	s_delay_alu instid0(SALU_CYCLE_1) | instskip(NEXT) | instid1(SALU_CYCLE_1)
	s_add_nc_u64 s[26:27], s[10:11], s[28:29]
	s_and_b64 s[28:29], s[26:27], 0xffffffff00000000
	s_delay_alu instid0(SALU_CYCLE_1) | instskip(NEXT) | instid1(SALU_CYCLE_1)
	s_or_b32 s28, s28, s26
	s_mul_u64 s[26:27], s[12:13], s[28:29]
	s_add_nc_u64 s[30:31], s[28:29], 1
	s_sub_co_u32 s3, s24, s26
	s_cselect_b32 s7, -1, 0
	s_sub_co_i32 s9, s25, s27
	s_cmp_lg_u32 s7, 0
	s_add_nc_u64 s[34:35], s[28:29], 2
	s_sub_co_ci_u32 s9, s9, s13
	s_sub_co_u32 s10, s3, s12
	s_cselect_b32 s14, -1, 0
	s_delay_alu instid0(SALU_CYCLE_1) | instskip(SKIP_1) | instid1(SALU_CYCLE_1)
	s_cmp_lg_u32 s14, 0
	s_sub_co_ci_u32 s9, s9, 0
	s_cmp_ge_u32 s9, s13
	s_cselect_b32 s14, -1, 0
	s_cmp_ge_u32 s10, s12
	s_cselect_b32 s10, -1, 0
	s_cmp_eq_u32 s9, s13
	s_cselect_b32 s9, s10, s14
	s_delay_alu instid0(SALU_CYCLE_1) | instskip(SKIP_4) | instid1(SALU_CYCLE_1)
	s_cmp_lg_u32 s9, 0
	s_cselect_b32 s9, s34, s30
	s_cselect_b32 s10, s35, s31
	s_cmp_lg_u32 s7, 0
	s_sub_co_ci_u32 s7, s25, s27
	s_cmp_ge_u32 s7, s13
	s_cselect_b32 s14, -1, 0
	s_cmp_ge_u32 s3, s12
	s_cselect_b32 s3, -1, 0
	s_cmp_eq_u32 s7, s13
	s_cselect_b32 s3, s3, s14
	s_delay_alu instid0(SALU_CYCLE_1) | instskip(SKIP_3) | instid1(SALU_CYCLE_1)
	s_cmp_lg_u32 s3, 0
	s_cselect_b32 s13, s10, s29
	s_cselect_b32 s12, s9, s28
	s_xor_b64 s[22:23], s[22:23], 0
	s_xor_b64 s[12:13], s[12:13], s[22:23]
	s_delay_alu instid0(SALU_CYCLE_1)
	s_sub_nc_u64 s[24:25], s[12:13], s[22:23]
	s_load_b96 s[12:14], s[0:1], 0x44
	s_cbranch_execnz .LBB54_6
.LBB54_5:
	v_cvt_f32_u32_e32 v1, s16
	s_sub_co_i32 s7, 0, s16
	s_delay_alu instid0(VALU_DEP_1) | instskip(SKIP_1) | instid1(TRANS32_DEP_1)
	v_rcp_iflag_f32_e32 v1, v1
	v_nop
	v_mul_f32_e32 v1, 0x4f7ffffe, v1
	s_delay_alu instid0(VALU_DEP_1) | instskip(NEXT) | instid1(VALU_DEP_1)
	v_cvt_u32_f32_e32 v1, v1
	v_readfirstlane_b32 s3, v1
	s_mul_i32 s7, s7, s3
	s_delay_alu instid0(SALU_CYCLE_1) | instskip(NEXT) | instid1(SALU_CYCLE_1)
	s_mul_hi_u32 s7, s3, s7
	s_add_co_i32 s3, s3, s7
	s_delay_alu instid0(SALU_CYCLE_1) | instskip(NEXT) | instid1(SALU_CYCLE_1)
	s_mul_hi_u32 s3, s8, s3
	s_mul_i32 s7, s3, s16
	s_delay_alu instid0(SALU_CYCLE_1)
	s_sub_co_i32 s7, s8, s7
	s_add_co_i32 s8, s3, 1
	s_sub_co_i32 s9, s7, s16
	s_cmp_ge_u32 s7, s16
	s_cselect_b32 s3, s8, s3
	s_cselect_b32 s7, s9, s7
	s_add_co_i32 s8, s3, 1
	s_cmp_ge_u32 s7, s16
	s_cselect_b32 s24, s8, s3
.LBB54_6:
	s_delay_alu instid0(SALU_CYCLE_1)
	s_cmp_eq_u32 s20, s24
	s_mov_b64 s[8:9], 0xffffffff
	s_cselect_b32 s3, -1, 0
	s_and_b64 s[8:9], s[20:21], s[8:9]
	s_mov_b32 s23, 0
	s_wait_kmcnt 0x0
	s_mov_b32 s22, s12
	s_mov_b32 s25, s23
	s_mul_u64 s[10:11], s[8:9], s[22:23]
	s_delay_alu instid0(SALU_CYCLE_1) | instskip(SKIP_2) | instid1(SALU_CYCLE_1)
	s_add_co_i32 s7, s11, s20
	s_mul_u64 s[10:11], s[24:25], s[22:23]
	s_lshr_b32 s12, s7, s13
	s_mul_i32 s7, s12, s14
	s_delay_alu instid0(SALU_CYCLE_1) | instskip(SKIP_2) | instid1(SALU_CYCLE_1)
	s_cmp_eq_u32 s7, s20
	s_cselect_b32 s7, -1, 0
	s_add_co_i32 s10, s11, s24
	s_lshr_b32 s10, s10, s13
	s_delay_alu instid0(SALU_CYCLE_1)
	s_cmp_eq_u32 s12, s10
	s_mul_i32 s10, s10, s14
	s_cselect_b32 s11, -1, 0
	s_cmp_lg_u32 s10, s24
	s_cselect_b32 s10, -1, 0
	s_or_b32 s3, s3, s7
	s_and_b32 s10, s11, s10
	s_delay_alu instid0(SALU_CYCLE_1) | instskip(NEXT) | instid1(SALU_CYCLE_1)
	s_or_b32 s3, s3, s10
	s_and_b32 vcc_lo, exec_lo, s3
	s_cbranch_vccnz .LBB54_24
; %bb.7:
	s_load_b256 s[24:31], s[0:1], 0x20
	s_bfe_u32 s7, ttmp6, 0x40014
	s_bfe_u32 s33, ttmp6, 0x40010
	s_lshr_b32 s3, ttmp7, 16
	s_add_co_i32 s7, s7, 1
	s_and_b32 s21, ttmp7, 0xffff
	s_add_co_i32 s33, s33, 1
	s_bfe_u32 s10, ttmp6, 0x40008
	s_mul_i32 s7, s3, s7
	s_bfe_u32 s34, ttmp6, 0x40004
	s_mul_i32 s33, s21, s33
	s_mov_b32 s11, s23
	s_add_co_i32 s7, s10, s7
	s_add_co_i32 s34, s34, s33
	s_cmp_eq_u32 s15, 0
	s_cselect_b32 s15, s21, s34
	s_cselect_b32 s3, s3, s7
	s_wait_kmcnt 0x0
	s_mov_b32 s10, s24
	s_delay_alu instid0(SALU_CYCLE_1) | instskip(SKIP_2) | instid1(SALU_CYCLE_1)
	s_mul_u64 s[8:9], s[8:9], s[10:11]
	s_load_b32 s8, s[0:1], 0x40
	s_add_co_i32 s7, s9, s20
	s_lshr_b32 s7, s7, s25
	s_delay_alu instid0(SALU_CYCLE_1) | instskip(NEXT) | instid1(SALU_CYCLE_1)
	s_mul_i32 s9, s7, s26
	s_sub_co_i32 s9, s20, s9
	s_delay_alu instid0(SALU_CYCLE_1) | instskip(NEXT) | instid1(SALU_CYCLE_1)
	s_mul_hi_u32 s10, s9, s27
	s_add_co_i32 s10, s9, s10
	s_delay_alu instid0(SALU_CYCLE_1) | instskip(NEXT) | instid1(SALU_CYCLE_1)
	s_lshr_b32 s21, s10, s28
	s_mul_i32 s10, s21, s29
	s_delay_alu instid0(SALU_CYCLE_1) | instskip(NEXT) | instid1(SALU_CYCLE_1)
	s_sub_co_i32 s10, s9, s10
	s_mul_hi_u32 s9, s10, s30
	s_delay_alu instid0(SALU_CYCLE_1) | instskip(NEXT) | instid1(SALU_CYCLE_1)
	s_add_co_i32 s9, s10, s9
	s_lshr_b32 s24, s9, s31
	s_mov_b32 s9, s23
	s_wait_kmcnt 0x0
	s_mul_i32 s8, s24, s8
	s_delay_alu instid0(SALU_CYCLE_1) | instskip(NEXT) | instid1(SALU_CYCLE_1)
	s_sub_co_i32 s8, s10, s8
	s_mul_u64 s[10:11], s[8:9], s[22:23]
	s_delay_alu instid0(SALU_CYCLE_1) | instskip(NEXT) | instid1(SALU_CYCLE_1)
	s_add_co_i32 s8, s8, s11
	s_lshr_b32 s25, s8, s13
	s_delay_alu instid0(SALU_CYCLE_1) | instskip(NEXT) | instid1(SALU_CYCLE_1)
	s_lshl_b32 s8, s25, 2
	s_add_co_i32 s8, s8, s15
	s_delay_alu instid0(SALU_CYCLE_1) | instskip(SKIP_2) | instid1(SALU_CYCLE_1)
	s_cmp_lt_i32 s8, s4
	s_cselect_b32 s8, -1, 0
	s_add_co_i32 s9, s24, s3
	s_cmp_lt_i32 s9, s6
	s_cselect_b32 s9, -1, 0
	s_delay_alu instid0(SALU_CYCLE_1) | instskip(NEXT) | instid1(SALU_CYCLE_1)
	s_and_b32 s8, s8, s9
	s_and_not1_b32 vcc_lo, exec_lo, s8
	s_cbranch_vccnz .LBB54_24
; %bb.8:
	s_mul_i32 s4, s7, s4
	s_load_b128 s[8:11], s[0:1], 0x0
	s_wait_xcnt 0x0
	s_add_co_i32 s0, s4, s15
	s_mul_i32 s21, s21, s6
	s_mul_i32 s0, s0, s5
	s_mul_i32 s1, s5, s25
	s_add_co_i32 s0, s0, s3
	s_lshl_b32 s1, s1, 10
	s_add_co_i32 s0, s0, s21
	s_add_co_i32 s15, s15, s3
	;; [unrolled: 1-line block ×3, first 2 shown]
	v_lshl_or_b32 v6, s15, 8, v0
	s_lshl_b32 s0, s0, 8
	v_cvt_f32_u32_e32 v4, s16
	s_add_co_i32 s1, s1, s0
	s_lshl_b32 s24, s16, 4
	v_or_b32_e32 v2, s1, v0
	s_add_nc_u64 s[0:1], s[16:17], 0
	v_rcp_iflag_f32_e32 v4, v4
	s_xor_b64 s[6:7], s[0:1], 0
	s_lshl_b32 s0, s2, 2
	s_cvt_f32_u32 s3, s6
	s_add_co_i32 s0, s0, s15
	s_cvt_f32_u32 s4, s7
	s_ashr_i32 s1, s0, 31
	s_mov_b32 s25, 0
	s_lshl_b64 s[0:1], s[0:1], 3
	s_fmamk_f32 s3, s4, 0x4f800000, s3
	s_wait_kmcnt 0x0
	s_add_nc_u64 s[0:1], s[10:11], s[0:1]
	s_add_co_i32 s36, s2, -1
	s_load_b64 s[28:29], s[0:1], 0x0
	v_s_rcp_f32 s3, s3
	s_wait_xcnt 0x0
	s_lshl_b64 s[0:1], s[24:25], 2
	s_sub_nc_u64 s[34:35], 0, s[6:7]
	s_add_nc_u64 s[26:27], s[10:11], s[0:1]
	v_mul_f32_e32 v4, 0x4f7ffffe, v4
	s_delay_alu instid0(TRANS32_DEP_1) | instskip(NEXT) | instid1(VALU_DEP_1)
	s_mul_f32 s3, s3, 0x5f7ffffc
	v_cvt_u32_f32_e32 v7, v4
	s_delay_alu instid0(SALU_CYCLE_2) | instskip(NEXT) | instid1(SALU_CYCLE_3)
	s_mul_f32 s4, s3, 0x2f800000
	s_trunc_f32 s4, s4
	s_wait_kmcnt 0x0
	v_mov_b32_e32 v0, s29
	global_load_b32 v1, v2, s[8:9] scale_offset
	v_ashrrev_i32_e32 v3, 31, v2
	s_fmamk_f32 s0, s4, 0xcf800000, s3
	s_cvt_u32_f32 s31, s4
	s_wait_xcnt 0x0
	s_delay_alu instid0(VALU_DEP_1)
	v_lshl_add_u64 v[2:3], v[2:3], 2, s[8:9]
	s_cvt_u32_f32 s30, s0
	s_mov_b64 s[8:9], 0xffffffff
.LBB54_9:                               ; =>This Inner Loop Header: Depth=1
	s_ashr_i32 s37, s36, 31
                                        ; implicit-def: $sgpr40_sgpr41
	s_delay_alu instid0(SALU_CYCLE_1) | instskip(NEXT) | instid1(SALU_CYCLE_1)
	s_mul_u64 s[0:1], s[36:37], s[18:19]
	s_and_b64 s[2:3], s[0:1], 0xffffffff00000000
	s_delay_alu instid0(SALU_CYCLE_1)
	s_cmp_lg_u64 s[2:3], 0
	s_mov_b32 s2, -1
	s_cbranch_scc0 .LBB54_11
; %bb.10:                               ;   in Loop: Header=BB54_9 Depth=1
	s_mul_u64 s[2:3], s[34:35], s[30:31]
	s_delay_alu instid0(SALU_CYCLE_1)
	s_mul_hi_u32 s5, s30, s3
	s_mul_i32 s4, s30, s3
	s_mul_hi_u32 s24, s30, s2
	s_mul_hi_u32 s17, s31, s2
	s_add_nc_u64 s[4:5], s[24:25], s[4:5]
	s_mul_i32 s2, s31, s2
	s_mul_hi_u32 s21, s31, s3
	s_add_co_u32 s2, s4, s2
	s_add_co_ci_u32 s24, s5, s17
	s_add_co_ci_u32 s5, s21, 0
	s_mul_i32 s4, s31, s3
	s_delay_alu instid0(SALU_CYCLE_1) | instskip(NEXT) | instid1(SALU_CYCLE_1)
	s_add_nc_u64 s[2:3], s[24:25], s[4:5]
	s_add_co_u32 s2, s30, s2
	s_cselect_b32 s4, -1, 0
	s_delay_alu instid0(SALU_CYCLE_1) | instskip(SKIP_1) | instid1(SALU_CYCLE_1)
	s_cmp_lg_u32 s4, 0
	s_add_co_ci_u32 s3, s31, s3
	s_mul_u64 s[4:5], s[34:35], s[2:3]
	s_delay_alu instid0(SALU_CYCLE_1)
	s_mul_hi_u32 s39, s2, s5
	s_mul_i32 s38, s2, s5
	s_mul_hi_u32 s24, s2, s4
	s_mul_hi_u32 s17, s3, s4
	s_mul_i32 s4, s3, s4
	s_add_nc_u64 s[38:39], s[24:25], s[38:39]
	s_mul_hi_u32 s21, s3, s5
	s_add_co_u32 s4, s38, s4
	s_add_co_ci_u32 s24, s39, s17
	s_mul_i32 s4, s3, s5
	s_add_co_ci_u32 s5, s21, 0
	s_delay_alu instid0(SALU_CYCLE_1) | instskip(NEXT) | instid1(SALU_CYCLE_1)
	s_add_nc_u64 s[4:5], s[24:25], s[4:5]
	s_add_co_u32 s17, s2, s4
	s_cselect_b32 s2, -1, 0
	s_delay_alu instid0(SALU_CYCLE_1) | instskip(SKIP_2) | instid1(SALU_CYCLE_1)
	s_cmp_lg_u32 s2, 0
	s_add_co_ci_u32 s21, s3, s5
	s_ashr_i32 s2, s1, 31
	s_mov_b32 s3, s2
	s_delay_alu instid0(SALU_CYCLE_1) | instskip(NEXT) | instid1(SALU_CYCLE_1)
	s_add_nc_u64 s[4:5], s[0:1], s[2:3]
	s_xor_b64 s[4:5], s[4:5], s[2:3]
	s_delay_alu instid0(SALU_CYCLE_1)
	s_mul_hi_u32 s39, s4, s21
	s_mul_i32 s38, s4, s21
	s_mul_hi_u32 s24, s4, s17
	s_mul_hi_u32 s29, s5, s17
	s_mul_i32 s17, s5, s17
	s_add_nc_u64 s[38:39], s[24:25], s[38:39]
	s_mul_hi_u32 s1, s5, s21
	s_add_co_u32 s17, s38, s17
	s_add_co_ci_u32 s24, s39, s29
	s_mul_i32 s40, s5, s21
	s_add_co_ci_u32 s41, s1, 0
	s_delay_alu instid0(SALU_CYCLE_1) | instskip(NEXT) | instid1(SALU_CYCLE_1)
	s_add_nc_u64 s[38:39], s[24:25], s[40:41]
	s_and_b64 s[40:41], s[38:39], 0xffffffff00000000
	s_delay_alu instid0(SALU_CYCLE_1) | instskip(NEXT) | instid1(SALU_CYCLE_1)
	s_or_b32 s40, s40, s38
	s_mul_u64 s[38:39], s[6:7], s[40:41]
	s_add_nc_u64 s[42:43], s[40:41], 1
	s_sub_co_u32 s1, s4, s38
	s_cselect_b32 s4, -1, 0
	s_sub_co_i32 s17, s5, s39
	s_cmp_lg_u32 s4, 0
	s_add_nc_u64 s[44:45], s[40:41], 2
	s_sub_co_ci_u32 s17, s17, s7
	s_sub_co_u32 s21, s1, s6
	s_cselect_b32 s24, -1, 0
	s_delay_alu instid0(SALU_CYCLE_1) | instskip(SKIP_1) | instid1(SALU_CYCLE_1)
	s_cmp_lg_u32 s24, 0
	s_sub_co_ci_u32 s17, s17, 0
	s_cmp_ge_u32 s17, s7
	s_cselect_b32 s24, -1, 0
	s_cmp_ge_u32 s21, s6
	s_cselect_b32 s21, -1, 0
	s_cmp_eq_u32 s17, s7
	s_cselect_b32 s17, s21, s24
	s_delay_alu instid0(SALU_CYCLE_1) | instskip(SKIP_4) | instid1(SALU_CYCLE_1)
	s_cmp_lg_u32 s17, 0
	s_cselect_b32 s17, s44, s42
	s_cselect_b32 s21, s45, s43
	s_cmp_lg_u32 s4, 0
	s_sub_co_ci_u32 s4, s5, s39
	s_cmp_ge_u32 s4, s7
	s_cselect_b32 s5, -1, 0
	s_cmp_ge_u32 s1, s6
	s_cselect_b32 s1, -1, 0
	s_cmp_eq_u32 s4, s7
	s_cselect_b32 s1, s1, s5
	s_delay_alu instid0(SALU_CYCLE_1) | instskip(SKIP_3) | instid1(SALU_CYCLE_1)
	s_cmp_lg_u32 s1, 0
	s_cselect_b32 s5, s21, s41
	s_cselect_b32 s4, s17, s40
	s_xor_b64 s[2:3], s[2:3], 0
	s_xor_b64 s[4:5], s[4:5], s[2:3]
	s_delay_alu instid0(SALU_CYCLE_1)
	s_sub_nc_u64 s[40:41], s[4:5], s[2:3]
	s_mov_b32 s2, 0
.LBB54_11:                              ;   in Loop: Header=BB54_9 Depth=1
	s_delay_alu instid0(SALU_CYCLE_1)
	s_and_not1_b32 vcc_lo, exec_lo, s2
	s_cbranch_vccnz .LBB54_13
; %bb.12:                               ;   in Loop: Header=BB54_9 Depth=1
	v_readfirstlane_b32 s1, v7
	s_sub_co_i32 s2, 0, s16
	s_delay_alu instid0(SALU_CYCLE_1) | instskip(NEXT) | instid1(SALU_CYCLE_1)
	s_mul_i32 s2, s2, s1
	s_mul_hi_u32 s2, s1, s2
	s_delay_alu instid0(SALU_CYCLE_1) | instskip(NEXT) | instid1(SALU_CYCLE_1)
	s_add_co_i32 s1, s1, s2
	s_mul_hi_u32 s1, s0, s1
	s_delay_alu instid0(SALU_CYCLE_1) | instskip(NEXT) | instid1(SALU_CYCLE_1)
	s_mul_i32 s2, s1, s16
	s_sub_co_i32 s0, s0, s2
	s_add_co_i32 s2, s1, 1
	s_sub_co_i32 s3, s0, s16
	s_cmp_ge_u32 s0, s16
	s_cselect_b32 s1, s2, s1
	s_cselect_b32 s0, s3, s0
	s_add_co_i32 s2, s1, 1
	s_cmp_ge_u32 s0, s16
	s_cselect_b32 s24, s2, s1
	s_delay_alu instid0(SALU_CYCLE_1)
	s_mov_b64 s[40:41], s[24:25]
.LBB54_13:                              ;   in Loop: Header=BB54_9 Depth=1
	s_delay_alu instid0(SALU_CYCLE_1)
	s_cmp_lg_u32 s20, s40
	s_mov_b32 s0, -1
                                        ; implicit-def: $vgpr4_vgpr5
                                        ; implicit-def: $sgpr24
                                        ; implicit-def: $sgpr17
                                        ; implicit-def: $sgpr21
                                        ; implicit-def: $sgpr29
	s_cbranch_scc0 .LBB54_18
; %bb.14:                               ;   in Loop: Header=BB54_9 Depth=1
	s_add_co_i32 s0, s36, s16
	v_max_num_f32_e64 v4, s28, s28
	s_lshl_b32 s0, s0, 2
	s_mov_b32 s29, s20
	s_add_co_i32 s0, s0, s15
	s_load_b64 s[38:39], s[10:11], s0 offset:0x0 scale_offset
	s_wait_xcnt 0x0
	v_readfirstlane_b32 s0, v4
	s_wait_kmcnt 0x0
	v_max_num_f32_e64 v5, s38, s38
	s_delay_alu instid0(VALU_DEP_1) | instskip(SKIP_1) | instid1(SALU_CYCLE_3)
	v_readfirstlane_b32 s1, v5
	s_max_num_f32 s17, s0, s1
	s_sub_f32 s33, s28, s17
	s_sub_f32 s37, s38, s17
	s_delay_alu instid0(SALU_CYCLE_2)
	s_cmp_nlt_f32 s33, 0xc2ce8ed0
	s_cselect_b32 s1, -1, 0
	s_cmp_ngt_f32 s33, 0x42b17218
	s_cselect_b32 s2, -1, 0
	s_cmp_ge_f32 s33, 0xc1a00000
	s_cselect_b32 s0, -1, 0
	s_cmp_nlt_f32 s37, 0xc2ce8ed0
	s_cselect_b32 s3, -1, 0
	s_cmp_ngt_f32 s37, 0x42b17218
	s_cselect_b32 s4, -1, 0
	s_cmp_ge_f32 s37, 0xc1a00000
	s_cselect_b32 s5, -1, 0
	s_and_b64 s[42:43], s[40:41], s[8:9]
	s_delay_alu instid0(SALU_CYCLE_1) | instskip(NEXT) | instid1(SALU_CYCLE_1)
	s_mul_u64 s[42:43], s[42:43], s[22:23]
	s_add_co_i32 s21, s43, s40
	s_delay_alu instid0(SALU_CYCLE_1) | instskip(NEXT) | instid1(SALU_CYCLE_1)
	s_lshr_b32 s21, s21, s13
	s_mul_i32 s24, s21, s14
	s_delay_alu instid0(SALU_CYCLE_1) | instskip(SKIP_3) | instid1(SALU_CYCLE_1)
	s_cmp_eq_u32 s24, s40
	s_cselect_b32 s24, -1, 0
	s_cmp_lt_u32 s21, s12
	s_cselect_b32 s21, -1, 0
	s_or_b32 s21, s21, s24
	s_mov_b32 s24, -1
	s_and_b32 vcc_lo, exec_lo, s21
	s_mov_b32 s21, s36
	s_cbranch_vccnz .LBB54_16
; %bb.15:                               ;   in Loop: Header=BB54_9 Depth=1
	s_add_co_i32 s21, s36, -1
	s_mov_b32 s24, 0
	s_mov_b32 s29, s40
.LBB54_16:                              ;   in Loop: Header=BB54_9 Depth=1
	v_lshl_add_u32 v4, s36, 10, v6
	s_mul_f32 s40, s33, 0x3fb8aa3b
	s_mul_f32 s38, s37, 0x3fb8aa3b
	s_delay_alu instid0(SALU_CYCLE_2)
	s_xor_b32 s42, s40, 0x80000000
	global_load_b32 v5, v4, s[26:27] scale_offset
	s_fmamk_f32 s42, s33, 0x3fb8aa3b, s42
	s_rndne_f32 s44, s40
	s_xor_b32 s41, s38, 0x80000000
	s_rndne_f32 s43, s38
	s_fmamk_f32 s33, s33, 0x32a5705f, s42
	s_sub_f32 s40, s40, s44
	s_fmamk_f32 s41, s37, 0x3fb8aa3b, s41
	s_sub_f32 s38, s38, s43
	s_delay_alu instid0(SALU_CYCLE_1) | instskip(NEXT) | instid1(SALU_CYCLE_1)
	s_add_f32 s33, s40, s33
	s_fmamk_f32 s37, s37, 0x32a5705f, s41
	s_cvt_i32_f32 s40, s44
	s_delay_alu instid0(SALU_CYCLE_1) | instskip(NEXT) | instid1(SALU_CYCLE_1)
	v_s_exp_f32 s33, s33
	s_add_f32 s37, s38, s37
	s_cvt_i32_f32 s38, s43
	s_delay_alu instid0(SALU_CYCLE_2) | instskip(NEXT) | instid1(TRANS32_DEP_2)
	v_s_exp_f32 s37, s37
	v_ldexp_f32 v8, s33, s40
	s_wait_xcnt 0x0
	s_delay_alu instid0(TRANS32_DEP_1) | instskip(NEXT) | instid1(VALU_DEP_2)
	v_ldexp_f32 v4, s37, s38
	v_cndmask_b32_e64 v8, 0, v8, s1
	s_delay_alu instid0(VALU_DEP_1) | instskip(NEXT) | instid1(VALU_DEP_1)
	v_cndmask_b32_e64 v9, 0x7f800000, v8, s2
	v_dual_cndmask_b32 v4, 0, v4, s3 :: v_dual_cndmask_b32 v10, 0, v9, s0
	s_delay_alu instid0(VALU_DEP_1) | instskip(NEXT) | instid1(VALU_DEP_1)
	v_cndmask_b32_e64 v4, 0x7f800000, v4, s4
	v_dual_cndmask_b32 v8, 0, v4, s5 :: v_dual_mov_b32 v4, s39
	s_wait_loadcnt 0x0
	s_delay_alu instid0(VALU_DEP_1) | instskip(NEXT) | instid1(VALU_DEP_1)
	v_pk_mul_f32 v[4:5], v[4:5], v[8:9] op_sel_hi:[1,0]
	v_pk_fma_f32 v[4:5], v[0:1], v[10:11], v[4:5] op_sel_hi:[1,0,1]
	s_cbranch_execz .LBB54_19
.LBB54_17:                              ;   in Loop: Header=BB54_9 Depth=1
	s_and_not1_b32 vcc_lo, exec_lo, s24
	s_cbranch_vccnz .LBB54_20
	s_branch .LBB54_23
.LBB54_18:                              ;   in Loop: Header=BB54_9 Depth=1
	s_and_not1_b32 vcc_lo, exec_lo, s0
	s_cbranch_vccnz .LBB54_17
.LBB54_19:                              ;   in Loop: Header=BB54_9 Depth=1
	s_wait_loadcnt 0x0
	v_mov_b64_e32 v[4:5], v[0:1]
	s_add_co_i32 s21, s36, -1
	s_mov_b32 s29, s20
	s_mov_b32 s17, s28
	s_cbranch_execz .LBB54_23
.LBB54_20:                              ;   in Loop: Header=BB54_9 Depth=1
	s_wait_loadcnt 0x0
	s_delay_alu instid0(VALU_DEP_1)
	v_mov_b64_e32 v[0:1], v[4:5]
	s_mov_b32 s20, s29
	s_mov_b32 s36, s21
	;; [unrolled: 1-line block ×3, first 2 shown]
	s_branch .LBB54_9
.LBB54_21:
                                        ; implicit-def: $sgpr20_sgpr21
	s_branch .LBB54_2
.LBB54_22:
                                        ; implicit-def: $sgpr24_sgpr25
	s_load_b96 s[12:14], s[0:1], 0x44
	s_branch .LBB54_5
.LBB54_23:
	s_delay_alu instid0(VALU_DEP_1) | instskip(SKIP_1) | instid1(VALU_DEP_1)
	v_div_scale_f32 v0, null, v4, v4, v5
	s_wait_loadcnt 0x0
	v_rcp_f32_e32 v1, v0
	v_nop
	s_delay_alu instid0(TRANS32_DEP_1) | instskip(NEXT) | instid1(VALU_DEP_1)
	v_fma_f32 v6, -v0, v1, 1.0
	v_fmac_f32_e32 v1, v6, v1
	v_div_scale_f32 v6, vcc_lo, v5, v4, v5
	s_delay_alu instid0(VALU_DEP_1) | instskip(NEXT) | instid1(VALU_DEP_1)
	v_mul_f32_e32 v7, v6, v1
	v_fma_f32 v8, -v0, v7, v6
	s_delay_alu instid0(VALU_DEP_1) | instskip(NEXT) | instid1(VALU_DEP_1)
	v_fmac_f32_e32 v7, v8, v1
	v_fma_f32 v0, -v0, v7, v6
	s_delay_alu instid0(VALU_DEP_1) | instskip(NEXT) | instid1(VALU_DEP_1)
	v_div_fmas_f32 v0, v0, v1, v7
	v_div_fixup_f32 v0, v0, v4, v5
	global_store_b32 v[2:3], v0, off
.LBB54_24:
	s_endpgm
	.section	.rodata,"a",@progbits
	.p2align	6, 0x0
	.amdhsa_kernel _ZL33flash_attn_stream_k_fixup_generalILi256ELi4ELi1EEvPfPK15HIP_vector_typeIfLj2EEiiiiS1_IjLj3EES5_S5_S5_
		.amdhsa_group_segment_fixed_size 0
		.amdhsa_private_segment_fixed_size 0
		.amdhsa_kernarg_size 336
		.amdhsa_user_sgpr_count 2
		.amdhsa_user_sgpr_dispatch_ptr 0
		.amdhsa_user_sgpr_queue_ptr 0
		.amdhsa_user_sgpr_kernarg_segment_ptr 1
		.amdhsa_user_sgpr_dispatch_id 0
		.amdhsa_user_sgpr_kernarg_preload_length 0
		.amdhsa_user_sgpr_kernarg_preload_offset 0
		.amdhsa_user_sgpr_private_segment_size 0
		.amdhsa_wavefront_size32 1
		.amdhsa_uses_dynamic_stack 0
		.amdhsa_enable_private_segment 0
		.amdhsa_system_sgpr_workgroup_id_x 1
		.amdhsa_system_sgpr_workgroup_id_y 1
		.amdhsa_system_sgpr_workgroup_id_z 1
		.amdhsa_system_sgpr_workgroup_info 0
		.amdhsa_system_vgpr_workitem_id 0
		.amdhsa_next_free_vgpr 12
		.amdhsa_next_free_sgpr 46
		.amdhsa_named_barrier_count 0
		.amdhsa_reserve_vcc 1
		.amdhsa_float_round_mode_32 0
		.amdhsa_float_round_mode_16_64 0
		.amdhsa_float_denorm_mode_32 3
		.amdhsa_float_denorm_mode_16_64 3
		.amdhsa_fp16_overflow 0
		.amdhsa_memory_ordered 1
		.amdhsa_forward_progress 1
		.amdhsa_inst_pref_size 27
		.amdhsa_round_robin_scheduling 0
		.amdhsa_exception_fp_ieee_invalid_op 0
		.amdhsa_exception_fp_denorm_src 0
		.amdhsa_exception_fp_ieee_div_zero 0
		.amdhsa_exception_fp_ieee_overflow 0
		.amdhsa_exception_fp_ieee_underflow 0
		.amdhsa_exception_fp_ieee_inexact 0
		.amdhsa_exception_int_div_zero 0
	.end_amdhsa_kernel
	.section	.text._ZL33flash_attn_stream_k_fixup_generalILi256ELi4ELi1EEvPfPK15HIP_vector_typeIfLj2EEiiiiS1_IjLj3EES5_S5_S5_,"axG",@progbits,_ZL33flash_attn_stream_k_fixup_generalILi256ELi4ELi1EEvPfPK15HIP_vector_typeIfLj2EEiiiiS1_IjLj3EES5_S5_S5_,comdat
.Lfunc_end54:
	.size	_ZL33flash_attn_stream_k_fixup_generalILi256ELi4ELi1EEvPfPK15HIP_vector_typeIfLj2EEiiiiS1_IjLj3EES5_S5_S5_, .Lfunc_end54-_ZL33flash_attn_stream_k_fixup_generalILi256ELi4ELi1EEvPfPK15HIP_vector_typeIfLj2EEiiiiS1_IjLj3EES5_S5_S5_
                                        ; -- End function
	.set _ZL33flash_attn_stream_k_fixup_generalILi256ELi4ELi1EEvPfPK15HIP_vector_typeIfLj2EEiiiiS1_IjLj3EES5_S5_S5_.num_vgpr, 12
	.set _ZL33flash_attn_stream_k_fixup_generalILi256ELi4ELi1EEvPfPK15HIP_vector_typeIfLj2EEiiiiS1_IjLj3EES5_S5_S5_.num_agpr, 0
	.set _ZL33flash_attn_stream_k_fixup_generalILi256ELi4ELi1EEvPfPK15HIP_vector_typeIfLj2EEiiiiS1_IjLj3EES5_S5_S5_.numbered_sgpr, 46
	.set _ZL33flash_attn_stream_k_fixup_generalILi256ELi4ELi1EEvPfPK15HIP_vector_typeIfLj2EEiiiiS1_IjLj3EES5_S5_S5_.num_named_barrier, 0
	.set _ZL33flash_attn_stream_k_fixup_generalILi256ELi4ELi1EEvPfPK15HIP_vector_typeIfLj2EEiiiiS1_IjLj3EES5_S5_S5_.private_seg_size, 0
	.set _ZL33flash_attn_stream_k_fixup_generalILi256ELi4ELi1EEvPfPK15HIP_vector_typeIfLj2EEiiiiS1_IjLj3EES5_S5_S5_.uses_vcc, 1
	.set _ZL33flash_attn_stream_k_fixup_generalILi256ELi4ELi1EEvPfPK15HIP_vector_typeIfLj2EEiiiiS1_IjLj3EES5_S5_S5_.uses_flat_scratch, 0
	.set _ZL33flash_attn_stream_k_fixup_generalILi256ELi4ELi1EEvPfPK15HIP_vector_typeIfLj2EEiiiiS1_IjLj3EES5_S5_S5_.has_dyn_sized_stack, 0
	.set _ZL33flash_attn_stream_k_fixup_generalILi256ELi4ELi1EEvPfPK15HIP_vector_typeIfLj2EEiiiiS1_IjLj3EES5_S5_S5_.has_recursion, 0
	.set _ZL33flash_attn_stream_k_fixup_generalILi256ELi4ELi1EEvPfPK15HIP_vector_typeIfLj2EEiiiiS1_IjLj3EES5_S5_S5_.has_indirect_call, 0
	.section	.AMDGPU.csdata,"",@progbits
; Kernel info:
; codeLenInByte = 3352
; TotalNumSgprs: 48
; NumVgprs: 12
; ScratchSize: 0
; MemoryBound: 0
; FloatMode: 240
; IeeeMode: 1
; LDSByteSize: 0 bytes/workgroup (compile time only)
; SGPRBlocks: 0
; VGPRBlocks: 0
; NumSGPRsForWavesPerEU: 48
; NumVGPRsForWavesPerEU: 12
; NamedBarCnt: 0
; Occupancy: 16
; WaveLimiterHint : 0
; COMPUTE_PGM_RSRC2:SCRATCH_EN: 0
; COMPUTE_PGM_RSRC2:USER_SGPR: 2
; COMPUTE_PGM_RSRC2:TRAP_HANDLER: 0
; COMPUTE_PGM_RSRC2:TGID_X_EN: 1
; COMPUTE_PGM_RSRC2:TGID_Y_EN: 1
; COMPUTE_PGM_RSRC2:TGID_Z_EN: 1
; COMPUTE_PGM_RSRC2:TIDIG_COMP_CNT: 0
	.section	.text._ZL15flash_attn_tileILi256ELi256ELi2ELi1ELb0EEvPKcS1_S1_S1_S1_PKiPfP15HIP_vector_typeIfLj2EEffffjfiS5_IjLj3EEiiiiiiiiiiiliiliiiiil,"axG",@progbits,_ZL15flash_attn_tileILi256ELi256ELi2ELi1ELb0EEvPKcS1_S1_S1_S1_PKiPfP15HIP_vector_typeIfLj2EEffffjfiS5_IjLj3EEiiiiiiiiiiiliiliiiiil,comdat
	.globl	_ZL15flash_attn_tileILi256ELi256ELi2ELi1ELb0EEvPKcS1_S1_S1_S1_PKiPfP15HIP_vector_typeIfLj2EEffffjfiS5_IjLj3EEiiiiiiiiiiiliiliiiiil ; -- Begin function _ZL15flash_attn_tileILi256ELi256ELi2ELi1ELb0EEvPKcS1_S1_S1_S1_PKiPfP15HIP_vector_typeIfLj2EEffffjfiS5_IjLj3EEiiiiiiiiiiiliiliiiiil
	.p2align	8
	.type	_ZL15flash_attn_tileILi256ELi256ELi2ELi1ELb0EEvPKcS1_S1_S1_S1_PKiPfP15HIP_vector_typeIfLj2EEffffjfiS5_IjLj3EEiiiiiiiiiiiliiliiiiil,@function
_ZL15flash_attn_tileILi256ELi256ELi2ELi1ELb0EEvPKcS1_S1_S1_S1_PKiPfP15HIP_vector_typeIfLj2EEffffjfiS5_IjLj3EEiiiiiiiiiiiliiliiiiil: ; @_ZL15flash_attn_tileILi256ELi256ELi2ELi1ELb0EEvPKcS1_S1_S1_S1_PKiPfP15HIP_vector_typeIfLj2EEffffjfiS5_IjLj3EEiiiiiiiiiiiliiliiiiil
; %bb.0:
	s_clause 0x1
	s_load_b128 s[20:23], s[0:1], 0x5c
	s_load_b64 s[2:3], s[0:1], 0x80
	s_bfe_u32 s6, ttmp6, 0x40014
	s_lshr_b32 s5, ttmp7, 16
	s_add_co_i32 s6, s6, 1
	s_bfe_u32 s7, ttmp6, 0x40008
	s_mul_i32 s6, s5, s6
	s_getreg_b32 s40, hwreg(HW_REG_IB_STS2, 6, 4)
	s_add_co_i32 s7, s7, s6
	s_load_b64 s[36:37], s[0:1], 0xb8
	s_mov_b32 s35, 0
	s_mov_b64 s[30:31], 0
	s_wait_kmcnt 0x0
	s_cvt_f32_u32 s4, s23
	s_sub_co_i32 s8, 0, s23
	s_delay_alu instid0(SALU_CYCLE_2) | instskip(SKIP_1) | instid1(TRANS32_DEP_1)
	v_rcp_iflag_f32_e32 v1, s4
	v_nop
	v_readfirstlane_b32 s4, v1
	s_mul_f32 s4, s4, 0x4f7ffffe
	s_delay_alu instid0(SALU_CYCLE_3) | instskip(NEXT) | instid1(SALU_CYCLE_3)
	s_cvt_u32_f32 s4, s4
	s_mul_i32 s8, s8, s4
	s_delay_alu instid0(SALU_CYCLE_1) | instskip(NEXT) | instid1(SALU_CYCLE_1)
	s_mul_hi_u32 s8, s4, s8
	s_add_co_i32 s4, s4, s8
	s_cmp_eq_u32 s40, 0
	s_cselect_b32 s5, s5, s7
	s_delay_alu instid0(SALU_CYCLE_1) | instskip(NEXT) | instid1(SALU_CYCLE_1)
	s_mul_hi_u32 s4, s5, s4
	s_mul_i32 s6, s4, s23
	s_add_co_i32 s7, s4, 1
	s_sub_co_i32 s6, s5, s6
	s_delay_alu instid0(SALU_CYCLE_1)
	s_sub_co_i32 s8, s6, s23
	s_cmp_ge_u32 s6, s23
	s_cselect_b32 s4, s7, s4
	s_cselect_b32 s6, s8, s6
	s_add_co_i32 s7, s4, 1
	s_cmp_ge_u32 s6, s23
	s_cselect_b32 s28, s7, s4
	s_abs_i32 s4, s3
	s_mul_i32 s8, s28, s23
	s_cvt_f32_u32 s6, s4
	s_sub_co_i32 s7, 0, s4
	s_abs_i32 s9, s23
	s_sub_co_i32 s33, s5, s8
	v_rcp_iflag_f32_e32 v1, s6
	s_xor_b32 s3, s23, s3
	s_delay_alu instid0(SALU_CYCLE_1) | instskip(SKIP_1) | instid1(TRANS32_DEP_1)
	s_ashr_i32 s3, s3, 31
	v_nop
	v_readfirstlane_b32 s6, v1
	s_mul_f32 s6, s6, 0x4f7ffffe
	s_delay_alu instid0(SALU_CYCLE_3) | instskip(NEXT) | instid1(SALU_CYCLE_3)
	s_cvt_u32_f32 s6, s6
	s_mul_i32 s7, s7, s6
	s_delay_alu instid0(SALU_CYCLE_1) | instskip(NEXT) | instid1(SALU_CYCLE_1)
	s_mul_hi_u32 s7, s6, s7
	s_add_co_i32 s6, s6, s7
	s_delay_alu instid0(SALU_CYCLE_1) | instskip(NEXT) | instid1(SALU_CYCLE_1)
	s_mul_hi_u32 s5, s9, s6
	s_mul_i32 s6, s5, s4
	s_add_co_i32 s7, s5, 1
	s_sub_co_i32 s6, s9, s6
	s_delay_alu instid0(SALU_CYCLE_1)
	s_sub_co_i32 s8, s6, s4
	s_cmp_ge_u32 s6, s4
	s_cselect_b32 s5, s7, s5
	s_cselect_b32 s6, s8, s6
	s_add_co_i32 s7, s5, 1
	s_cmp_ge_u32 s6, s4
	s_cselect_b32 s4, s7, s5
	s_abs_i32 s34, s33
	s_xor_b32 s4, s4, s3
	s_delay_alu instid0(SALU_CYCLE_1) | instskip(NEXT) | instid1(SALU_CYCLE_1)
	s_sub_co_i32 s29, s4, s3
	s_abs_i32 s3, s29
	s_delay_alu instid0(SALU_CYCLE_1) | instskip(SKIP_1) | instid1(SALU_CYCLE_2)
	s_cvt_f32_u32 s4, s3
	s_sub_co_i32 s25, 0, s3
	v_rcp_iflag_f32_e32 v1, s4
	s_load_b512 s[4:19], s[0:1], 0x0
	v_nop
	s_delay_alu instid0(TRANS32_DEP_1) | instskip(SKIP_1) | instid1(SALU_CYCLE_3)
	v_readfirstlane_b32 s24, v1
	s_mul_f32 s24, s24, 0x4f7ffffe
	s_cvt_u32_f32 s24, s24
	s_delay_alu instid0(SALU_CYCLE_3) | instskip(NEXT) | instid1(SALU_CYCLE_1)
	s_mul_i32 s25, s25, s24
	s_mul_hi_u32 s25, s24, s25
	s_delay_alu instid0(SALU_CYCLE_1)
	s_add_co_i32 s38, s24, s25
	s_wait_kmcnt 0x0
	s_cmp_eq_u64 s[10:11], 0
	s_cbranch_scc1 .LBB55_2
; %bb.1:
	s_abs_i32 s26, s36
	s_abs_i32 s27, s28
	s_cvt_f32_u32 s24, s26
	s_sub_co_i32 s25, 0, s26
	s_delay_alu instid0(SALU_CYCLE_2) | instskip(SKIP_1) | instid1(TRANS32_DEP_1)
	v_rcp_iflag_f32_e32 v1, s24
	v_nop
	v_readfirstlane_b32 s24, v1
	s_mul_f32 s24, s24, 0x4f7ffffe
	s_delay_alu instid0(SALU_CYCLE_3) | instskip(NEXT) | instid1(SALU_CYCLE_3)
	s_cvt_u32_f32 s24, s24
	s_mul_i32 s25, s25, s24
	s_delay_alu instid0(SALU_CYCLE_1) | instskip(NEXT) | instid1(SALU_CYCLE_1)
	s_mul_hi_u32 s25, s24, s25
	s_add_co_i32 s24, s24, s25
	s_delay_alu instid0(SALU_CYCLE_1) | instskip(SKIP_2) | instid1(SALU_CYCLE_1)
	s_mul_hi_u32 s30, s27, s24
	s_load_b64 s[24:25], s[0:1], 0xc8
	s_mul_i32 s30, s30, s26
	s_sub_co_i32 s27, s27, s30
	s_ashr_i32 s30, s28, 31
	s_sub_co_i32 s31, s27, s26
	s_cmp_ge_u32 s27, s26
	s_cselect_b32 s27, s31, s27
	s_delay_alu instid0(SALU_CYCLE_1) | instskip(SKIP_2) | instid1(SALU_CYCLE_1)
	s_sub_co_i32 s31, s27, s26
	s_cmp_ge_u32 s27, s26
	s_cselect_b32 s26, s31, s27
	s_xor_b32 s26, s26, s30
	s_delay_alu instid0(SALU_CYCLE_1) | instskip(NEXT) | instid1(SALU_CYCLE_1)
	s_sub_co_i32 s26, s26, s30
	s_ashr_i32 s27, s26, 31
	s_wait_kmcnt 0x0
	s_mul_u64 s[24:25], s[24:25], s[26:27]
	s_delay_alu instid0(SALU_CYCLE_1)
	s_add_nc_u64 s[30:31], s[10:11], s[24:25]
.LBB55_2:
	s_clause 0x1
	s_load_b128 s[24:27], s[0:1], 0x40
	s_load_b32 s10, s[0:1], 0x50
	v_mov_b32_e32 v49, 1.0
	s_mov_b32 s39, s35
	s_wait_kmcnt 0x0
	s_cmp_le_f32 s25, 0
	s_cbranch_scc1 .LBB55_4
; %bb.3:
	v_sub_co_u32 v1, s10, s33, s10
	s_and_b32 s25, s10, exec_lo
	s_cselect_b32 s25, s26, s27
	s_add_co_i32 s26, s33, 1
	v_readfirstlane_b32 s11, v1
	s_lshl_b32 s11, s11, 1
	s_delay_alu instid0(SALU_CYCLE_1) | instskip(SKIP_4) | instid1(SALU_CYCLE_3)
	s_or_b32 s11, s11, 1
	s_and_b32 s10, s10, exec_lo
	s_cselect_b32 s10, s26, s11
	s_cmp_neq_f32 s25, 1.0
	s_cvt_f32_i32 s10, s10
	s_cselect_b32 s11, s10, 1.0
	s_delay_alu instid0(SALU_CYCLE_1) | instskip(SKIP_1) | instid1(SALU_CYCLE_1)
	s_cmp_neq_f32 s11, 0
	s_cselect_b32 s10, s25, 1.0
	v_cvt_f64_f32_e64 v[2:3], |s10|
	s_delay_alu instid0(VALU_DEP_1) | instskip(SKIP_1) | instid1(VALU_DEP_1)
	v_frexp_exp_i32_f64_e32 v1, v[2:3]
	v_frexp_mant_f32_e64 v2, |s10|
	v_readfirstlane_b32 s25, v2
	s_cmp_lt_f32 s25, 0x3f2aaaab
	s_cselect_b32 vcc_lo, -1, 0
	s_delay_alu instid0(SALU_CYCLE_1) | instskip(SKIP_1) | instid1(SALU_CYCLE_1)
	s_and_b32 s26, vcc_lo, exec_lo
	s_cselect_b32 s26, 2.0, 1.0
	s_mul_f32 s25, s25, s26
	s_delay_alu instid0(SALU_CYCLE_3) | instskip(SKIP_1) | instid1(SALU_CYCLE_2)
	s_add_f32 s26, s25, 1.0
	s_add_f32 s36, s25, -1.0
	v_s_rcp_f32 s27, s26
	s_add_f32 s43, s26, -1.0
	v_subrev_co_ci_u32_e64 v1, null, 0, v1, vcc_lo
	s_delay_alu instid0(SALU_CYCLE_2) | instskip(NEXT) | instid1(TRANS32_DEP_1)
	s_sub_f32 s25, s25, s43
	s_mul_f32 s41, s36, s27
	v_cvt_f32_i32_e32 v1, v1
	s_delay_alu instid0(SALU_CYCLE_2) | instskip(NEXT) | instid1(SALU_CYCLE_3)
	s_mul_f32 s42, s26, s41
	v_dual_mov_b32 v3, s36 :: v_dual_mov_b32 v4, s42
	s_xor_b32 s44, s42, 0x80000000
	s_delay_alu instid0(SALU_CYCLE_1) | instskip(NEXT) | instid1(SALU_CYCLE_3)
	s_fmac_f32 s44, s41, s26
	s_fmac_f32 s44, s41, s25
	s_delay_alu instid0(SALU_CYCLE_3) | instskip(NEXT) | instid1(SALU_CYCLE_3)
	s_add_f32 s25, s42, s44
	v_dual_mov_b32 v6, s44 :: v_dual_mov_b32 v7, s25
	s_sub_f32 s26, s36, s25
	s_delay_alu instid0(SALU_CYCLE_3) | instskip(NEXT) | instid1(VALU_DEP_1)
	v_dual_mov_b32 v2, s25 :: v_dual_mov_b32 v5, s26
	v_pk_add_f32 v[2:3], v[2:3], v[4:5] neg_lo:[0,1] neg_hi:[0,1]
	s_delay_alu instid0(VALU_DEP_1) | instskip(NEXT) | instid1(VALU_DEP_1)
	v_pk_add_f32 v[2:3], v[2:3], v[6:7] neg_lo:[0,1] neg_hi:[0,1]
	v_readfirstlane_b32 s25, v3
	s_delay_alu instid0(VALU_DEP_2) | instskip(SKIP_1) | instid1(SALU_CYCLE_3)
	v_readfirstlane_b32 s36, v2
	s_add_f32 s25, s36, s25
	s_add_f32 s25, s26, s25
	s_delay_alu instid0(SALU_CYCLE_3) | instskip(NEXT) | instid1(SALU_CYCLE_3)
	s_mul_f32 s25, s27, s25
	s_add_f32 s26, s41, s25
	s_delay_alu instid0(SALU_CYCLE_3) | instskip(SKIP_1) | instid1(SALU_CYCLE_2)
	s_sub_f32 s27, s26, s41
	s_mul_f32 s36, s26, s26
	s_sub_f32 s25, s25, s27
	s_delay_alu instid0(SALU_CYCLE_2) | instskip(NEXT) | instid1(SALU_CYCLE_1)
	s_xor_b32 s27, s36, 0x80000000
	s_fmac_f32 s27, s26, s26
	s_delay_alu instid0(SALU_CYCLE_1) | instskip(NEXT) | instid1(SALU_CYCLE_3)
	s_add_f32 s41, s25, s25
	s_fmac_f32 s27, s26, s41
	s_mov_b32 s41, 0x3e76c4e1
	s_delay_alu instid0(SALU_CYCLE_2) | instskip(NEXT) | instid1(SALU_CYCLE_3)
	s_add_f32 s42, s36, s27
	s_fmaak_f32 s41, s42, s41, 0x3e91f4c4
	s_sub_f32 s36, s42, s36
	s_delay_alu instid0(SALU_CYCLE_2) | instskip(NEXT) | instid1(SALU_CYCLE_2)
	s_fmaak_f32 s41, s42, s41, 0x3ecccdef
	s_sub_f32 s36, s27, s36
	s_delay_alu instid0(SALU_CYCLE_2) | instskip(NEXT) | instid1(SALU_CYCLE_3)
	s_mul_f32 s43, s42, s41
	s_xor_b32 s44, s43, 0x80000000
	s_delay_alu instid0(SALU_CYCLE_1) | instskip(NEXT) | instid1(SALU_CYCLE_3)
	s_fmac_f32 s44, s42, s41
	s_fmac_f32 s44, s36, s41
	s_delay_alu instid0(SALU_CYCLE_3) | instskip(NEXT) | instid1(SALU_CYCLE_3)
	s_add_f32 s41, s43, s44
	s_sub_f32 s27, s41, s43
	s_add_f32 s45, s41, 0x3f2aaaaa
	s_delay_alu instid0(SALU_CYCLE_2) | instskip(NEXT) | instid1(SALU_CYCLE_2)
	s_sub_f32 s27, s44, s27
	s_add_f32 s43, s45, 0xbf2aaaaa
	s_delay_alu instid0(SALU_CYCLE_2) | instskip(NEXT) | instid1(SALU_CYCLE_2)
	s_add_f32 s27, s27, 0x31739010
	s_sub_f32 s43, s41, s43
	s_delay_alu instid0(SALU_CYCLE_2) | instskip(NEXT) | instid1(SALU_CYCLE_2)
	v_mov_b64_e32 v[2:3], s[26:27]
	v_mov_b64_e32 v[4:5], s[42:43]
	s_delay_alu instid0(VALU_DEP_1) | instskip(SKIP_2) | instid1(VALU_DEP_3)
	v_pk_mul_f32 v[6:7], v[2:3], v[4:5]
	v_pk_add_f32 v[2:3], v[2:3], v[4:5]
	v_mov_b32_e32 v9, s45
	v_xor_b32_e32 v8, 0x80000000, v6
	s_delay_alu instid0(VALU_DEP_3) | instskip(NEXT) | instid1(VALU_DEP_2)
	v_mov_b32_e32 v7, v3
	v_fmac_f32_e64 v8, s42, s26
	s_delay_alu instid0(VALU_DEP_1) | instskip(NEXT) | instid1(VALU_DEP_1)
	v_fmac_f32_e64 v8, s42, s25
	v_fmac_f32_e64 v8, s36, s26
	s_delay_alu instid0(VALU_DEP_1) | instskip(NEXT) | instid1(VALU_DEP_1)
	v_pk_add_f32 v[4:5], v[6:7], v[8:9]
	v_dual_mov_b32 v2, v5 :: v_dual_sub_f32 v7, s45, v5
	v_mul_f32_e32 v12, 0x3f317218, v1
	s_delay_alu instid0(VALU_DEP_2) | instskip(NEXT) | instid1(VALU_DEP_3)
	v_pk_mul_f32 v[10:11], v[4:5], v[2:3]
	v_add_f32_e32 v3, v3, v7
	s_delay_alu instid0(VALU_DEP_3) | instskip(NEXT) | instid1(VALU_DEP_3)
	v_xor_b32_e32 v7, 0x80000000, v12
	v_xor_b32_e32 v2, 0x80000000, v10
	s_delay_alu instid0(VALU_DEP_2) | instskip(NEXT) | instid1(VALU_DEP_2)
	v_dual_sub_f32 v6, v4, v6 :: v_dual_fmac_f32 v7, 0x3f317218, v1
	v_fmac_f32_e32 v2, v4, v5
	s_delay_alu instid0(VALU_DEP_2) | instskip(NEXT) | instid1(VALU_DEP_2)
	v_sub_f32_e32 v6, v8, v6
	v_fmac_f32_e32 v2, v4, v3
	s_delay_alu instid0(VALU_DEP_1) | instskip(SKIP_3) | instid1(VALU_DEP_2)
	v_fmac_f32_e32 v2, v6, v5
	v_fmamk_f32 v4, v1, 0xb102e308, v7
	v_ldexp_f32 v5, s26, 1
	v_ldexp_f32 v1, s25, 1
	v_dual_add_f32 v13, v10, v2 :: v_dual_mov_b32 v11, v5
	s_delay_alu instid0(VALU_DEP_1) | instskip(SKIP_1) | instid1(VALU_DEP_2)
	v_pk_add_f32 v[6:7], v[12:13], v[4:5]
	v_dual_mov_b32 v8, v13 :: v_dual_mov_b32 v3, v13
	v_dual_mov_b32 v9, v7 :: v_dual_mov_b32 v5, v6
	v_mov_b32_e32 v14, v7
	s_delay_alu instid0(VALU_DEP_2) | instskip(NEXT) | instid1(VALU_DEP_1)
	v_pk_add_f32 v[8:9], v[8:9], v[10:11] neg_lo:[0,1] neg_hi:[0,1]
	v_pk_add_f32 v[2:3], v[2:3], v[8:9] neg_lo:[0,1] neg_hi:[0,1]
	s_delay_alu instid0(VALU_DEP_1) | instskip(NEXT) | instid1(VALU_DEP_1)
	v_add_f32_e32 v1, v1, v2
	v_add_f32_e32 v13, v1, v3
	s_delay_alu instid0(VALU_DEP_1) | instskip(SKIP_1) | instid1(VALU_DEP_2)
	v_pk_add_f32 v[2:3], v[6:7], v[12:13]
	v_pk_add_f32 v[8:9], v[6:7], v[12:13] neg_lo:[0,1] neg_hi:[0,1]
	v_mov_b32_e32 v9, v3
	s_delay_alu instid0(VALU_DEP_1) | instskip(SKIP_2) | instid1(VALU_DEP_3)
	v_pk_add_f32 v[10:11], v[4:5], v[8:9]
	v_pk_add_f32 v[4:5], v[4:5], v[8:9] neg_lo:[0,1] neg_hi:[0,1]
	v_dual_mov_b32 v16, v3 :: v_dual_mov_b32 v5, v6
	v_dual_mov_b32 v12, v11 :: v_dual_mov_b32 v17, v11
	s_delay_alu instid0(VALU_DEP_3) | instskip(NEXT) | instid1(VALU_DEP_2)
	v_readfirstlane_b32 s25, v4
	v_pk_add_f32 v[8:9], v[12:13], v[6:7] neg_lo:[0,1] neg_hi:[0,1]
	s_delay_alu instid0(VALU_DEP_2) | instskip(NEXT) | instid1(VALU_DEP_2)
	v_dual_mov_b32 v4, v13 :: v_dual_mov_b32 v10, s25
	v_dual_mov_b32 v15, v8 :: v_dual_mov_b32 v1, v8
	s_delay_alu instid0(VALU_DEP_1) | instskip(NEXT) | instid1(VALU_DEP_2)
	v_pk_add_f32 v[6:7], v[16:17], v[14:15] neg_lo:[0,1] neg_hi:[0,1]
	v_pk_add_f32 v[2:3], v[2:3], v[0:1] neg_lo:[0,1] neg_hi:[0,1]
	v_mov_b32_e32 v2, s25
	s_delay_alu instid0(VALU_DEP_3) | instskip(NEXT) | instid1(VALU_DEP_1)
	v_pk_add_f32 v[4:5], v[4:5], v[6:7] neg_lo:[0,1] neg_hi:[0,1]
	v_pk_add_f32 v[2:3], v[2:3], v[4:5]
	s_delay_alu instid0(VALU_DEP_1) | instskip(NEXT) | instid1(VALU_DEP_2)
	v_readfirstlane_b32 s26, v2
	v_mov_b32_e32 v6, v3
	s_delay_alu instid0(VALU_DEP_1) | instskip(NEXT) | instid1(VALU_DEP_3)
	v_pk_add_f32 v[6:7], v[2:3], v[6:7]
	v_mov_b32_e32 v2, s26
	s_delay_alu instid0(VALU_DEP_2) | instskip(SKIP_1) | instid1(VALU_DEP_2)
	v_pk_add_f32 v[8:9], v[12:13], v[6:7]
	v_mov_b32_e32 v5, v6
	v_readfirstlane_b32 s27, v8
	s_delay_alu instid0(VALU_DEP_1) | instskip(NEXT) | instid1(VALU_DEP_1)
	v_mov_b32_e32 v3, s27
	v_pk_add_f32 v[2:3], v[2:3], v[10:11] neg_lo:[0,1] neg_hi:[0,1]
	s_delay_alu instid0(VALU_DEP_1) | instskip(NEXT) | instid1(VALU_DEP_2)
	v_readfirstlane_b32 s36, v2
	v_pk_add_f32 v[2:3], v[4:5], v[2:3] neg_lo:[0,1] neg_hi:[0,1]
	s_sub_f32 s26, s26, s36
	s_delay_alu instid0(VALU_DEP_1) | instskip(NEXT) | instid1(SALU_CYCLE_2)
	v_readfirstlane_b32 s36, v2
	s_sub_f32 s25, s25, s26
	v_readfirstlane_b32 s26, v3
	s_delay_alu instid0(SALU_CYCLE_2) | instskip(NEXT) | instid1(SALU_CYCLE_3)
	s_add_f32 s25, s36, s25
	s_add_f32 s25, s25, s26
	s_delay_alu instid0(SALU_CYCLE_3) | instskip(NEXT) | instid1(SALU_CYCLE_3)
	s_add_f32 s26, s27, s25
	s_mul_f32 s36, s11, s26
	s_sub_f32 s27, s26, s27
	s_delay_alu instid0(SALU_CYCLE_2) | instskip(NEXT) | instid1(SALU_CYCLE_2)
	s_xor_b32 s41, s36, 0x80000000
	s_sub_f32 s25, s25, s27
	s_fmac_f32 s41, s11, s26
	s_delay_alu instid0(SALU_CYCLE_3) | instskip(SKIP_1) | instid1(SALU_CYCLE_2)
	s_fmac_f32 s41, s11, s25
	v_cmp_class_f32_e64 s25, s36, 0x204
	s_add_f32 s26, s36, s41
	s_and_b32 s25, s25, exec_lo
	s_delay_alu instid0(SALU_CYCLE_2) | instskip(SKIP_1) | instid1(SALU_CYCLE_1)
	s_sub_f32 s25, s26, s36
	s_cselect_b32 s26, s36, s26
	s_and_b32 s27, s26, 0x7fffffff
	s_delay_alu instid0(SALU_CYCLE_1) | instskip(SKIP_1) | instid1(SALU_CYCLE_2)
	s_sub_f32 s25, s41, s25
	s_cmp_neq_f32 s27, 0x7f800000
	s_cselect_b32 s25, s25, 0
	s_cmp_eq_f32 s26, 0x42b17218
	s_cselect_b32 s27, 0x37000000, 0
	s_delay_alu instid0(SALU_CYCLE_1) | instskip(SKIP_1) | instid1(SALU_CYCLE_2)
	s_sub_f32 s26, s26, s27
	s_add_f32 s25, s27, s25
	s_mul_f32 s36, s26, 0x3fb8aa3b
	s_delay_alu instid0(SALU_CYCLE_3) | instskip(SKIP_3) | instid1(SALU_CYCLE_1)
	s_xor_b32 s41, s36, 0x80000000
	s_rndne_f32 s42, s36
	s_fmamk_f32 s41, s26, 0x3fb8aa3b, s41
	s_cmp_nlt_f32 s26, 0xc2ce8ed0
	s_sub_f32 s36, s36, s42
	s_delay_alu instid0(SALU_CYCLE_1)
	s_fmamk_f32 s41, s26, 0x32a5705f, s41
	s_cselect_b32 vcc_lo, -1, 0
	s_cmp_ngt_f32 s26, 0x42b17218
	s_trunc_f32 s26, s11
	s_add_f32 s36, s36, s41
	s_cvt_i32_f32 s41, s42
	s_delay_alu instid0(SALU_CYCLE_2)
	v_s_exp_f32 s36, s36
	v_nop
	s_delay_alu instid0(TRANS32_DEP_1) | instid1(SALU_CYCLE_1)
	v_ldexp_f32 v1, s36, s41
	s_mul_f32 s36, s11, 0.5
	s_delay_alu instid0(VALU_DEP_1) | instskip(SKIP_3) | instid1(VALU_DEP_1)
	v_cndmask_b32_e32 v1, 0, v1, vcc_lo
	s_cselect_b32 vcc_lo, -1, 0
	s_cmp_eq_f32 s26, s11
	s_trunc_f32 s41, s36
	v_cndmask_b32_e32 v1, 0x7f800000, v1, vcc_lo
	s_cselect_b32 s42, -1, 0
	s_delay_alu instid0(SALU_CYCLE_1) | instskip(NEXT) | instid1(VALU_DEP_1)
	s_cmp_neq_f32 s41, s36
	v_fma_f32 v2, s25, v1, v1
	v_cmp_class_f32_e64 vcc_lo, v1, 0x204
	s_cselect_b32 s27, -1, 0
	s_delay_alu instid0(SALU_CYCLE_1)
	s_and_b32 s25, s42, s27
	v_cndmask_b32_e32 v1, v2, v1, vcc_lo
	s_and_b32 s27, s25, exec_lo
	s_cselect_b32 s27, s10, 1.0
	s_cmp_eq_f32 s26, s11
	v_cmp_class_f32_e64 s26, s10, 0x204
	v_bfi_b32 v1, 0x7fffffff, v1, s27
	s_cselect_b32 vcc_lo, -1, 0
	s_cmp_lt_f32 s10, 0
	s_delay_alu instid0(VALU_DEP_1) | instskip(SKIP_2) | instid1(VALU_DEP_1)
	v_cndmask_b32_e32 v2, 0x7fc00000, v1, vcc_lo
	s_cselect_b32 vcc_lo, -1, 0
	s_cmp_eq_f32 s10, 0
	v_cndmask_b32_e32 v1, v1, v2, vcc_lo
	s_cselect_b32 s27, -1, 0
	s_delay_alu instid0(SALU_CYCLE_1) | instskip(SKIP_2) | instid1(SALU_CYCLE_1)
	s_or_b32 vcc_lo, s27, s26
	s_cmp_lt_f32 s11, 0
	s_cselect_b32 s11, -1, 0
	s_xor_b32 s11, s11, s27
	s_delay_alu instid0(SALU_CYCLE_1)
	s_and_b32 s11, s11, exec_lo
	s_cselect_b32 s11, 0, 0x7f800000
	s_and_b32 s25, s25, exec_lo
	s_cselect_b32 s25, s10, 0
	s_cmp_o_f32 s10, s10
	v_mov_b32_e32 v2, s25
	s_delay_alu instid0(VALU_DEP_1) | instskip(NEXT) | instid1(VALU_DEP_1)
	v_bfi_b32 v2, 0x7fffffff, s11, v2
	v_cndmask_b32_e32 v1, v1, v2, vcc_lo
	s_cselect_b32 vcc_lo, -1, 0
	s_delay_alu instid0(VALU_DEP_1)
	v_cndmask_b32_e32 v49, 0x7fc00000, v1, vcc_lo
.LBB55_4:
	s_bfe_u32 s11, ttmp6, 0x4000c
	s_and_b32 s25, ttmp6, 15
	s_add_co_i32 s11, s11, 1
	s_ashr_i32 s10, s33, 31
	s_mul_i32 s26, ttmp9, s11
	s_ashr_i32 s11, s29, 31
	s_add_co_i32 s25, s25, s26
	v_bfe_u32 v68, v0, 10, 10
	s_cmp_eq_u32 s40, 0
	s_load_b96 s[44:46], s[0:1], 0x70
	s_cselect_b32 s25, ttmp9, s25
	v_and_b32_e32 v87, 0x3ff, v0
	v_lshl_add_u32 v86, s25, 1, v68
	v_dual_lshlrev_b32 v47, 9, v68 :: v_dual_mov_b32 v75, 0
	s_delay_alu instid0(VALU_DEP_3) | instskip(NEXT) | instid1(VALU_DEP_3)
	v_lshlrev_b32_e32 v89, 3, v87
	v_mul_hi_u32 v1, s20, v86
	s_delay_alu instid0(VALU_DEP_3) | instskip(SKIP_1) | instid1(VALU_DEP_3)
	v_add_nc_u32_e32 v69, 0x1200, v47
	v_dual_lshlrev_b32 v0, 4, v87 :: v_dual_lshlrev_b32 v88, 2, v87
	v_add_nc_u32_e32 v1, v86, v1
	s_wait_kmcnt 0x0
	s_mul_i32 s20, s33, s45
	s_ashr_i32 s45, s44, 31
	s_delay_alu instid0(SALU_CYCLE_1) | instskip(SKIP_2) | instid1(VALU_DEP_1)
	s_lshr_b64 s[26:27], s[44:45], 2
	v_lshrrev_b32_e32 v1, s21, v1
	s_ashr_i32 s21, s20, 31
	v_mul_lo_u32 v1, v1, s22
	s_delay_alu instid0(VALU_DEP_1) | instskip(NEXT) | instid1(VALU_DEP_1)
	v_dual_mov_b32 v1, v75 :: v_dual_sub_nc_u32 v74, v86, v1
	v_mul_u64_e32 v[2:3], s[26:27], v[74:75]
	s_mul_i32 s26, s28, s46
	s_delay_alu instid0(SALU_CYCLE_1) | instskip(SKIP_2) | instid1(SALU_CYCLE_1)
	s_ashr_i32 s27, s26, 31
	s_cmp_eq_u64 s[14:15], 0
	s_add_nc_u64 s[4:5], s[4:5], s[26:27]
	s_add_nc_u64 s[4:5], s[4:5], s[20:21]
	s_delay_alu instid0(VALU_DEP_1) | instid1(SALU_CYCLE_1)
	v_lshl_add_u64 v[2:3], v[2:3], 2, s[4:5]
	s_mul_u64 s[4:5], s[34:35], s[38:39]
	s_delay_alu instid0(VALU_DEP_1)
	v_add_nc_u64_e32 v[8:9], v[2:3], v[0:1]
	s_clause 0x1
	global_load_b128 v[0:3], v[8:9], off
	global_load_b128 v[4:7], v[8:9], off offset:512
	s_wait_loadcnt 0x1
	v_fma_mixlo_f16 v0, s24, v0, 0
	v_fma_mixlo_f16 v1, s24, v1, 0
	s_wait_loadcnt 0x0
	v_fma_mixlo_f16 v4, s24, v4, 0
	v_fma_mixlo_f16 v5, s24, v5, 0
	;; [unrolled: 1-line block ×6, first 2 shown]
	v_lshlrev_b32_e32 v1, 16, v1
	v_and_b32_e32 v0, 0xffff, v0
	v_lshlrev_b32_e32 v5, 16, v5
	v_and_b32_e32 v4, 0xffff, v4
	;; [unrolled: 2-line block ×4, first 2 shown]
	v_or_b32_e32 v0, v1, v0
	v_or_b32_e32 v4, v5, v4
	v_add_nc_u32_e32 v5, v69, v89
	v_or3_b32 v1, v3, v2, 0
	v_or3_b32 v3, v7, v6, 0
	;; [unrolled: 1-line block ×4, first 2 shown]
	ds_store_2addr_b64 v5, v[0:1], v[2:3] offset1:32
	s_wait_dscnt 0x0
	s_barrier_signal -1
	s_barrier_wait -1
	s_cbranch_scc1 .LBB55_6
; %bb.5:
	s_load_b32 s2, s[0:1], 0xd0
	s_wait_kmcnt 0x0
	s_mul_i32 s2, s2, s28
	s_delay_alu instid0(SALU_CYCLE_1)
	s_add_co_i32 s2, s2, s25
	s_load_b32 s2, s[14:15], s2 offset:0x0 scale_offset
.LBB55_6:
	s_wait_xcnt 0x0
	s_clause 0x2
	s_load_b64 s[14:15], s[0:1], 0x8c
	s_load_b128 s[24:27], s[0:1], 0x98
	s_load_b64 s[20:21], s[0:1], 0xa8
	s_mul_i32 s4, s5, s3
	s_ashr_i32 s35, s37, 1
	s_sub_co_i32 s34, s34, s4
	s_ashr_i32 s29, s28, 31
	s_xor_b32 s11, s10, s11
	s_add_co_i32 s36, s5, 1
	s_sub_co_i32 s37, s34, s3
	v_dual_lshrrev_b32 v73, 3, v87 :: v_dual_bitop2_b32 v48, 28, v88 bitop3:0x40
	v_mul_u32_u24_e32 v72, 0x90, v87
	v_lshlrev_b32_e32 v76, 2, v88
	v_mbcnt_lo_u32_b32 v90, -1, 0
	s_wait_kmcnt 0x0
	s_ashr_i32 s4, s14, 2
	s_ashr_i32 s10, s26, 2
	s_cmp_ge_u32 s34, s3
	s_mul_u64 s[24:25], s[24:25], s[28:29]
	s_cselect_b32 s5, s36, s5
	s_cselect_b32 s14, s37, s34
	s_add_nc_u64 s[6:7], s[6:7], s[24:25]
	s_add_co_i32 s24, s5, 1
	s_cmp_ge_u32 s14, s3
	v_mul_lo_u32 v44, s10, v68
	s_cselect_b32 s3, s24, s5
	s_bfe_u32 s14, ttmp6, 0x40010
	s_xor_b32 s3, s3, s11
	s_and_b32 s5, ttmp7, 0xffff
	s_add_co_i32 s14, s14, 1
	s_sub_co_i32 s3, s3, s11
	s_bfe_u32 s24, ttmp6, 0x40004
	s_mul_i32 s11, s5, s14
	s_mul_i32 s14, s3, s15
	;; [unrolled: 1-line block ×3, first 2 shown]
	s_add_co_i32 s24, s24, s11
	s_ashr_i32 s15, s14, 31
	s_ashr_i32 s27, s26, 31
	s_cmp_eq_u32 s40, 0
	s_mul_u64 s[20:21], s[20:21], s[28:29]
	s_cselect_b32 s24, s5, s24
	s_add_nc_u64 s[6:7], s[6:7], s[14:15]
	s_sub_co_i32 s3, s2, 32
	s_lshl_b32 s14, s24, 5
	s_add_nc_u64 s[8:9], s[8:9], s[20:21]
	s_cmp_ge_i32 s14, s3
	s_add_nc_u64 s[8:9], s[8:9], s[26:27]
	s_cbranch_scc1 .LBB55_12
; %bb.7:
	v_lshl_add_u32 v0, v68, 2, v73
	s_ashr_i32 s5, s4, 31
	v_dual_mov_b32 v77, 0 :: v_dual_lshlrev_b32 v1, 2, v48
	s_lshl_b32 s11, s4, 3
	s_delay_alu instid0(VALU_DEP_2)
	v_mul_lo_u32 v50, s4, v0
	s_cmp_lg_u64 s[30:31], 0
	v_add_nc_u32_e32 v80, v47, v76
	s_cselect_b32 s25, -1, 0
	s_lshl_b32 s15, s10, 1
	v_ashrrev_i32_e32 v45, 31, v44
	v_mad_u32_u24 v81, 0x90, v0, v1
	v_add_nc_u32_e32 v0, s15, v44
	v_lshl_add_u32 v5, v68, 9, v76
	v_mad_u32 v78, v74, s35, v87
	v_lshl_add_u32 v79, v68, 6, 0x1600
	s_delay_alu instid0(VALU_DEP_4) | instskip(SKIP_2) | instid1(VALU_DEP_3)
	v_dual_add_nc_u32 v52, s11, v50 :: v_dual_add_nc_u32 v2, s15, v0
	v_ashrrev_i32_e32 v1, 31, v0
	v_dual_mov_b32 v40, v77 :: v_dual_add_nc_u32 v83, 0x400, v5
	v_dual_add_nc_u32 v54, s11, v52 :: v_dual_add_nc_u32 v4, s15, v2
	v_dual_mov_b32 v59, v77 :: v_dual_add_nc_u32 v84, 0x800, v5
	v_dual_mov_b32 v16, 0xfeffffff :: v_dual_ashrrev_i32 v3, 31, v2
	s_delay_alu instid0(VALU_DEP_3)
	v_ashrrev_i32_e32 v55, 31, v54
	v_add_nc_u32_e32 v93, 0xc00, v5
	v_dual_ashrrev_i32 v5, 31, v4 :: v_dual_add_nc_u32 v56, s11, v54
	v_ashrrev_i32_e32 v53, 31, v52
	v_lshlrev_b64_e32 v[60:61], 2, v[44:45]
	v_lshlrev_b64_e32 v[62:63], 2, v[0:1]
	;; [unrolled: 1-line block ×4, first 2 shown]
	v_lshl_add_u32 v82, v87, 1, v79
	v_dual_mov_b32 v70, v77 :: v_dual_add_nc_u32 v85, 0x480, v81
	v_dual_mov_b32 v94, v77 :: v_dual_add_nc_u32 v91, 0x900, v81
	;; [unrolled: 1-line block ×3, first 2 shown]
	v_dual_ashrrev_i32 v51, 31, v50 :: v_dual_ashrrev_i32 v57, 31, v56
	v_dual_mov_b32 v71, v77 :: v_dual_lshlrev_b32 v58, 2, v48
	v_mbcnt_lo_u32_b32 v45, -1, 0
	s_ashr_i32 s11, s10, 31
	s_add_nc_u64 s[20:21], s[0:1], 0xd0
.LBB55_8:                               ; =>This Inner Loop Header: Depth=1
	s_ashr_i32 s15, s14, 31
	v_mov_b32_e32 v17, 0
	s_mul_u64 s[26:27], s[14:15], s[4:5]
	s_and_not1_b32 vcc_lo, exec_lo, s25
	s_lshl_b64 s[26:27], s[26:27], 2
	s_delay_alu instid0(SALU_CYCLE_1) | instskip(NEXT) | instid1(SALU_CYCLE_1)
	s_add_nc_u64 s[26:27], s[6:7], s[26:27]
	v_lshl_add_u64 v[0:1], v[50:51], 2, s[26:27]
	v_lshl_add_u64 v[2:3], v[52:53], 2, s[26:27]
	;; [unrolled: 1-line block ×4, first 2 shown]
	s_delay_alu instid0(VALU_DEP_4) | instskip(NEXT) | instid1(VALU_DEP_4)
	v_add_nc_u64_e32 v[6:7], v[0:1], v[58:59]
	v_add_nc_u64_e32 v[4:5], v[2:3], v[58:59]
	s_delay_alu instid0(VALU_DEP_4) | instskip(NEXT) | instid1(VALU_DEP_4)
	v_add_nc_u64_e32 v[2:3], v[8:9], v[58:59]
	v_add_nc_u64_e32 v[0:1], v[10:11], v[58:59]
	s_clause 0x3
	global_load_b128 v[8:11], v[6:7], off
	global_load_b128 v[12:15], v[4:5], off
	global_load_b128 v[18:21], v[2:3], off
	global_load_b128 v[22:25], v[0:1], off
	s_wait_loadcnt 0x3
	ds_store_b128 v81, v[8:11]
	s_wait_loadcnt 0x2
	ds_store_b128 v85, v[12:15]
	;; [unrolled: 2-line block ×4, first 2 shown]
	s_wait_dscnt 0x0
	s_barrier_signal -1
	s_barrier_wait -1
	ds_load_b128 v[8:11], v72
	ds_load_b128 v[12:15], v69
	s_wait_dscnt 0x0
	;;#ASMSTART
	v_dot2_f32_f16 v17, v8, v12, v17
	;;#ASMEND
	;;#ASMSTART
	v_dot2_f32_f16 v17, v9, v13, v17
	;;#ASMEND
	;;#ASMSTART
	v_dot2_f32_f16 v17, v10, v14, v17
	;;#ASMEND
	;;#ASMSTART
	v_dot2_f32_f16 v17, v11, v15, v17
	;;#ASMEND
	ds_load_b128 v[8:11], v72 offset:16
	ds_load_b128 v[12:15], v69 offset:16
	s_wait_dscnt 0x0
	;;#ASMSTART
	v_dot2_f32_f16 v17, v8, v12, v17
	;;#ASMEND
	;;#ASMSTART
	v_dot2_f32_f16 v17, v9, v13, v17
	;;#ASMEND
	;;#ASMSTART
	v_dot2_f32_f16 v17, v10, v14, v17
	;;#ASMEND
	;;#ASMSTART
	v_dot2_f32_f16 v17, v11, v15, v17
	;;#ASMEND
	ds_load_b128 v[8:11], v72 offset:32
	ds_load_b128 v[12:15], v69 offset:32
	s_wait_dscnt 0x0
	;;#ASMSTART
	v_dot2_f32_f16 v17, v8, v12, v17
	;;#ASMEND
	;;#ASMSTART
	v_dot2_f32_f16 v17, v9, v13, v17
	;;#ASMEND
	;;#ASMSTART
	v_dot2_f32_f16 v17, v10, v14, v17
	;;#ASMEND
	;;#ASMSTART
	v_dot2_f32_f16 v17, v11, v15, v17
	;;#ASMEND
	ds_load_b128 v[8:11], v72 offset:48
	ds_load_b128 v[12:15], v69 offset:48
	s_wait_dscnt 0x0
	;;#ASMSTART
	v_dot2_f32_f16 v17, v8, v12, v17
	;;#ASMEND
	;;#ASMSTART
	v_dot2_f32_f16 v17, v9, v13, v17
	;;#ASMEND
	;;#ASMSTART
	v_dot2_f32_f16 v17, v10, v14, v17
	;;#ASMEND
	;;#ASMSTART
	v_dot2_f32_f16 v17, v11, v15, v17
	;;#ASMEND
	ds_load_b128 v[8:11], v72 offset:64
	ds_load_b128 v[12:15], v69 offset:64
	s_wait_dscnt 0x0
	;;#ASMSTART
	v_dot2_f32_f16 v17, v8, v12, v17
	;;#ASMEND
	;;#ASMSTART
	v_dot2_f32_f16 v17, v9, v13, v17
	;;#ASMEND
	;;#ASMSTART
	v_dot2_f32_f16 v17, v10, v14, v17
	;;#ASMEND
	;;#ASMSTART
	v_dot2_f32_f16 v17, v11, v15, v17
	;;#ASMEND
	ds_load_b128 v[8:11], v72 offset:80
	ds_load_b128 v[12:15], v69 offset:80
	s_wait_dscnt 0x0
	;;#ASMSTART
	v_dot2_f32_f16 v17, v8, v12, v17
	;;#ASMEND
	;;#ASMSTART
	v_dot2_f32_f16 v17, v9, v13, v17
	;;#ASMEND
	;;#ASMSTART
	v_dot2_f32_f16 v17, v10, v14, v17
	;;#ASMEND
	;;#ASMSTART
	v_dot2_f32_f16 v17, v11, v15, v17
	;;#ASMEND
	ds_load_b128 v[8:11], v72 offset:96
	ds_load_b128 v[12:15], v69 offset:96
	s_wait_dscnt 0x0
	;;#ASMSTART
	v_dot2_f32_f16 v17, v8, v12, v17
	;;#ASMEND
	;;#ASMSTART
	v_dot2_f32_f16 v17, v9, v13, v17
	;;#ASMEND
	;;#ASMSTART
	v_dot2_f32_f16 v17, v10, v14, v17
	;;#ASMEND
	;;#ASMSTART
	v_dot2_f32_f16 v17, v11, v15, v17
	;;#ASMEND
	ds_load_b128 v[8:11], v72 offset:112
	ds_load_b128 v[12:15], v69 offset:112
	s_wait_dscnt 0x0
	;;#ASMSTART
	v_dot2_f32_f16 v17, v8, v12, v17
	;;#ASMEND
	;;#ASMSTART
	v_dot2_f32_f16 v17, v9, v13, v17
	;;#ASMEND
	;; [unrolled: 3-line block ×4, first 2 shown]
	s_barrier_signal -1
	s_barrier_wait -1
	s_clause 0x3
	global_load_b128 v[8:11], v[6:7], off offset:128
	global_load_b128 v[12:15], v[4:5], off offset:128
	;; [unrolled: 1-line block ×4, first 2 shown]
	s_wait_loadcnt 0x3
	ds_store_b128 v81, v[8:11]
	s_wait_loadcnt 0x2
	ds_store_b128 v85, v[12:15]
	;; [unrolled: 2-line block ×4, first 2 shown]
	s_wait_dscnt 0x0
	s_barrier_signal -1
	s_barrier_wait -1
	ds_load_b128 v[8:11], v72
	ds_load_b128 v[12:15], v69 offset:128
	s_wait_dscnt 0x0
	;;#ASMSTART
	v_dot2_f32_f16 v17, v8, v12, v17
	;;#ASMEND
	;;#ASMSTART
	v_dot2_f32_f16 v17, v9, v13, v17
	;;#ASMEND
	;;#ASMSTART
	v_dot2_f32_f16 v17, v10, v14, v17
	;;#ASMEND
	;;#ASMSTART
	v_dot2_f32_f16 v17, v11, v15, v17
	;;#ASMEND
	ds_load_b128 v[8:11], v72 offset:16
	ds_load_b128 v[12:15], v69 offset:144
	s_wait_dscnt 0x0
	;;#ASMSTART
	v_dot2_f32_f16 v17, v8, v12, v17
	;;#ASMEND
	;;#ASMSTART
	v_dot2_f32_f16 v17, v9, v13, v17
	;;#ASMEND
	;;#ASMSTART
	v_dot2_f32_f16 v17, v10, v14, v17
	;;#ASMEND
	;;#ASMSTART
	v_dot2_f32_f16 v17, v11, v15, v17
	;;#ASMEND
	ds_load_b128 v[8:11], v72 offset:32
	;; [unrolled: 15-line block ×7, first 2 shown]
	ds_load_b128 v[12:15], v69 offset:240
	s_wait_dscnt 0x0
	;;#ASMSTART
	v_dot2_f32_f16 v17, v8, v12, v17
	;;#ASMEND
	;;#ASMSTART
	v_dot2_f32_f16 v17, v9, v13, v17
	;;#ASMEND
	;; [unrolled: 3-line block ×4, first 2 shown]
	s_barrier_signal -1
	s_barrier_wait -1
	s_clause 0x3
	global_load_b128 v[8:11], v[6:7], off offset:256
	global_load_b128 v[12:15], v[4:5], off offset:256
	;; [unrolled: 1-line block ×4, first 2 shown]
	s_wait_loadcnt 0x3
	ds_store_b128 v81, v[8:11]
	s_wait_loadcnt 0x2
	ds_store_b128 v85, v[12:15]
	;; [unrolled: 2-line block ×4, first 2 shown]
	s_wait_dscnt 0x0
	s_barrier_signal -1
	s_barrier_wait -1
	ds_load_b128 v[8:11], v72
	ds_load_b128 v[12:15], v69 offset:256
	s_wait_dscnt 0x0
	;;#ASMSTART
	v_dot2_f32_f16 v17, v8, v12, v17
	;;#ASMEND
	;;#ASMSTART
	v_dot2_f32_f16 v17, v9, v13, v17
	;;#ASMEND
	;;#ASMSTART
	v_dot2_f32_f16 v17, v10, v14, v17
	;;#ASMEND
	;;#ASMSTART
	v_dot2_f32_f16 v17, v11, v15, v17
	;;#ASMEND
	ds_load_b128 v[8:11], v72 offset:16
	ds_load_b128 v[12:15], v69 offset:272
	s_wait_dscnt 0x0
	;;#ASMSTART
	v_dot2_f32_f16 v17, v8, v12, v17
	;;#ASMEND
	;;#ASMSTART
	v_dot2_f32_f16 v17, v9, v13, v17
	;;#ASMEND
	;;#ASMSTART
	v_dot2_f32_f16 v17, v10, v14, v17
	;;#ASMEND
	;;#ASMSTART
	v_dot2_f32_f16 v17, v11, v15, v17
	;;#ASMEND
	ds_load_b128 v[8:11], v72 offset:32
	ds_load_b128 v[12:15], v69 offset:288
	s_wait_dscnt 0x0
	;;#ASMSTART
	v_dot2_f32_f16 v17, v8, v12, v17
	;;#ASMEND
	;;#ASMSTART
	v_dot2_f32_f16 v17, v9, v13, v17
	;;#ASMEND
	;;#ASMSTART
	v_dot2_f32_f16 v17, v10, v14, v17
	;;#ASMEND
	;;#ASMSTART
	v_dot2_f32_f16 v17, v11, v15, v17
	;;#ASMEND
	ds_load_b128 v[8:11], v72 offset:48
	ds_load_b128 v[12:15], v69 offset:304
	s_wait_dscnt 0x0
	;;#ASMSTART
	v_dot2_f32_f16 v17, v8, v12, v17
	;;#ASMEND
	;;#ASMSTART
	v_dot2_f32_f16 v17, v9, v13, v17
	;;#ASMEND
	;;#ASMSTART
	v_dot2_f32_f16 v17, v10, v14, v17
	;;#ASMEND
	;;#ASMSTART
	v_dot2_f32_f16 v17, v11, v15, v17
	;;#ASMEND
	ds_load_b128 v[8:11], v72 offset:64
	ds_load_b128 v[12:15], v69 offset:320
	s_wait_dscnt 0x0
	;;#ASMSTART
	v_dot2_f32_f16 v17, v8, v12, v17
	;;#ASMEND
	;;#ASMSTART
	v_dot2_f32_f16 v17, v9, v13, v17
	;;#ASMEND
	;;#ASMSTART
	v_dot2_f32_f16 v17, v10, v14, v17
	;;#ASMEND
	;;#ASMSTART
	v_dot2_f32_f16 v17, v11, v15, v17
	;;#ASMEND
	ds_load_b128 v[8:11], v72 offset:80
	ds_load_b128 v[12:15], v69 offset:336
	s_wait_dscnt 0x0
	;;#ASMSTART
	v_dot2_f32_f16 v17, v8, v12, v17
	;;#ASMEND
	;;#ASMSTART
	v_dot2_f32_f16 v17, v9, v13, v17
	;;#ASMEND
	;;#ASMSTART
	v_dot2_f32_f16 v17, v10, v14, v17
	;;#ASMEND
	;;#ASMSTART
	v_dot2_f32_f16 v17, v11, v15, v17
	;;#ASMEND
	ds_load_b128 v[8:11], v72 offset:96
	ds_load_b128 v[12:15], v69 offset:352
	s_wait_dscnt 0x0
	;;#ASMSTART
	v_dot2_f32_f16 v17, v8, v12, v17
	;;#ASMEND
	;;#ASMSTART
	v_dot2_f32_f16 v17, v9, v13, v17
	;;#ASMEND
	;;#ASMSTART
	v_dot2_f32_f16 v17, v10, v14, v17
	;;#ASMEND
	;;#ASMSTART
	v_dot2_f32_f16 v17, v11, v15, v17
	;;#ASMEND
	ds_load_b128 v[8:11], v72 offset:112
	ds_load_b128 v[12:15], v69 offset:368
	s_wait_dscnt 0x0
	;;#ASMSTART
	v_dot2_f32_f16 v17, v8, v12, v17
	;;#ASMEND
	;;#ASMSTART
	v_dot2_f32_f16 v17, v9, v13, v17
	;;#ASMEND
	;; [unrolled: 3-line block ×4, first 2 shown]
	s_barrier_signal -1
	s_barrier_wait -1
	s_clause 0x3
	global_load_b128 v[6:9], v[6:7], off offset:384
	global_load_b128 v[10:13], v[4:5], off offset:384
	;; [unrolled: 1-line block ×4, first 2 shown]
	s_wait_loadcnt 0x3
	ds_store_b128 v81, v[6:9]
	s_wait_loadcnt 0x2
	ds_store_b128 v85, v[10:13]
	;; [unrolled: 2-line block ×4, first 2 shown]
	s_wait_dscnt 0x0
	s_barrier_signal -1
	s_barrier_wait -1
	ds_load_b128 v[0:3], v72
	ds_load_b128 v[4:7], v69 offset:384
	s_wait_dscnt 0x0
	;;#ASMSTART
	v_dot2_f32_f16 v17, v0, v4, v17
	;;#ASMEND
	;;#ASMSTART
	v_dot2_f32_f16 v17, v1, v5, v17
	;;#ASMEND
	;;#ASMSTART
	v_dot2_f32_f16 v17, v2, v6, v17
	;;#ASMEND
	;;#ASMSTART
	v_dot2_f32_f16 v17, v3, v7, v17
	;;#ASMEND
	ds_load_b128 v[0:3], v72 offset:16
	ds_load_b128 v[4:7], v69 offset:400
	s_wait_dscnt 0x0
	;;#ASMSTART
	v_dot2_f32_f16 v17, v0, v4, v17
	;;#ASMEND
	;;#ASMSTART
	v_dot2_f32_f16 v17, v1, v5, v17
	;;#ASMEND
	;;#ASMSTART
	v_dot2_f32_f16 v17, v2, v6, v17
	;;#ASMEND
	;;#ASMSTART
	v_dot2_f32_f16 v17, v3, v7, v17
	;;#ASMEND
	ds_load_b128 v[0:3], v72 offset:32
	ds_load_b128 v[4:7], v69 offset:416
	s_wait_dscnt 0x0
	;;#ASMSTART
	v_dot2_f32_f16 v17, v0, v4, v17
	;;#ASMEND
	;;#ASMSTART
	v_dot2_f32_f16 v17, v1, v5, v17
	;;#ASMEND
	;;#ASMSTART
	v_dot2_f32_f16 v17, v2, v6, v17
	;;#ASMEND
	;;#ASMSTART
	v_dot2_f32_f16 v17, v3, v7, v17
	;;#ASMEND
	ds_load_b128 v[0:3], v72 offset:48
	ds_load_b128 v[4:7], v69 offset:432
	s_wait_dscnt 0x0
	;;#ASMSTART
	v_dot2_f32_f16 v17, v0, v4, v17
	;;#ASMEND
	;;#ASMSTART
	v_dot2_f32_f16 v17, v1, v5, v17
	;;#ASMEND
	;;#ASMSTART
	v_dot2_f32_f16 v17, v2, v6, v17
	;;#ASMEND
	;;#ASMSTART
	v_dot2_f32_f16 v17, v3, v7, v17
	;;#ASMEND
	ds_load_b128 v[0:3], v72 offset:64
	ds_load_b128 v[4:7], v69 offset:448
	s_wait_dscnt 0x0
	;;#ASMSTART
	v_dot2_f32_f16 v17, v0, v4, v17
	;;#ASMEND
	;;#ASMSTART
	v_dot2_f32_f16 v17, v1, v5, v17
	;;#ASMEND
	;;#ASMSTART
	v_dot2_f32_f16 v17, v2, v6, v17
	;;#ASMEND
	;;#ASMSTART
	v_dot2_f32_f16 v17, v3, v7, v17
	;;#ASMEND
	ds_load_b128 v[0:3], v72 offset:80
	ds_load_b128 v[4:7], v69 offset:464
	s_wait_dscnt 0x0
	;;#ASMSTART
	v_dot2_f32_f16 v17, v0, v4, v17
	;;#ASMEND
	;;#ASMSTART
	v_dot2_f32_f16 v17, v1, v5, v17
	;;#ASMEND
	;;#ASMSTART
	v_dot2_f32_f16 v17, v2, v6, v17
	;;#ASMEND
	;;#ASMSTART
	v_dot2_f32_f16 v17, v3, v7, v17
	;;#ASMEND
	ds_load_b128 v[0:3], v72 offset:96
	ds_load_b128 v[4:7], v69 offset:480
	s_wait_dscnt 0x0
	;;#ASMSTART
	v_dot2_f32_f16 v17, v0, v4, v17
	;;#ASMEND
	;;#ASMSTART
	v_dot2_f32_f16 v17, v1, v5, v17
	;;#ASMEND
	;;#ASMSTART
	v_dot2_f32_f16 v17, v2, v6, v17
	;;#ASMEND
	;;#ASMSTART
	v_dot2_f32_f16 v17, v3, v7, v17
	;;#ASMEND
	ds_load_b128 v[0:3], v72 offset:112
	ds_load_b128 v[4:7], v69 offset:496
	v_mov_b32_e32 v18, 0
	s_wait_dscnt 0x0
	;;#ASMSTART
	v_dot2_f32_f16 v17, v0, v4, v17
	;;#ASMEND
	;;#ASMSTART
	v_dot2_f32_f16 v17, v1, v5, v17
	;;#ASMEND
	;; [unrolled: 3-line block ×4, first 2 shown]
	s_cbranch_vccnz .LBB55_10
; %bb.9:                                ;   in Loop: Header=BB55_8 Depth=1
	v_add_nc_u32_e32 v0, s14, v78
	global_load_u16 v0, v0, s[30:31] scale_offset
	s_wait_loadcnt 0x0
	v_cvt_f32_f16_e32 v0, v0
	s_delay_alu instid0(VALU_DEP_1)
	v_mul_f32_e32 v18, v49, v0
.LBB55_10:                              ;   in Loop: Header=BB55_8 Depth=1
	s_mul_u64 s[26:27], s[14:15], s[10:11]
	s_delay_alu instid0(SALU_CYCLE_1)
	s_lshl_b64 s[26:27], s[26:27], 2
	s_barrier_signal -1
	s_add_nc_u64 s[26:27], s[8:9], s[26:27]
	s_barrier_wait -1
	v_add_nc_u64_e32 v[0:1], s[26:27], v[60:61]
	v_add_nc_u64_e32 v[2:3], s[26:27], v[62:63]
	;; [unrolled: 1-line block ×4, first 2 shown]
	v_dual_add_f32 v17, v17, v18 :: v_dual_bitop2_b32 v19, 16, v45 bitop3:0x14
	v_add_nc_u64_e32 v[0:1], v[0:1], v[76:77]
	v_add_nc_u64_e32 v[8:9], v[2:3], v[76:77]
	;; [unrolled: 1-line block ×4, first 2 shown]
	v_cmp_gt_i32_e32 vcc_lo, 32, v19
	v_max_num_f32_e32 v18, v16, v16
	s_or_b32 s26, s14, 8
	s_clause 0x3
	global_load_b128 v[0:3], v[0:1], off
	global_load_b128 v[4:7], v[8:9], off
	;; [unrolled: 1-line block ×4, first 2 shown]
	s_ashr_i32 s27, s26, 31
	v_dual_cndmask_b32 v19, v45, v19 :: v_dual_add_f32 v20, 0x40051340, v17
	s_mul_u64 s[26:27], s[26:27], s[10:11]
	v_add_nc_u32_e32 v95, 0x800, v89
	s_lshl_b64 s[26:27], s[26:27], 2
	s_delay_alu instid0(VALU_DEP_2)
	v_dual_max_num_f32 v18, v18, v20 :: v_dual_lshlrev_b32 v19, 2, v19
	v_xor_b32_e32 v20, 8, v45
	s_add_nc_u64 s[26:27], s[8:9], s[26:27]
	ds_bpermute_b32 v19, v19, v18
	v_cmp_gt_i32_e32 vcc_lo, 32, v20
	s_wait_dscnt 0x0
	v_dual_cndmask_b32 v20, v45, v20 :: v_dual_max_num_f32 v19, v19, v19
	s_delay_alu instid0(VALU_DEP_1) | instskip(SKIP_3) | instid1(VALU_DEP_1)
	v_dual_lshlrev_b32 v20, 2, v20 :: v_dual_max_num_f32 v18, v18, v19
	ds_bpermute_b32 v19, v20, v18
	s_wait_dscnt 0x0
	v_dual_max_num_f32 v19, v19, v19 :: v_dual_bitop2_b32 v20, 4, v45 bitop3:0x14
	v_cmp_gt_i32_e32 vcc_lo, 32, v20
	s_delay_alu instid0(VALU_DEP_2) | instskip(NEXT) | instid1(VALU_DEP_1)
	v_dual_max_num_f32 v18, v18, v19 :: v_dual_cndmask_b32 v20, v45, v20, vcc_lo
	v_lshlrev_b32_e32 v20, 2, v20
	ds_bpermute_b32 v19, v20, v18
	s_wait_dscnt 0x0
	v_dual_max_num_f32 v19, v19, v19 :: v_dual_bitop2_b32 v20, 2, v45 bitop3:0x14
	s_delay_alu instid0(VALU_DEP_1) | instskip(NEXT) | instid1(VALU_DEP_2)
	v_max_num_f32_e32 v18, v18, v19
	v_cmp_gt_i32_e32 vcc_lo, 32, v20
	v_cndmask_b32_e32 v20, v45, v20, vcc_lo
	s_delay_alu instid0(VALU_DEP_1) | instskip(SKIP_2) | instid1(VALU_DEP_1)
	v_lshlrev_b32_e32 v20, 2, v20
	ds_bpermute_b32 v19, v20, v18
	v_xor_b32_e32 v20, 1, v45
	v_cmp_gt_i32_e32 vcc_lo, 32, v20
	s_wait_dscnt 0x0
	v_max_num_f32_e32 v19, v19, v19
	s_delay_alu instid0(VALU_DEP_1) | instskip(NEXT) | instid1(VALU_DEP_1)
	v_dual_max_num_f32 v18, v18, v19 :: v_dual_cndmask_b32 v20, v45, v20, vcc_lo
	v_lshlrev_b32_e32 v20, 2, v20
	ds_bpermute_b32 v19, v20, v18
	s_wait_dscnt 0x0
	v_max_num_f32_e32 v19, v19, v19
	s_delay_alu instid0(VALU_DEP_1) | instskip(NEXT) | instid1(VALU_DEP_1)
	v_max_num_f32_e32 v46, v18, v19
	v_dual_sub_f32 v17, v17, v46 :: v_dual_sub_f32 v16, v16, v46
	s_delay_alu instid0(VALU_DEP_1) | instskip(SKIP_1) | instid1(VALU_DEP_2)
	v_dual_mul_f32 v18, 0x3fb8aa3b, v17 :: v_dual_mul_f32 v21, 0x3fb8aa3b, v16
	v_cmp_ngt_f32_e32 vcc_lo, 0xc2ce8ed0, v17
	v_fma_f32 v19, 0x3fb8aa3b, v17, -v18
	v_rndne_f32_e32 v20, v18
	s_delay_alu instid0(VALU_DEP_4) | instskip(NEXT) | instid1(VALU_DEP_2)
	v_rndne_f32_e32 v23, v21
	v_dual_fmac_f32 v19, 0x32a5705f, v17 :: v_dual_sub_f32 v18, v18, v20
	v_fma_f32 v22, 0x3fb8aa3b, v16, -v21
	v_cvt_i32_f32_e32 v20, v20
	s_delay_alu instid0(VALU_DEP_2) | instskip(NEXT) | instid1(VALU_DEP_4)
	v_fmac_f32_e32 v22, 0x32a5705f, v16
	v_add_f32_e32 v18, v18, v19
	v_sub_f32_e32 v19, v21, v23
	s_delay_alu instid0(VALU_DEP_1) | instskip(NEXT) | instid1(VALU_DEP_3)
	v_add_f32_e32 v19, v19, v22
	v_exp_f32_e32 v18, v18
	s_delay_alu instid0(VALU_DEP_1) | instskip(NEXT) | instid1(TRANS32_DEP_2)
	v_exp_f32_e32 v19, v19
	v_ldexp_f32 v18, v18, v20
	v_cvt_i32_f32_e32 v20, v23
	s_delay_alu instid0(VALU_DEP_2)
	v_cndmask_b32_e32 v18, 0, v18, vcc_lo
	v_cmp_nlt_f32_e32 vcc_lo, 0x42b17218, v17
	s_delay_alu instid0(TRANS32_DEP_1) | instid1(VALU_DEP_3)
	v_ldexp_f32 v19, v19, v20
	s_delay_alu instid0(VALU_DEP_3) | instskip(SKIP_1) | instid1(VALU_DEP_2)
	v_cndmask_b32_e32 v75, 0x7f800000, v18, vcc_lo
	v_cmp_ngt_f32_e32 vcc_lo, 0xc2ce8ed0, v16
	v_cvt_f16_f32_e32 v18, v75
	s_delay_alu instid0(VALU_DEP_4)
	v_cndmask_b32_e32 v17, 0, v19, vcc_lo
	v_cmp_nlt_f32_e32 vcc_lo, 0x42b17218, v16
	ds_store_b16 v82, v18
	s_wait_loadcnt 0x3
	ds_store_b128 v80, v[0:3]
	s_wait_loadcnt 0x2
	ds_store_b128 v83, v[4:7]
	;; [unrolled: 2-line block ×4, first 2 shown]
	s_wait_dscnt 0x0
	s_barrier_signal -1
	s_barrier_wait -1
	ds_load_b128 v[0:3], v79
	v_cndmask_b32_e32 v96, 0x7f800000, v17, vcc_lo
	ds_load_2addr_b64 v[20:23], v89 offset1:32
	v_add_nc_u64_e32 v[4:5], s[26:27], v[60:61]
	v_add_nc_u64_e32 v[8:9], s[26:27], v[64:65]
	;; [unrolled: 1-line block ×3, first 2 shown]
	v_cvt_f16_f32_e32 v10, v96
	s_delay_alu instid0(VALU_DEP_4) | instskip(NEXT) | instid1(VALU_DEP_2)
	v_add_nc_u64_e32 v[24:25], v[4:5], v[76:77]
	v_and_b32_e32 v12, 0xffff, v10
	v_add_nc_u64_e32 v[10:11], s[26:27], v[66:67]
	v_add_nc_u64_e32 v[32:33], v[8:9], v[76:77]
	;; [unrolled: 1-line block ×3, first 2 shown]
	s_or_b32 s26, s14, 16
	v_mul_u32_u24_e32 v97, 0x10001, v12
	s_ashr_i32 s27, s26, 31
	s_delay_alu instid0(VALU_DEP_4)
	v_add_nc_u64_e32 v[34:35], v[10:11], v[76:77]
	s_wait_dscnt 0x1
	v_and_b32_e32 v4, 0xffff, v0
	v_pk_mul_f16 v98, v41, v97
	v_pk_mul_f16 v99, v40, v97
	ds_load_2addr_b64 v[28:31], v89 offset0:64 offset1:96
	ds_load_2addr_b64 v[40:43], v89 offset0:128 offset1:160
	;; [unrolled: 1-line block ×3, first 2 shown]
	v_lshrrev_b32_e32 v0, 16, v0
	v_mul_u32_u24_e32 v100, 0x10001, v4
	ds_load_2addr_b64 v[12:15], v95 offset1:32
	ds_load_2addr_b64 v[16:19], v95 offset0:64 offset1:96
	ds_load_2addr_b64 v[8:11], v95 offset0:128 offset1:160
	ds_load_2addr_b64 v[4:7], v95 offset0:192 offset1:224
	s_wait_dscnt 0x0
	s_barrier_signal -1
	v_mul_u32_u24_e32 v0, 0x10001, v0
	v_pk_mul_f16 v20, v20, v100
	v_pk_mul_f16 v21, v21, v100
	v_pk_fma_f16 v98, v22, v100, v98
	v_pk_fma_f16 v99, v23, v100, v99
	s_barrier_wait -1
	v_pk_fma_f16 v71, v71, v97, v20
	v_pk_fma_f16 v70, v70, v97, v21
	s_clause 0x1
	global_load_b128 v[20:23], v[24:25], off
	global_load_b128 v[24:27], v[26:27], off
	s_mul_u64 s[26:27], s[26:27], s[10:11]
	v_pk_fma_f16 v97, v30, v0, v98
	v_pk_fma_f16 v98, v31, v0, v99
	;; [unrolled: 1-line block ×4, first 2 shown]
	s_clause 0x1
	global_load_b128 v[28:31], v[32:33], off
	global_load_b128 v[32:35], v[34:35], off
	v_and_b32_e32 v70, 0xffff, v1
	v_lshrrev_b32_e32 v1, 16, v1
	s_lshl_b64 s[26:27], s[26:27], 2
	s_wait_loadcnt 0x3
	ds_store_b128 v80, v[20:23]
	s_wait_loadcnt 0x2
	ds_store_b128 v83, v[24:27]
	;; [unrolled: 2-line block ×4, first 2 shown]
	v_mul_u32_u24_e32 v70, 0x10001, v70
	s_add_nc_u64 s[26:27], s[8:9], s[26:27]
	v_mul_u32_u24_e32 v99, 0x10001, v1
	s_wait_dscnt 0x0
	s_barrier_signal -1
	v_pk_fma_f16 v97, v42, v70, v97
	v_pk_fma_f16 v98, v43, v70, v98
	;; [unrolled: 1-line block ×4, first 2 shown]
	v_add_nc_u64_e32 v[0:1], s[26:27], v[60:61]
	v_pk_fma_f16 v38, v38, v99, v97
	v_pk_fma_f16 v39, v39, v99, v98
	;; [unrolled: 1-line block ×4, first 2 shown]
	v_add_nc_u64_e32 v[36:37], s[26:27], v[66:67]
	s_barrier_wait -1
	v_add_nc_u64_e32 v[70:71], v[0:1], v[76:77]
	v_and_b32_e32 v0, 0xffff, v2
	v_lshrrev_b32_e32 v1, 16, v2
	v_and_b32_e32 v2, 0xffff, v3
	v_add_nc_u64_e32 v[102:103], v[36:37], v[76:77]
	s_delay_alu instid0(VALU_DEP_4) | instskip(NEXT) | instid1(VALU_DEP_4)
	v_mul_u32_u24_e32 v0, 0x10001, v0
	v_mul_u32_u24_e32 v1, 0x10001, v1
	v_lshrrev_b32_e32 v3, 16, v3
	v_mul_u32_u24_e32 v2, 0x10001, v2
	v_add_nc_u64_e32 v[40:41], s[26:27], v[62:63]
	v_pk_fma_f16 v36, v14, v0, v38
	v_pk_fma_f16 v37, v15, v0, v39
	;; [unrolled: 1-line block ×4, first 2 shown]
	ds_load_b128 v[12:15], v79 offset:16
	v_pk_fma_f16 v18, v18, v1, v36
	v_pk_fma_f16 v19, v19, v1, v37
	;; [unrolled: 1-line block ×4, first 2 shown]
	v_mul_u32_u24_e32 v1, 0x10001, v3
	v_pk_fma_f16 v3, v10, v2, v18
	v_pk_fma_f16 v10, v11, v2, v19
	;; [unrolled: 1-line block ×3, first 2 shown]
	ds_load_2addr_b64 v[16:19], v89 offset1:32
	v_add_nc_u64_e32 v[42:43], s[26:27], v[64:65]
	v_add_nc_u64_e32 v[98:99], v[40:41], v[76:77]
	v_pk_fma_f16 v0, v9, v2, v0
	v_pk_fma_f16 v21, v7, v1, v10
	;; [unrolled: 1-line block ×4, first 2 shown]
	s_or_b32 s26, s14, 24
	v_add_nc_u64_e32 v[100:101], v[42:43], v[76:77]
	ds_load_2addr_b64 v[24:27], v89 offset0:64 offset1:96
	ds_load_2addr_b64 v[40:43], v89 offset0:128 offset1:160
	;; [unrolled: 1-line block ×3, first 2 shown]
	ds_load_2addr_b64 v[32:35], v95 offset1:32
	ds_load_2addr_b64 v[8:11], v95 offset0:64 offset1:96
	v_pk_fma_f16 v23, v5, v1, v0
	s_wait_dscnt 0x6
	v_and_b32_e32 v28, 0xffff, v12
	v_lshrrev_b32_e32 v12, 16, v12
	ds_load_2addr_b64 v[4:7], v95 offset0:128 offset1:160
	ds_load_2addr_b64 v[0:3], v95 offset0:192 offset1:224
	s_wait_dscnt 0x0
	s_barrier_signal -1
	v_mul_u32_u24_e32 v28, 0x10001, v28
	s_barrier_wait -1
	s_ashr_i32 s27, s26, 31
	s_delay_alu instid0(VALU_DEP_1)
	v_pk_fma_f16 v29, v16, v28, v22
	v_pk_fma_f16 v30, v17, v28, v23
	;; [unrolled: 1-line block ×4, first 2 shown]
	s_clause 0x1
	global_load_b128 v[16:19], v[70:71], off
	global_load_b128 v[20:23], v[98:99], off
	s_wait_xcnt 0x0
	v_and_b32_e32 v98, 0xffff, v13
	v_lshrrev_b32_e32 v13, 16, v13
	v_mul_u32_u24_e32 v12, 0x10001, v12
	s_mul_u64 s[26:27], s[26:27], s[10:11]
	s_delay_alu instid0(VALU_DEP_3) | instskip(SKIP_1) | instid1(VALU_DEP_2)
	v_mul_u32_u24_e32 v98, 0x10001, v98
	s_lshl_b64 s[26:27], s[26:27], 2
	v_pk_fma_f16 v70, v24, v12, v29
	v_pk_fma_f16 v71, v25, v12, v30
	;; [unrolled: 1-line block ×4, first 2 shown]
	s_clause 0x1
	global_load_b128 v[24:27], v[100:101], off
	global_load_b128 v[28:31], v[102:103], off
	s_add_nc_u64 s[26:27], s[8:9], s[26:27]
	v_mul_u32_u24_e32 v99, 0x10001, v13
	v_pk_fma_f16 v70, v40, v98, v70
	v_pk_fma_f16 v71, v41, v98, v71
	;; [unrolled: 1-line block ×4, first 2 shown]
	v_add_nc_u64_e32 v[12:13], s[26:27], v[60:61]
	s_wait_xcnt 0x1
	v_pk_fma_f16 v100, v36, v99, v70
	v_pk_fma_f16 v101, v37, v99, v71
	;; [unrolled: 1-line block ×4, first 2 shown]
	v_add_nc_u64_e32 v[42:43], s[26:27], v[64:65]
	v_add_nc_u64_e32 v[70:71], s[26:27], v[66:67]
	;; [unrolled: 1-line block ×3, first 2 shown]
	v_and_b32_e32 v12, 0xffff, v14
	v_lshrrev_b32_e32 v13, 16, v14
	v_and_b32_e32 v14, 0xffff, v15
	v_lshrrev_b32_e32 v15, 16, v15
	v_add_nc_u64_e32 v[36:37], v[42:43], v[76:77]
	v_mul_u32_u24_e32 v12, 0x10001, v12
	v_mul_u32_u24_e32 v13, 0x10001, v13
	;; [unrolled: 1-line block ×3, first 2 shown]
	v_add_nc_u64_e32 v[42:43], v[70:71], v[76:77]
	v_add_nc_u64_e32 v[40:41], s[26:27], v[62:63]
	v_pk_fma_f16 v32, v32, v12, v100
	v_pk_fma_f16 v33, v33, v12, v101
	;; [unrolled: 1-line block ×4, first 2 shown]
	s_wait_loadcnt 0x3
	ds_store_b128 v80, v[16:19]
	s_wait_loadcnt 0x2
	ds_store_b128 v83, v[20:23]
	;; [unrolled: 2-line block ×4, first 2 shown]
	s_wait_dscnt 0x0
	s_barrier_signal -1
	s_barrier_wait -1
	ds_load_b128 v[24:27], v79 offset:32
	v_pk_fma_f16 v8, v8, v13, v32
	v_pk_fma_f16 v9, v9, v13, v33
	;; [unrolled: 1-line block ×4, first 2 shown]
	ds_load_2addr_b64 v[28:31], v89 offset1:32
	v_mul_u32_u24_e32 v12, 0x10001, v15
	v_pk_fma_f16 v4, v4, v14, v8
	v_pk_fma_f16 v5, v5, v14, v9
	;; [unrolled: 1-line block ×4, first 2 shown]
	v_add_nc_u64_e32 v[40:41], v[40:41], v[76:77]
	v_pk_fma_f16 v70, v0, v12, v4
	v_pk_fma_f16 v71, v1, v12, v5
	;; [unrolled: 1-line block ×4, first 2 shown]
	ds_load_2addr_b64 v[32:35], v89 offset0:64 offset1:96
	ds_load_2addr_b64 v[20:23], v89 offset0:128 offset1:160
	ds_load_2addr_b64 v[16:19], v89 offset0:192 offset1:224
	ds_load_2addr_b64 v[12:15], v95 offset1:32
	ds_load_2addr_b64 v[8:11], v95 offset0:64 offset1:96
	ds_load_2addr_b64 v[4:7], v95 offset0:128 offset1:160
	;; [unrolled: 1-line block ×3, first 2 shown]
	s_wait_dscnt 0x0
	s_barrier_signal -1
	v_and_b32_e32 v99, 0xffff, v24
	v_dual_lshrrev_b32 v24, 16, v24 :: v_dual_lshrrev_b32 v100, 16, v25
	s_barrier_wait -1
	s_delay_alu instid0(VALU_DEP_2) | instskip(NEXT) | instid1(VALU_DEP_2)
	v_mul_u32_u24_e32 v99, 0x10001, v99
	v_mul_u32_u24_e32 v103, 0x10001, v24
	v_lshrrev_b32_e32 v101, 16, v27
	v_and_b32_e32 v102, 0xffff, v25
	v_and_b32_e32 v104, 0xffff, v26
	v_pk_fma_f16 v70, v28, v99, v70
	v_pk_fma_f16 v71, v29, v99, v71
	;; [unrolled: 1-line block ×4, first 2 shown]
	v_lshrrev_b32_e32 v99, 16, v26
	v_and_b32_e32 v105, 0xffff, v27
	s_clause 0x1
	global_load_b128 v[24:27], v[38:39], off
	global_load_b128 v[28:31], v[40:41], off
	s_wait_xcnt 0x0
	v_pk_fma_f16 v40, v32, v103, v70
	v_pk_fma_f16 v41, v33, v103, v71
	;; [unrolled: 1-line block ×4, first 2 shown]
	s_clause 0x1
	global_load_b128 v[32:35], v[36:37], off
	global_load_b128 v[36:39], v[42:43], off
	s_wait_xcnt 0x0
	v_mul_u32_u24_e32 v42, 0x10001, v102
	v_mul_u32_u24_e32 v43, 0x10001, v100
	s_wait_loadcnt 0x3
	ds_store_b128 v80, v[24:27]
	s_wait_loadcnt 0x2
	ds_store_b128 v83, v[28:31]
	;; [unrolled: 2-line block ×4, first 2 shown]
	v_pk_fma_f16 v20, v20, v42, v40
	v_pk_fma_f16 v21, v21, v42, v41
	v_pk_fma_f16 v22, v22, v42, v70
	v_mul_u32_u24_e32 v40, 0x10001, v104
	v_pk_fma_f16 v23, v23, v42, v71
	v_pk_fma_f16 v16, v16, v43, v20
	v_pk_fma_f16 v17, v17, v43, v21
	v_pk_fma_f16 v18, v18, v43, v22
	v_mul_u32_u24_e32 v20, 0x10001, v99
	v_pk_fma_f16 v19, v19, v43, v23
	v_pk_fma_f16 v12, v12, v40, v16
	v_pk_fma_f16 v13, v13, v40, v17
	v_pk_fma_f16 v14, v14, v40, v18
	v_mul_u32_u24_e32 v16, 0x10001, v105
	v_pk_fma_f16 v15, v15, v40, v19
	v_pk_fma_f16 v8, v8, v20, v12
	v_pk_fma_f16 v9, v9, v20, v13
	;; [unrolled: 1-line block ×3, first 2 shown]
	s_wait_dscnt 0x0
	v_pk_fma_f16 v13, v11, v20, v15
	v_pk_fma_f16 v4, v4, v16, v8
	v_pk_fma_f16 v5, v5, v16, v9
	v_pk_fma_f16 v6, v6, v16, v10
	s_barrier_signal -1
	s_barrier_wait -1
	ds_load_b128 v[8:11], v79 offset:48
	v_mul_u32_u24_e32 v12, 0x10001, v101
	v_pk_fma_f16 v7, v7, v16, v13
	v_fmac_f32_e32 v75, v94, v96
	s_delay_alu instid0(VALU_DEP_3)
	v_pk_fma_f16 v36, v0, v12, v4
	v_pk_fma_f16 v37, v1, v12, v5
	;; [unrolled: 1-line block ×4, first 2 shown]
	ds_load_2addr_b64 v[0:3], v89 offset1:32
	ds_load_2addr_b64 v[4:7], v89 offset0:64 offset1:96
	ds_load_2addr_b64 v[12:15], v89 offset0:128 offset1:160
	;; [unrolled: 1-line block ×3, first 2 shown]
	ds_load_2addr_b64 v[20:23], v95 offset1:32
	ds_load_2addr_b64 v[24:27], v95 offset0:64 offset1:96
	ds_load_2addr_b64 v[28:31], v95 offset0:128 offset1:160
	;; [unrolled: 1-line block ×3, first 2 shown]
	s_wait_dscnt 0x0
	s_barrier_signal -1
	s_barrier_wait -1
	s_load_b32 s15, s[20:21], 0x4
	v_and_b32_e32 v40, 0xffff, v8
	v_dual_lshrrev_b32 v8, 16, v8 :: v_dual_lshrrev_b32 v42, 16, v10
	v_lshrrev_b32_e32 v41, 16, v9
	v_and_b32_e32 v9, 0xffff, v9
	s_delay_alu instid0(VALU_DEP_4) | instskip(NEXT) | instid1(VALU_DEP_4)
	v_mul_u32_u24_e32 v40, 0x10001, v40
	v_mul_u32_u24_e32 v8, 0x10001, v8
	v_and_b32_e32 v10, 0xffff, v10
	v_lshrrev_b32_e32 v43, 16, v11
	v_mul_u32_u24_e32 v9, 0x10001, v9
	v_pk_fma_f16 v0, v0, v40, v36
	v_pk_fma_f16 v1, v1, v40, v37
	;; [unrolled: 1-line block ×4, first 2 shown]
	v_and_b32_e32 v11, 0xffff, v11
	v_pk_fma_f16 v0, v4, v8, v0
	v_pk_fma_f16 v1, v5, v8, v1
	v_pk_fma_f16 v2, v6, v8, v2
	v_pk_fma_f16 v3, v7, v8, v3
	v_mul_u32_u24_e32 v4, 0x10001, v41
	v_pk_fma_f16 v0, v12, v9, v0
	v_pk_fma_f16 v1, v13, v9, v1
	v_pk_fma_f16 v2, v14, v9, v2
	v_pk_fma_f16 v3, v15, v9, v3
	v_mul_u32_u24_e32 v5, 0x10001, v10
	;; [unrolled: 5-line block ×5, first 2 shown]
	v_pk_fma_f16 v0, v28, v5, v0
	v_pk_fma_f16 v1, v29, v5, v1
	;; [unrolled: 1-line block ×4, first 2 shown]
	s_wait_kmcnt 0x0
	s_lshl_b32 s15, s15, 5
	v_pk_fma_f16 v71, v32, v4, v0
	v_pk_fma_f16 v70, v33, v4, v1
	;; [unrolled: 1-line block ×4, first 2 shown]
	s_add_co_i32 s14, s15, s14
	s_delay_alu instid0(SALU_CYCLE_1)
	s_cmp_lt_i32 s14, s3
	s_cbranch_scc0 .LBB55_13
; %bb.11:                               ;   in Loop: Header=BB55_8 Depth=1
	v_dual_mov_b32 v16, v46 :: v_dual_mov_b32 v94, v75
	s_branch .LBB55_8
.LBB55_12:
	v_dual_mov_b32 v71, 0 :: v_dual_mov_b32 v46, 0xfeffffff
	v_dual_mov_b32 v70, 0 :: v_dual_mov_b32 v41, 0
	v_mov_b32_e32 v40, 0
.LBB55_13:
	s_cmp_gt_i32 s2, s14
	s_cbranch_scc1 .LBB55_16
; %bb.14:
	v_mbcnt_lo_u32_b32 v0, -1, 0
	v_mov_b32_e32 v20, 32
	s_delay_alu instid0(VALU_DEP_2)
	v_xor_b32_e32 v92, 16, v0
	v_xor_b32_e32 v91, 8, v0
	;; [unrolled: 1-line block ×5, first 2 shown]
	s_cbranch_execz .LBB55_17
; %bb.15:
	v_mov_b32_e32 v90, v0
	s_branch .LBB55_22
.LBB55_16:
                                        ; implicit-def: $vgpr0
                                        ; implicit-def: $vgpr20
                                        ; implicit-def: $vgpr92
                                        ; implicit-def: $vgpr91
                                        ; implicit-def: $vgpr93
                                        ; implicit-def: $vgpr94
                                        ; implicit-def: $vgpr95
.LBB55_17:
	v_lshl_add_u32 v17, v68, 2, v73
	s_ashr_i32 s15, s14, 31
	s_ashr_i32 s5, s4, 31
	s_mov_b32 s36, 0
	s_mul_u64 s[20:21], s[14:15], s[4:5]
	v_mul_lo_u32 v10, s4, v17
	s_lshl_b64 s[20:21], s[20:21], 2
	v_dual_mov_b32 v2, 0 :: v_dual_lshlrev_b32 v3, 20, v90
	s_add_nc_u64 s[20:21], s[6:7], s[20:21]
	s_mov_b32 s37, s36
	s_mov_b32 s38, s36
	v_mov_b32_e32 v5, 0
	v_add_nc_u64_e32 v[6:7], src_flat_scratch_base_lo, v[2:3]
	s_sub_co_i32 s7, s2, s14
	s_lshl_b32 s4, s4, 3
	s_delay_alu instid0(VALU_DEP_4) | instskip(SKIP_2) | instid1(VALU_DEP_3)
	v_dual_ashrrev_i32 v11, 31, v10 :: v_dual_lshlrev_b32 v4, 2, v48
	v_cmp_gt_i32_e32 vcc_lo, s7, v17
	v_dual_add_nc_u32 v22, s4, v10 :: v_dual_add_nc_u32 v16, 8, v17
	v_lshl_add_u64 v[0:1], v[10:11], 2, s[20:21]
	s_delay_alu instid0(VALU_DEP_2) | instskip(NEXT) | instid1(VALU_DEP_2)
	v_cmp_gt_i32_e64 s2, s7, v16
	v_add_nc_u64_e32 v[8:9], v[0:1], v[4:5]
	v_dual_mov_b32 v0, s36 :: v_dual_mov_b32 v1, s37
	v_dual_mov_b32 v2, s38 :: v_dual_ashrrev_i32 v23, 31, v22
	s_clause 0x1
	scratch_store_b32 off, v5, off
	scratch_store_b96 off, v[0:2], off offset:4
	v_dual_cndmask_b32 v13, v7, v9 :: v_dual_cndmask_b32 v12, v6, v8
	v_lshl_add_u64 v[10:11], v[22:23], 2, s[20:21]
	v_mad_u32_u24 v16, 0x90, v17, v4
	v_add_nc_u64_e32 v[26:27], 0x80, v[8:9]
	flat_load_b128 v[12:15], v[12:13]
	v_add_nc_u64_e32 v[10:11], v[10:11], v[4:5]
	s_clause 0x1
	scratch_store_b32 off, v5, off
	scratch_store_b96 off, v[0:2], off offset:4
	v_dual_cndmask_b32 v27, v7, v27 :: v_dual_cndmask_b32 v26, v6, v26
	v_dual_cndmask_b32 v19, v7, v11, s2 :: v_dual_cndmask_b32 v18, v6, v10, s2
	s_wait_loadcnt_dscnt 0x0
	ds_store_b128 v16, v[12:15]
	v_add_nc_u32_e32 v14, s4, v22
	s_delay_alu instid0(VALU_DEP_1) | instskip(SKIP_1) | instid1(VALU_DEP_1)
	v_ashrrev_i32_e32 v15, 31, v14
	s_wait_xcnt 0x2
	v_lshl_add_u64 v[12:13], v[14:15], 2, s[20:21]
	v_add_nc_u32_e32 v15, 16, v17
	flat_load_b128 v[18:21], v[18:19]
	s_clause 0x1
	scratch_store_b32 off, v5, off
	scratch_store_b96 off, v[0:2], off offset:4
	v_add_nc_u32_e32 v17, 24, v17
	v_add_nc_u64_e32 v[12:13], v[12:13], v[4:5]
	v_cmp_gt_i32_e64 s3, s7, v15
	s_delay_alu instid0(VALU_DEP_1) | instskip(SKIP_2) | instid1(VALU_DEP_2)
	v_dual_cndmask_b32 v23, v7, v13, s3 :: v_dual_cndmask_b32 v22, v6, v12, s3
	v_add_nc_u32_e32 v14, s4, v14
	v_cmp_gt_i32_e64 s4, s7, v17
	v_ashrrev_i32_e32 v15, 31, v14
	s_delay_alu instid0(VALU_DEP_1) | instskip(NEXT) | instid1(VALU_DEP_1)
	v_lshl_add_u64 v[14:15], v[14:15], 2, s[20:21]
	v_add_nc_u64_e32 v[14:15], v[14:15], v[4:5]
	v_mov_b32_e32 v4, v5
	s_wait_loadcnt_dscnt 0x0
	ds_store_b128 v16, v[18:21] offset:1152
	flat_load_b128 v[18:21], v[22:23]
	s_wait_xcnt 0x0
	v_dual_cndmask_b32 v23, v7, v15, s4 :: v_dual_cndmask_b32 v22, v6, v14, s4
	s_clause 0x1
	scratch_store_b32 off, v5, off
	scratch_store_b96 off, v[0:2], off offset:4
	s_wait_loadcnt_dscnt 0x0
	ds_store_b128 v16, v[18:21] offset:2304
	flat_load_b128 v[18:21], v[22:23]
	s_wait_loadcnt_dscnt 0x0
	ds_store_b128 v16, v[18:21] offset:3456
	s_wait_storecnt_dscnt 0x0
	s_barrier_signal -1
	s_barrier_wait -1
	ds_load_b128 v[18:21], v72
	s_wait_xcnt 0x0
	ds_load_b128 v[22:25], v69
	s_wait_dscnt 0x0
	;;#ASMSTART
	v_dot2_f32_f16 v4, v18, v22, v4
	;;#ASMEND
	;;#ASMSTART
	v_dot2_f32_f16 v4, v19, v23, v4
	;;#ASMEND
	;;#ASMSTART
	v_dot2_f32_f16 v4, v20, v24, v4
	;;#ASMEND
	;;#ASMSTART
	v_dot2_f32_f16 v4, v21, v25, v4
	;;#ASMEND
	ds_load_b128 v[18:21], v72 offset:16
	ds_load_b128 v[22:25], v69 offset:16
	s_wait_dscnt 0x0
	;;#ASMSTART
	v_dot2_f32_f16 v4, v18, v22, v4
	;;#ASMEND
	;;#ASMSTART
	v_dot2_f32_f16 v4, v19, v23, v4
	;;#ASMEND
	;;#ASMSTART
	v_dot2_f32_f16 v4, v20, v24, v4
	;;#ASMEND
	;;#ASMSTART
	v_dot2_f32_f16 v4, v21, v25, v4
	;;#ASMEND
	ds_load_b128 v[18:21], v72 offset:32
	ds_load_b128 v[22:25], v69 offset:32
	;; [unrolled: 15-line block ×7, first 2 shown]
	s_wait_dscnt 0x0
	;;#ASMSTART
	v_dot2_f32_f16 v4, v18, v22, v4
	;;#ASMEND
	;;#ASMSTART
	v_dot2_f32_f16 v4, v19, v23, v4
	;;#ASMEND
	;; [unrolled: 3-line block ×4, first 2 shown]
	s_barrier_signal -1
	s_barrier_wait -1
	s_clause 0x1
	scratch_store_b32 off, v5, off
	scratch_store_b96 off, v[0:2], off offset:4
	flat_load_b128 v[18:21], v[26:27]
	v_add_nc_u64_e32 v[22:23], 0x80, v[10:11]
	s_clause 0x1
	scratch_store_b32 off, v5, off
	scratch_store_b96 off, v[0:2], off offset:4
	s_wait_xcnt 0x2
	v_add_nc_u64_e32 v[26:27], 0x100, v[8:9]
	v_add_nc_u64_e32 v[8:9], 0x180, v[8:9]
	v_dual_cndmask_b32 v23, v7, v23, s2 :: v_dual_cndmask_b32 v22, v6, v22, s2
	s_delay_alu instid0(VALU_DEP_3) | instskip(NEXT) | instid1(VALU_DEP_3)
	v_dual_cndmask_b32 v27, v7, v27 :: v_dual_cndmask_b32 v26, v6, v26
	v_dual_cndmask_b32 v9, v7, v9 :: v_dual_cndmask_b32 v8, v6, v8
	s_wait_loadcnt_dscnt 0x0
	ds_store_b128 v16, v[18:21]
	flat_load_b128 v[18:21], v[22:23]
	s_wait_xcnt 0x0
	v_add_nc_u64_e32 v[22:23], 0x80, v[12:13]
	s_clause 0x1
	scratch_store_b32 off, v5, off
	scratch_store_b96 off, v[0:2], off offset:4
	v_dual_cndmask_b32 v23, v7, v23, s3 :: v_dual_cndmask_b32 v22, v6, v22, s3
	s_wait_loadcnt_dscnt 0x0
	ds_store_b128 v16, v[18:21] offset:1152
	flat_load_b128 v[18:21], v[22:23]
	s_wait_xcnt 0x0
	v_add_nc_u64_e32 v[22:23], 0x80, v[14:15]
	s_clause 0x1
	scratch_store_b32 off, v5, off
	scratch_store_b96 off, v[0:2], off offset:4
	v_dual_cndmask_b32 v23, v7, v23, s4 :: v_dual_cndmask_b32 v22, v6, v22, s4
	s_wait_loadcnt_dscnt 0x0
	ds_store_b128 v16, v[18:21] offset:2304
	flat_load_b128 v[18:21], v[22:23]
	s_wait_loadcnt_dscnt 0x0
	ds_store_b128 v16, v[18:21] offset:3456
	s_wait_storecnt_dscnt 0x0
	s_barrier_signal -1
	s_barrier_wait -1
	ds_load_b128 v[18:21], v72
	s_wait_xcnt 0x0
	ds_load_b128 v[22:25], v69 offset:128
	s_wait_dscnt 0x0
	;;#ASMSTART
	v_dot2_f32_f16 v4, v18, v22, v4
	;;#ASMEND
	;;#ASMSTART
	v_dot2_f32_f16 v4, v19, v23, v4
	;;#ASMEND
	;;#ASMSTART
	v_dot2_f32_f16 v4, v20, v24, v4
	;;#ASMEND
	;;#ASMSTART
	v_dot2_f32_f16 v4, v21, v25, v4
	;;#ASMEND
	ds_load_b128 v[18:21], v72 offset:16
	ds_load_b128 v[22:25], v69 offset:144
	s_wait_dscnt 0x0
	;;#ASMSTART
	v_dot2_f32_f16 v4, v18, v22, v4
	;;#ASMEND
	;;#ASMSTART
	v_dot2_f32_f16 v4, v19, v23, v4
	;;#ASMEND
	;;#ASMSTART
	v_dot2_f32_f16 v4, v20, v24, v4
	;;#ASMEND
	;;#ASMSTART
	v_dot2_f32_f16 v4, v21, v25, v4
	;;#ASMEND
	ds_load_b128 v[18:21], v72 offset:32
	;; [unrolled: 15-line block ×7, first 2 shown]
	ds_load_b128 v[22:25], v69 offset:240
	s_wait_dscnt 0x0
	;;#ASMSTART
	v_dot2_f32_f16 v4, v18, v22, v4
	;;#ASMEND
	;;#ASMSTART
	v_dot2_f32_f16 v4, v19, v23, v4
	;;#ASMEND
	;; [unrolled: 3-line block ×4, first 2 shown]
	s_barrier_signal -1
	s_barrier_wait -1
	s_clause 0x1
	scratch_store_b32 off, v5, off
	scratch_store_b96 off, v[0:2], off offset:4
	flat_load_b128 v[18:21], v[26:27]
	v_add_nc_u64_e32 v[22:23], 0x100, v[10:11]
	s_clause 0x1
	scratch_store_b32 off, v5, off
	scratch_store_b96 off, v[0:2], off offset:4
	v_dual_cndmask_b32 v23, v7, v23, s2 :: v_dual_cndmask_b32 v22, v6, v22, s2
	s_wait_loadcnt_dscnt 0x0
	ds_store_b128 v16, v[18:21]
	flat_load_b128 v[18:21], v[22:23]
	s_wait_xcnt 0x0
	v_add_nc_u64_e32 v[22:23], 0x100, v[12:13]
	s_clause 0x1
	scratch_store_b32 off, v5, off
	scratch_store_b96 off, v[0:2], off offset:4
	v_add_nc_u64_e32 v[12:13], 0x180, v[12:13]
	v_dual_cndmask_b32 v23, v7, v23, s3 :: v_dual_cndmask_b32 v22, v6, v22, s3
	s_delay_alu instid0(VALU_DEP_2)
	v_dual_cndmask_b32 v13, v7, v13, s3 :: v_dual_cndmask_b32 v12, v6, v12, s3
	s_wait_loadcnt_dscnt 0x0
	ds_store_b128 v16, v[18:21] offset:1152
	flat_load_b128 v[18:21], v[22:23]
	s_wait_xcnt 0x0
	v_add_nc_u64_e32 v[22:23], 0x100, v[14:15]
	s_clause 0x1
	scratch_store_b32 off, v5, off
	scratch_store_b96 off, v[0:2], off offset:4
	v_dual_cndmask_b32 v23, v7, v23, s4 :: v_dual_cndmask_b32 v22, v6, v22, s4
	s_wait_loadcnt_dscnt 0x0
	ds_store_b128 v16, v[18:21] offset:2304
	flat_load_b128 v[18:21], v[22:23]
	s_wait_loadcnt_dscnt 0x0
	ds_store_b128 v16, v[18:21] offset:3456
	s_wait_storecnt_dscnt 0x0
	s_barrier_signal -1
	s_barrier_wait -1
	ds_load_b128 v[18:21], v72
	s_wait_xcnt 0x0
	ds_load_b128 v[22:25], v69 offset:256
	s_wait_dscnt 0x0
	;;#ASMSTART
	v_dot2_f32_f16 v4, v18, v22, v4
	;;#ASMEND
	;;#ASMSTART
	v_dot2_f32_f16 v4, v19, v23, v4
	;;#ASMEND
	;;#ASMSTART
	v_dot2_f32_f16 v4, v20, v24, v4
	;;#ASMEND
	;;#ASMSTART
	v_dot2_f32_f16 v4, v21, v25, v4
	;;#ASMEND
	ds_load_b128 v[18:21], v72 offset:16
	ds_load_b128 v[22:25], v69 offset:272
	s_wait_dscnt 0x0
	;;#ASMSTART
	v_dot2_f32_f16 v4, v18, v22, v4
	;;#ASMEND
	;;#ASMSTART
	v_dot2_f32_f16 v4, v19, v23, v4
	;;#ASMEND
	;;#ASMSTART
	v_dot2_f32_f16 v4, v20, v24, v4
	;;#ASMEND
	;;#ASMSTART
	v_dot2_f32_f16 v4, v21, v25, v4
	;;#ASMEND
	ds_load_b128 v[18:21], v72 offset:32
	;; [unrolled: 15-line block ×7, first 2 shown]
	ds_load_b128 v[22:25], v69 offset:368
	s_wait_dscnt 0x0
	;;#ASMSTART
	v_dot2_f32_f16 v4, v18, v22, v4
	;;#ASMEND
	;;#ASMSTART
	v_dot2_f32_f16 v4, v19, v23, v4
	;;#ASMEND
	;; [unrolled: 3-line block ×4, first 2 shown]
	s_barrier_signal -1
	s_barrier_wait -1
	s_clause 0x1
	scratch_store_b32 off, v5, off
	scratch_store_b96 off, v[0:2], off offset:4
	flat_load_b128 v[18:21], v[8:9]
	s_wait_xcnt 0x0
	v_add_nc_u64_e32 v[8:9], 0x180, v[10:11]
	s_clause 0x1
	scratch_store_b32 off, v5, off
	scratch_store_b96 off, v[0:2], off offset:4
	v_dual_cndmask_b32 v9, v7, v9, s2 :: v_dual_cndmask_b32 v8, v6, v8, s2
	s_mov_b32 s2, exec_lo
	s_wait_loadcnt_dscnt 0x0
	ds_store_b128 v16, v[18:21]
	flat_load_b128 v[8:11], v[8:9]
	s_clause 0x1
	scratch_store_b32 off, v5, off
	scratch_store_b96 off, v[0:2], off offset:4
	s_wait_loadcnt_dscnt 0x0
	ds_store_b128 v16, v[8:11] offset:1152
	flat_load_b128 v[8:11], v[12:13]
	s_wait_xcnt 0x0
	v_add_nc_u64_e32 v[12:13], 0x180, v[14:15]
	s_clause 0x1
	scratch_store_b32 off, v5, off
	scratch_store_b96 off, v[0:2], off offset:4
	s_wait_xcnt 0x0
	v_dual_mov_b32 v0, v46 :: v_dual_cndmask_b32 v7, v7, v13, s4
	v_cndmask_b32_e64 v6, v6, v12, s4
	s_wait_loadcnt_dscnt 0x0
	ds_store_b128 v16, v[8:11] offset:2304
	flat_load_b128 v[6:9], v[6:7]
	s_wait_loadcnt_dscnt 0x0
	ds_store_b128 v16, v[6:9] offset:3456
	s_wait_storecnt_dscnt 0x0
	s_barrier_signal -1
	s_barrier_wait -1
	s_wait_xcnt 0x0
	ds_load_b128 v[6:9], v72
	ds_load_b128 v[10:13], v69 offset:384
	s_wait_dscnt 0x0
	;;#ASMSTART
	v_dot2_f32_f16 v4, v6, v10, v4
	;;#ASMEND
	;;#ASMSTART
	v_dot2_f32_f16 v4, v7, v11, v4
	;;#ASMEND
	;;#ASMSTART
	v_dot2_f32_f16 v4, v8, v12, v4
	;;#ASMEND
	;;#ASMSTART
	v_dot2_f32_f16 v4, v9, v13, v4
	;;#ASMEND
	ds_load_b128 v[6:9], v72 offset:16
	ds_load_b128 v[10:13], v69 offset:400
	s_wait_dscnt 0x0
	;;#ASMSTART
	v_dot2_f32_f16 v4, v6, v10, v4
	;;#ASMEND
	;;#ASMSTART
	v_dot2_f32_f16 v4, v7, v11, v4
	;;#ASMEND
	;;#ASMSTART
	v_dot2_f32_f16 v4, v8, v12, v4
	;;#ASMEND
	;;#ASMSTART
	v_dot2_f32_f16 v4, v9, v13, v4
	;;#ASMEND
	ds_load_b128 v[6:9], v72 offset:32
	;; [unrolled: 15-line block ×7, first 2 shown]
	ds_load_b128 v[10:13], v69 offset:496
	s_wait_dscnt 0x0
	;;#ASMSTART
	v_dot2_f32_f16 v4, v6, v10, v4
	;;#ASMEND
	;;#ASMSTART
	v_dot2_f32_f16 v4, v7, v11, v4
	;;#ASMEND
	;;#ASMSTART
	v_dot2_f32_f16 v4, v8, v12, v4
	;;#ASMEND
	;;#ASMSTART
	v_dot2_f32_f16 v4, v9, v13, v4
	;;#ASMEND
	v_cmpx_gt_i32_e64 s7, v87
	s_cbranch_execz .LBB55_21
; %bb.18:
	s_cmp_eq_u64 s[30:31], 0
	s_cbranch_scc1 .LBB55_20
; %bb.19:
	v_mul_lo_u32 v0, v74, s35
	s_delay_alu instid0(VALU_DEP_1) | instskip(SKIP_3) | instid1(VALU_DEP_1)
	v_add3_u32 v0, v0, v87, s14
	global_load_u16 v0, v0, s[30:31] scale_offset
	s_wait_loadcnt 0x0
	v_cvt_f32_f16_e32 v0, v0
	v_mul_f32_e32 v5, v49, v0
.LBB55_20:
	s_delay_alu instid0(VALU_DEP_1) | instskip(NEXT) | instid1(VALU_DEP_1)
	v_dual_add_f32 v4, v4, v5 :: v_dual_max_num_f32 v1, v46, v46
	v_add_f32_e32 v0, 0x40051340, v4
	s_delay_alu instid0(VALU_DEP_1)
	v_max_num_f32_e32 v0, v1, v0
.LBB55_21:
	s_or_b32 exec_lo, exec_lo, s2
	v_xor_b32_e32 v92, 16, v90
	s_ashr_i32 s11, s10, 31
	v_dual_add_nc_u32 v101, 2, v68 :: v_dual_add_nc_u32 v103, 4, v68
	s_mul_u64 s[2:3], s[14:15], s[10:11]
	s_delay_alu instid0(VALU_DEP_2)
	v_cmp_gt_i32_e32 vcc_lo, 32, v92
	s_lshl_b64 s[2:3], s[2:3], 2
	s_mov_b32 s4, 0
	s_add_nc_u64 s[20:21], s[8:9], s[2:3]
	v_cmp_gt_i32_e64 s3, s7, v68
	v_dual_cndmask_b32 v1, v90, v92, vcc_lo :: v_dual_bitop2_b32 v91, 8, v90 bitop3:0x14
	s_mov_b32 s6, s4
	s_mov_b32 s5, s4
	s_delay_alu instid0(SALU_CYCLE_1) | instskip(NEXT) | instid1(VALU_DEP_2)
	v_dual_mov_b32 v74, s6 :: v_dual_mov_b32 v73, s5
	v_lshlrev_b32_e32 v1, 2, v1
	v_cmp_gt_i32_e32 vcc_lo, 32, v91
	s_barrier_signal -1
	s_barrier_wait -1
	ds_bpermute_b32 v1, v1, v0
	v_dual_max_num_f32 v0, v0, v0 :: v_dual_cndmask_b32 v2, v90, v91, vcc_lo
	s_wait_dscnt 0x0
	v_lshl_add_u32 v104, v101, 9, v76
	v_lshl_add_u32 v106, v103, 9, v76
	v_xor_b32_e32 v93, 4, v90
	v_lshlrev_b32_e32 v2, 2, v2
	v_xor_b32_e32 v94, 2, v90
	v_dual_ashrrev_i32 v45, 31, v44 :: v_dual_bitop2_b32 v95, 1, v90 bitop3:0x14
	s_delay_alu instid0(VALU_DEP_4) | instskip(SKIP_1) | instid1(VALU_DEP_3)
	v_cmp_gt_i32_e32 vcc_lo, 32, v93
	v_dual_lshlrev_b32 v5, 1, v87 :: v_dual_lshlrev_b32 v98, 6, v68
	v_lshlrev_b64_e32 v[56:57], 2, v[44:45]
	v_max_num_f32_e32 v1, v1, v1
	s_delay_alu instid0(VALU_DEP_1) | instskip(SKIP_4) | instid1(VALU_DEP_2)
	v_max_num_f32_e32 v0, v0, v1
	ds_bpermute_b32 v1, v2, v0
	v_cndmask_b32_e32 v2, v90, v93, vcc_lo
	v_cmp_gt_i32_e32 vcc_lo, 32, v94
	s_wait_dscnt 0x0
	v_dual_max_num_f32 v1, v1, v1 :: v_dual_lshlrev_b32 v2, 2, v2
	s_delay_alu instid0(VALU_DEP_1) | instskip(SKIP_4) | instid1(VALU_DEP_2)
	v_max_num_f32_e32 v0, v0, v1
	ds_bpermute_b32 v1, v2, v0
	v_cndmask_b32_e32 v2, v90, v94, vcc_lo
	v_cmp_gt_i32_e32 vcc_lo, 32, v95
	s_wait_dscnt 0x0
	v_dual_max_num_f32 v1, v1, v1 :: v_dual_lshlrev_b32 v2, 2, v2
	s_delay_alu instid0(VALU_DEP_1) | instskip(SKIP_3) | instid1(VALU_DEP_1)
	v_max_num_f32_e32 v0, v0, v1
	ds_bpermute_b32 v1, v2, v0
	s_wait_dscnt 0x0
	v_dual_cndmask_b32 v2, v90, v95 :: v_dual_max_num_f32 v1, v1, v1
	v_dual_lshlrev_b32 v2, 2, v2 :: v_dual_max_num_f32 v0, v0, v1
	ds_bpermute_b32 v1, v2, v0
	s_wait_dscnt 0x0
	v_max_num_f32_e32 v1, v1, v1
	s_delay_alu instid0(VALU_DEP_1) | instskip(NEXT) | instid1(VALU_DEP_1)
	v_max_num_f32_e32 v96, v0, v1
	v_sub_f32_e32 v2, v4, v96
	s_delay_alu instid0(VALU_DEP_1) | instskip(SKIP_2) | instid1(VALU_DEP_3)
	v_mul_f32_e32 v0, 0x3fb8aa3b, v2
	v_cmp_ngt_f32_e32 vcc_lo, 0xc2ce8ed0, v2
	v_cmp_nlt_f32_e64 s2, 0x42b17218, v2
	v_fma_f32 v1, 0x3fb8aa3b, v2, -v0
	v_rndne_f32_e32 v4, v0
	s_delay_alu instid0(VALU_DEP_1) | instskip(NEXT) | instid1(VALU_DEP_1)
	v_dual_fmac_f32 v1, 0x32a5705f, v2 :: v_dual_sub_f32 v0, v0, v4
	v_dual_mov_b32 v2, 0 :: v_dual_add_f32 v0, v0, v1
	v_cvt_i32_f32_e32 v1, v4
	s_delay_alu instid0(VALU_DEP_2) | instskip(SKIP_4) | instid1(TRANS32_DEP_1)
	v_add_nc_u64_e32 v[78:79], src_flat_scratch_base_lo, v[2:3]
	v_add3_u32 v2, 0x1600, v98, v5
	v_add_nc_u32_e32 v105, 6, v68
	v_exp_f32_e32 v0, v0
	v_nop
	v_ldexp_f32 v4, v0, v1
	v_add_nc_u64_e32 v[0:1], s[20:21], v[56:57]
	s_delay_alu instid0(VALU_DEP_2) | instskip(SKIP_1) | instid1(VALU_DEP_2)
	v_cndmask_b32_e32 v4, 0, v4, vcc_lo
	v_cmp_gt_u32_e32 vcc_lo, s7, v87
	v_cndmask_b32_e64 v4, 0x7f800000, v4, s2
	s_lshl_b32 s2, s10, 1
	s_delay_alu instid0(VALU_DEP_1) | instskip(SKIP_2) | instid1(VALU_DEP_3)
	v_dual_mov_b32 v77, 0 :: v_dual_cndmask_b32 v97, 0, v4, vcc_lo
	v_cmp_gt_i32_e32 vcc_lo, s7, v101
	v_add_nc_u32_e32 v4, s2, v44
	v_add_nc_u64_e32 v[0:1], v[0:1], v[76:77]
	v_mov_b32_e32 v72, s4
	v_cvt_f16_f32_e32 v3, v97
	s_add_co_i32 s4, s7, -8
	s_delay_alu instid0(VALU_DEP_3)
	v_dual_ashrrev_i32 v5, 31, v4 :: v_dual_cndmask_b32 v1, v79, v1, s3
	s_clause 0x1
	scratch_store_b32 off, v77, off
	scratch_store_b96 off, v[72:74], off offset:4
	v_lshlrev_b64_e32 v[80:81], 2, v[4:5]
	ds_store_b16 v2, v3
	v_add_nc_u64_e32 v[6:7], s[20:21], v[80:81]
	s_delay_alu instid0(VALU_DEP_1) | instskip(NEXT) | instid1(VALU_DEP_1)
	v_add_nc_u64_e32 v[6:7], v[6:7], v[76:77]
	v_dual_cndmask_b32 v0, v78, v0, s3 :: v_dual_cndmask_b32 v7, v79, v7, vcc_lo
	flat_load_b128 v[0:3], v[0:1]
	v_cndmask_b32_e32 v6, v78, v6, vcc_lo
	v_cmp_gt_i32_e32 vcc_lo, s7, v103
	v_add_nc_u32_e32 v102, v47, v76
	s_clause 0x1
	scratch_store_b32 off, v77, off
	scratch_store_b96 off, v[72:74], off offset:4
	v_add_nc_u32_e32 v4, s2, v4
	s_delay_alu instid0(VALU_DEP_1) | instskip(NEXT) | instid1(VALU_DEP_1)
	v_ashrrev_i32_e32 v5, 31, v4
	v_lshlrev_b64_e32 v[82:83], 2, v[4:5]
	s_wait_loadcnt_dscnt 0x0
	ds_store_b128 v102, v[0:3]
	flat_load_b128 v[0:3], v[6:7]
	s_wait_xcnt 0x0
	v_add_nc_u64_e32 v[6:7], s[20:21], v[82:83]
	s_clause 0x1
	scratch_store_b32 off, v77, off
	scratch_store_b96 off, v[72:74], off offset:4
	v_add_nc_u64_e32 v[6:7], v[6:7], v[76:77]
	s_delay_alu instid0(VALU_DEP_1) | instskip(SKIP_3) | instid1(SALU_CYCLE_1)
	v_dual_cndmask_b32 v7, v79, v7 :: v_dual_cndmask_b32 v6, v78, v6
	v_cmp_gt_i32_e32 vcc_lo, s7, v105
	v_add_nc_u32_e32 v4, s2, v4
	s_or_b32 s2, s14, 8
	s_ashr_i32 s3, s2, 31
	s_delay_alu instid0(VALU_DEP_1) | instskip(SKIP_1) | instid1(SALU_CYCLE_1)
	v_ashrrev_i32_e32 v5, 31, v4
	s_mul_u64 s[2:3], s[2:3], s[10:11]
	s_lshl_b64 s[2:3], s[2:3], 2
	s_delay_alu instid0(VALU_DEP_1) | instskip(SKIP_1) | instid1(SALU_CYCLE_1)
	v_lshlrev_b64_e32 v[84:85], 2, v[4:5]
	s_add_nc_u64 s[2:3], s[8:9], s[2:3]
	v_add_nc_u64_e32 v[42:43], s[2:3], v[80:81]
	s_delay_alu instid0(VALU_DEP_2) | instskip(NEXT) | instid1(VALU_DEP_2)
	v_add_nc_u64_e32 v[4:5], s[20:21], v[84:85]
	v_add_nc_u64_e32 v[42:43], v[42:43], v[76:77]
	s_delay_alu instid0(VALU_DEP_2) | instskip(NEXT) | instid1(VALU_DEP_1)
	v_add_nc_u64_e32 v[4:5], v[4:5], v[76:77]
	v_dual_cndmask_b32 v5, v79, v5 :: v_dual_cndmask_b32 v4, v78, v4
	v_cmp_gt_i32_e32 vcc_lo, s4, v68
	s_wait_loadcnt_dscnt 0x0
	ds_store_b128 v104, v[0:3]
	flat_load_b128 v[0:3], v[6:7]
	s_clause 0x1
	scratch_store_b32 off, v77, off
	scratch_store_b96 off, v[72:74], off offset:4
	s_wait_loadcnt_dscnt 0x0
	ds_store_b128 v106, v[0:3]
	flat_load_b128 v[0:3], v[4:5]
	s_wait_xcnt 0x0
	v_add_nc_u64_e32 v[4:5], s[2:3], v[56:57]
	s_delay_alu instid0(VALU_DEP_1) | instskip(NEXT) | instid1(VALU_DEP_1)
	v_add_nc_u64_e32 v[4:5], v[4:5], v[76:77]
	v_dual_cndmask_b32 v16, v78, v4 :: v_dual_add_nc_u32 v99, 0x800, v89
	s_delay_alu instid0(VALU_DEP_2)
	v_cndmask_b32_e32 v17, v79, v5, vcc_lo
	v_lshl_add_u32 v100, v105, 9, v76
	v_cmp_gt_i32_e32 vcc_lo, s4, v101
	v_dual_cndmask_b32 v43, v79, v43 :: v_dual_cndmask_b32 v42, v78, v42
	v_cmp_gt_i32_e32 vcc_lo, s4, v103
	s_wait_loadcnt_dscnt 0x0
	ds_store_b128 v100, v[0:3]
	s_wait_storecnt_dscnt 0x0
	s_barrier_signal -1
	s_barrier_wait -1
	ds_load_2addr_b64 v[36:39], v89 offset1:32
	ds_load_b128 v[8:11], v98 offset:5632
	ds_load_2addr_b64 v[32:35], v89 offset0:64 offset1:96
	ds_load_2addr_b64 v[28:31], v89 offset0:128 offset1:160
	;; [unrolled: 1-line block ×3, first 2 shown]
	ds_load_2addr_b64 v[20:23], v99 offset1:32
	ds_load_2addr_b64 v[12:15], v99 offset0:64 offset1:96
	ds_load_2addr_b64 v[4:7], v99 offset0:128 offset1:160
	;; [unrolled: 1-line block ×3, first 2 shown]
	s_wait_dscnt 0x0
	s_barrier_signal -1
	s_barrier_wait -1
	s_clause 0x1
	scratch_store_b32 off, v77, off
	scratch_store_b96 off, v[72:74], off offset:4
	flat_load_b128 v[16:19], v[16:17]
	s_clause 0x1
	scratch_store_b32 off, v77, off
	scratch_store_b96 off, v[72:74], off offset:4
	s_wait_loadcnt_dscnt 0x0
	ds_store_b128 v102, v[16:19]
	flat_load_b128 v[16:19], v[42:43]
	s_wait_xcnt 0x0
	v_add_nc_u64_e32 v[42:43], s[2:3], v[82:83]
	s_clause 0x1
	scratch_store_b32 off, v77, off
	scratch_store_b96 off, v[72:74], off offset:4
	v_add_nc_u64_e32 v[42:43], v[42:43], v[76:77]
	s_delay_alu instid0(VALU_DEP_1)
	v_dual_cndmask_b32 v43, v79, v43 :: v_dual_cndmask_b32 v42, v78, v42
	v_cmp_gt_i32_e32 vcc_lo, s4, v105
	s_wait_loadcnt_dscnt 0x0
	ds_store_b128 v104, v[16:19]
	flat_load_b128 v[16:19], v[42:43]
	s_wait_xcnt 0x0
	v_add_nc_u64_e32 v[42:43], s[2:3], v[84:85]
	s_clause 0x1
	scratch_store_b32 off, v77, off
	scratch_store_b96 off, v[72:74], off offset:4
	s_or_b32 s2, s14, 16
	s_delay_alu instid0(SALU_CYCLE_1) | instskip(NEXT) | instid1(SALU_CYCLE_1)
	s_ashr_i32 s3, s2, 31
	s_mul_u64 s[4:5], s[2:3], s[10:11]
	v_add_nc_u64_e32 v[42:43], v[42:43], v[76:77]
	s_lshl_b64 s[4:5], s[4:5], 2
	s_add_co_i32 s3, s7, -16
	s_add_nc_u64 s[4:5], s[8:9], s[4:5]
	s_delay_alu instid0(VALU_DEP_1)
	v_dual_cndmask_b32 v43, v79, v43 :: v_dual_cndmask_b32 v42, v78, v42
	s_wait_loadcnt_dscnt 0x0
	ds_store_b128 v106, v[16:19]
	flat_load_b128 v[16:19], v[42:43]
	s_wait_xcnt 0x0
	v_sub_f32_e32 v42, v46, v96
	s_delay_alu instid0(VALU_DEP_1) | instskip(NEXT) | instid1(VALU_DEP_1)
	v_mul_f32_e32 v43, 0x3fb8aa3b, v42
	v_fma_f32 v44, 0x3fb8aa3b, v42, -v43
	v_rndne_f32_e32 v45, v43
	s_delay_alu instid0(VALU_DEP_1) | instskip(SKIP_2) | instid1(VALU_DEP_3)
	v_dual_sub_f32 v43, v43, v45 :: v_dual_fmac_f32 v44, 0x32a5705f, v42
	v_cmp_ngt_f32_e32 vcc_lo, 0xc2ce8ed0, v42
	v_cmp_nlt_f32_e64 s2, 0x42b17218, v42
	v_add_f32_e32 v43, v43, v44
	v_cvt_i32_f32_e32 v44, v45
	s_delay_alu instid0(VALU_DEP_2) | instskip(SKIP_1) | instid1(TRANS32_DEP_1)
	v_exp_f32_e32 v43, v43
	v_nop
	v_ldexp_f32 v43, v43, v44
	v_add_nc_u64_e32 v[44:45], s[4:5], v[80:81]
	s_delay_alu instid0(VALU_DEP_1) | instskip(NEXT) | instid1(VALU_DEP_3)
	v_add_nc_u64_e32 v[44:45], v[44:45], v[76:77]
	v_cndmask_b32_e32 v42, 0, v43, vcc_lo
	v_cmp_gt_i32_e32 vcc_lo, s3, v68
	s_delay_alu instid0(VALU_DEP_2) | instskip(SKIP_2) | instid1(VALU_DEP_3)
	v_cndmask_b32_e64 v107, 0x7f800000, v42, s2
	v_add_nc_u64_e32 v[42:43], s[4:5], v[56:57]
	v_cmp_gt_i32_e64 s2, s3, v101
	v_cvt_f16_f32_e32 v46, v107
	v_fmac_f32_e32 v97, v75, v107
	s_delay_alu instid0(VALU_DEP_3) | instskip(SKIP_3) | instid1(VALU_DEP_3)
	v_cndmask_b32_e64 v53, v79, v45, s2
	v_add_nc_u64_e32 v[42:43], v[42:43], v[76:77]
	v_and_b32_e32 v45, 0xffff, v10
	v_and_b32_e32 v46, 0xffff, v46
	v_dual_mov_b32 v75, v97 :: v_dual_cndmask_b32 v55, v79, v43, vcc_lo
	v_and_b32_e32 v43, 0xffff, v8
	s_delay_alu instid0(VALU_DEP_3)
	v_mul_u32_u24_e32 v46, 0x10001, v46
	v_cndmask_b32_e32 v54, v78, v42, vcc_lo
	v_cmp_gt_i32_e32 vcc_lo, s3, v103
	v_lshrrev_b32_e32 v8, 16, v8
	v_mul_u32_u24_e32 v42, 0x10001, v43
	v_pk_mul_f16 v41, v41, v46
	v_pk_mul_f16 v40, v40, v46
	v_and_b32_e32 v43, 0xffff, v9
	v_mul_u32_u24_e32 v8, 0x10001, v8
	v_pk_mul_f16 v36, v36, v42
	v_pk_mul_f16 v37, v37, v42
	v_pk_fma_f16 v38, v38, v42, v41
	v_pk_fma_f16 v39, v39, v42, v40
	v_lshrrev_b32_e32 v9, 16, v9
	v_pk_fma_f16 v36, v71, v46, v36
	v_pk_fma_f16 v37, v70, v46, v37
	v_mul_u32_u24_e32 v40, 0x10001, v43
	v_pk_fma_f16 v34, v34, v8, v38
	v_pk_fma_f16 v35, v35, v8, v39
	v_pk_fma_f16 v32, v32, v8, v36
	v_pk_fma_f16 v8, v33, v8, v37
	v_mul_u32_u24_e32 v9, 0x10001, v9
	v_pk_fma_f16 v30, v30, v40, v34
	v_pk_fma_f16 v31, v31, v40, v35
	;; [unrolled: 5-line block ×3, first 2 shown]
	v_pk_fma_f16 v24, v24, v9, v28
	v_pk_fma_f16 v9, v25, v9, v8
	v_cndmask_b32_e64 v52, v78, v44, s2
	v_pk_fma_f16 v58, v22, v29, v26
	v_pk_fma_f16 v59, v23, v29, v27
	;; [unrolled: 1-line block ×4, first 2 shown]
	v_cmp_gt_i32_e64 s2, s3, v105
	s_wait_loadcnt_dscnt 0x0
	ds_store_b128 v100, v[16:19]
	s_wait_storecnt_dscnt 0x0
	s_barrier_signal -1
	s_barrier_wait -1
	ds_load_2addr_b64 v[44:47], v89 offset1:32
	ds_load_b128 v[48:51], v98 offset:5648
	ds_load_2addr_b64 v[40:43], v89 offset0:64 offset1:96
	ds_load_2addr_b64 v[36:39], v89 offset0:128 offset1:160
	;; [unrolled: 1-line block ×3, first 2 shown]
	ds_load_2addr_b64 v[28:31], v99 offset1:32
	ds_load_2addr_b64 v[24:27], v99 offset0:64 offset1:96
	ds_load_2addr_b64 v[20:23], v99 offset0:128 offset1:160
	;; [unrolled: 1-line block ×3, first 2 shown]
	s_wait_dscnt 0x0
	s_barrier_signal -1
	s_barrier_wait -1
	s_clause 0x1
	scratch_store_b32 off, v77, off
	scratch_store_b96 off, v[72:74], off offset:4
	flat_load_b128 v[60:63], v[54:55]
	s_clause 0x1
	scratch_store_b32 off, v77, off
	scratch_store_b96 off, v[72:74], off offset:4
	s_wait_loadcnt_dscnt 0x0
	ds_store_b128 v102, v[60:63]
	flat_load_b128 v[52:55], v[52:53]
	v_add_nc_u64_e32 v[60:61], s[4:5], v[82:83]
	s_wait_loadcnt_dscnt 0x0
	ds_store_b128 v104, v[52:55]
	s_wait_xcnt 0x0
	v_add_nc_u64_e32 v[52:53], s[4:5], v[84:85]
	v_add_nc_u64_e32 v[54:55], v[60:61], v[76:77]
	s_clause 0x1
	scratch_store_b32 off, v77, off
	scratch_store_b96 off, v[72:74], off offset:4
	s_sub_co_i32 s4, s7, 24
	v_add_nc_u64_e32 v[52:53], v[52:53], v[76:77]
	v_dual_cndmask_b32 v55, v79, v55 :: v_dual_cndmask_b32 v54, v78, v54
	v_cmp_gt_i32_e32 vcc_lo, s4, v68
	s_delay_alu instid0(VALU_DEP_3)
	v_dual_cndmask_b32 v61, v79, v53, s2 :: v_dual_cndmask_b32 v60, v78, v52, s2
	flat_load_b128 v[52:55], v[54:55]
	s_clause 0x1
	scratch_store_b32 off, v77, off
	scratch_store_b96 off, v[72:74], off offset:4
	s_or_b32 s2, s14, 24
	s_delay_alu instid0(SALU_CYCLE_1) | instskip(NEXT) | instid1(SALU_CYCLE_1)
	s_ashr_i32 s3, s2, 31
	s_mul_u64 s[2:3], s[2:3], s[10:11]
	s_delay_alu instid0(SALU_CYCLE_1) | instskip(NEXT) | instid1(SALU_CYCLE_1)
	s_lshl_b64 s[2:3], s[2:3], 2
	s_add_nc_u64 s[2:3], s[8:9], s[2:3]
	s_delay_alu instid0(SALU_CYCLE_1) | instskip(SKIP_1) | instid1(VALU_DEP_2)
	v_add_nc_u64_e32 v[56:57], s[2:3], v[56:57]
	v_add_nc_u64_e32 v[80:81], s[2:3], v[80:81]
	v_add_nc_u64_e32 v[56:57], v[56:57], v[76:77]
	v_lshrrev_b32_e32 v10, 16, v10
	s_delay_alu instid0(VALU_DEP_3) | instskip(NEXT) | instid1(VALU_DEP_3)
	v_add_nc_u64_e32 v[80:81], v[80:81], v[76:77]
	v_cndmask_b32_e32 v109, v79, v57, vcc_lo
	s_delay_alu instid0(VALU_DEP_3) | instskip(SKIP_3) | instid1(VALU_DEP_4)
	v_mul_u32_u24_e32 v10, 0x10001, v10
	v_cndmask_b32_e32 v108, v78, v56, vcc_lo
	v_cmp_gt_i32_e32 vcc_lo, s4, v101
	v_and_b32_e32 v101, 0xffff, v51
	v_pk_fma_f16 v14, v14, v10, v58
	v_pk_fma_f16 v15, v15, v10, v59
	;; [unrolled: 1-line block ×4, first 2 shown]
	v_dual_cndmask_b32 v81, v79, v81 :: v_dual_cndmask_b32 v80, v78, v80
	v_cmp_gt_i32_e32 vcc_lo, s4, v103
	s_wait_loadcnt_dscnt 0x0
	ds_store_b128 v106, v[52:55]
	flat_load_b128 v[52:55], v[60:61]
	s_wait_xcnt 0x0
	v_and_b32_e32 v60, 0xffff, v11
	v_lshrrev_b32_e32 v11, 16, v11
	s_delay_alu instid0(VALU_DEP_2) | instskip(NEXT) | instid1(VALU_DEP_2)
	v_mul_u32_u24_e32 v57, 0x10001, v60
	v_mul_u32_u24_e32 v10, 0x10001, v11
	s_delay_alu instid0(VALU_DEP_2) | instskip(SKIP_3) | instid1(VALU_DEP_4)
	v_pk_fma_f16 v6, v6, v57, v14
	v_pk_fma_f16 v7, v7, v57, v15
	;; [unrolled: 1-line block ×5, first 2 shown]
	s_delay_alu instid0(VALU_DEP_4) | instskip(NEXT) | instid1(VALU_DEP_4)
	v_pk_fma_f16 v113, v3, v10, v7
	v_pk_fma_f16 v114, v0, v10, v4
	s_delay_alu instid0(VALU_DEP_4)
	v_pk_fma_f16 v115, v1, v10, v5
	s_wait_loadcnt_dscnt 0x0
	ds_store_b128 v100, v[52:55]
	s_wait_storecnt_dscnt 0x0
	s_barrier_signal -1
	s_barrier_wait -1
	ds_load_2addr_b64 v[64:67], v89 offset1:32
	ds_load_b128 v[68:71], v98 offset:5664
	ds_load_2addr_b64 v[60:63], v89 offset0:64 offset1:96
	ds_load_2addr_b64 v[56:59], v89 offset0:128 offset1:160
	ds_load_2addr_b64 v[52:55], v89 offset0:192 offset1:224
	ds_load_2addr_b64 v[12:15], v99 offset1:32
	ds_load_2addr_b64 v[8:11], v99 offset0:64 offset1:96
	ds_load_2addr_b64 v[4:7], v99 offset0:128 offset1:160
	;; [unrolled: 1-line block ×3, first 2 shown]
	s_wait_dscnt 0x0
	s_barrier_signal -1
	s_barrier_wait -1
	s_clause 0x1
	scratch_store_b32 off, v77, off
	scratch_store_b96 off, v[72:74], off offset:4
	flat_load_b128 v[108:111], v[108:109]
	s_wait_loadcnt_dscnt 0x0
	ds_store_b128 v102, v[108:111]
	s_clause 0x1
	scratch_store_b32 off, v77, off
	scratch_store_b96 off, v[72:74], off offset:4
	flat_load_b128 v[108:111], v[80:81]
	s_wait_xcnt 0x0
	v_add_nc_u64_e32 v[80:81], s[2:3], v[82:83]
	s_delay_alu instid0(VALU_DEP_1) | instskip(NEXT) | instid1(VALU_DEP_1)
	v_add_nc_u64_e32 v[80:81], v[80:81], v[76:77]
	v_dual_cndmask_b32 v81, v79, v81 :: v_dual_cndmask_b32 v80, v78, v80
	v_cmp_gt_i32_e32 vcc_lo, s4, v105
	s_wait_loadcnt_dscnt 0x0
	ds_store_b128 v104, v[108:111]
	s_clause 0x1
	scratch_store_b32 off, v77, off
	scratch_store_b96 off, v[72:74], off offset:4
	flat_load_b128 v[80:83], v[80:81]
	s_wait_loadcnt_dscnt 0x0
	ds_store_b128 v106, v[80:83]
	s_wait_xcnt 0x0
	v_add_nc_u64_e32 v[80:81], s[2:3], v[84:85]
	s_clause 0x1
	scratch_store_b32 off, v77, off
	scratch_store_b96 off, v[72:74], off offset:4
	v_dual_lshrrev_b32 v82, 16, v50 :: v_dual_lshrrev_b32 v83, 16, v51
	v_and_b32_e32 v84, 0xffff, v49
	v_and_b32_e32 v85, 0xffff, v50
	v_add_nc_u64_e32 v[80:81], v[80:81], v[76:77]
	v_and_b32_e32 v76, 0xffff, v48
	s_wait_xcnt 0x0
	s_delay_alu instid0(VALU_DEP_1) | instskip(NEXT) | instid1(VALU_DEP_3)
	v_mul_u32_u24_e32 v72, 0x10001, v76
	v_dual_cndmask_b32 v79, v79, v81 :: v_dual_cndmask_b32 v78, v78, v80
	v_dual_lshrrev_b32 v80, 16, v48 :: v_dual_lshrrev_b32 v81, 16, v49
	s_delay_alu instid0(VALU_DEP_3)
	v_pk_fma_f16 v46, v46, v72, v112
	v_pk_fma_f16 v44, v44, v72, v114
	flat_load_b128 v[48:51], v[78:79]
	v_mul_u32_u24_e32 v73, 0x10001, v80
	v_pk_fma_f16 v45, v45, v72, v115
	v_pk_fma_f16 v47, v47, v72, v113
	v_mul_u32_u24_e32 v72, 0x10001, v84
	s_delay_alu instid0(VALU_DEP_4)
	v_pk_fma_f16 v42, v42, v73, v46
	v_pk_fma_f16 v40, v40, v73, v44
	v_pk_fma_f16 v41, v41, v73, v45
	v_mul_u32_u24_e32 v44, 0x10001, v81
	v_pk_fma_f16 v43, v43, v73, v47
	v_pk_fma_f16 v38, v38, v72, v42
	v_pk_fma_f16 v36, v36, v72, v40
	v_pk_fma_f16 v37, v37, v72, v41
	v_mul_u32_u24_e32 v40, 0x10001, v85
	v_pk_fma_f16 v39, v39, v72, v43
	;; [unrolled: 5-line block ×5, first 2 shown]
	v_pk_fma_f16 v22, v22, v32, v26
	v_pk_fma_f16 v24, v20, v32, v24
	;; [unrolled: 1-line block ×3, first 2 shown]
	v_mov_b32_e32 v20, 32
	v_pk_fma_f16 v23, v23, v32, v27
	v_pk_fma_f16 v18, v18, v28, v22
	v_and_b32_e32 v22, 0xffff, v68
	v_pk_fma_f16 v16, v16, v28, v24
	v_pk_fma_f16 v17, v17, v28, v21
	v_lshrrev_b32_e32 v21, 16, v68
	v_pk_fma_f16 v19, v19, v28, v23
	v_mul_u32_u24_e32 v22, 0x10001, v22
	v_and_b32_e32 v26, 0xffff, v69
	v_dual_lshrrev_b32 v23, 16, v69 :: v_dual_lshrrev_b32 v24, 16, v70
	v_mul_u32_u24_e32 v21, 0x10001, v21
	s_delay_alu instid0(VALU_DEP_4)
	v_pk_fma_f16 v16, v64, v22, v16
	v_pk_fma_f16 v17, v65, v22, v17
	v_mul_u32_u24_e32 v26, 0x10001, v26
	v_pk_fma_f16 v18, v66, v22, v18
	v_pk_fma_f16 v19, v67, v22, v19
	;; [unrolled: 1-line block ×4, first 2 shown]
	v_and_b32_e32 v27, 0xffff, v70
	v_mul_u32_u24_e32 v23, 0x10001, v23
	v_pk_fma_f16 v18, v62, v21, v18
	v_pk_fma_f16 v19, v63, v21, v19
	;; [unrolled: 1-line block ×4, first 2 shown]
	v_mul_u32_u24_e32 v22, 0x10001, v27
	v_pk_fma_f16 v18, v58, v26, v18
	v_pk_fma_f16 v19, v59, v26, v19
	;; [unrolled: 1-line block ×4, first 2 shown]
	v_and_b32_e32 v28, 0xffff, v71
	v_mul_u32_u24_e32 v21, 0x10001, v24
	v_pk_fma_f16 v18, v54, v23, v18
	v_pk_fma_f16 v19, v55, v23, v19
	v_pk_fma_f16 v12, v12, v22, v16
	v_pk_fma_f16 v13, v13, v22, v17
	v_dual_mov_b32 v46, v96 :: v_dual_lshrrev_b32 v25, 16, v71
	v_mul_u32_u24_e32 v24, 0x10001, v28
	v_pk_fma_f16 v17, v14, v22, v18
	v_pk_fma_f16 v18, v15, v22, v19
	;; [unrolled: 1-line block ×4, first 2 shown]
	v_mul_u32_u24_e32 v16, 0x10001, v25
	v_pk_fma_f16 v10, v10, v21, v17
	v_pk_fma_f16 v11, v11, v21, v18
	;; [unrolled: 1-line block ×4, first 2 shown]
	s_delay_alu instid0(VALU_DEP_4) | instskip(NEXT) | instid1(VALU_DEP_4)
	v_pk_fma_f16 v8, v6, v24, v10
	v_pk_fma_f16 v9, v7, v24, v11
	s_delay_alu instid0(VALU_DEP_4) | instskip(NEXT) | instid1(VALU_DEP_4)
	v_pk_fma_f16 v21, v0, v16, v4
	v_pk_fma_f16 v38, v1, v16, v5
	;; [unrolled: 3-line block ×3, first 2 shown]
	s_wait_loadcnt_dscnt 0x0
	ds_store_b128 v100, v[48:51]
	s_wait_storecnt_dscnt 0x0
	s_barrier_signal -1
	s_barrier_wait -1
	ds_load_b128 v[12:15], v98 offset:5680
	ds_load_2addr_b64 v[4:7], v89 offset1:32
	ds_load_2addr_b64 v[0:3], v89 offset0:64 offset1:96
	ds_load_2addr_b64 v[8:11], v89 offset0:128 offset1:160
	;; [unrolled: 1-line block ×3, first 2 shown]
	ds_load_2addr_b64 v[22:25], v99 offset1:32
	ds_load_2addr_b64 v[26:29], v99 offset0:64 offset1:96
	ds_load_2addr_b64 v[30:33], v99 offset0:128 offset1:160
	;; [unrolled: 1-line block ×3, first 2 shown]
	s_wait_dscnt 0x0
	s_barrier_signal -1
	s_barrier_wait -1
	v_and_b32_e32 v41, 0xffff, v12
	v_dual_lshrrev_b32 v12, 16, v12 :: v_dual_lshrrev_b32 v42, 16, v13
	v_and_b32_e32 v13, 0xffff, v13
	v_dual_lshrrev_b32 v43, 16, v14 :: v_dual_lshrrev_b32 v44, 16, v15
	s_delay_alu instid0(VALU_DEP_4) | instskip(NEXT) | instid1(VALU_DEP_4)
	v_mul_u32_u24_e32 v41, 0x10001, v41
	v_mul_u32_u24_e32 v12, 0x10001, v12
	s_delay_alu instid0(VALU_DEP_4)
	v_mul_u32_u24_e32 v13, 0x10001, v13
	v_and_b32_e32 v14, 0xffff, v14
	v_and_b32_e32 v15, 0xffff, v15
	v_pk_fma_f16 v4, v4, v41, v21
	v_pk_fma_f16 v5, v5, v41, v38
	;; [unrolled: 1-line block ×4, first 2 shown]
	s_delay_alu instid0(VALU_DEP_4) | instskip(NEXT) | instid1(VALU_DEP_4)
	v_pk_fma_f16 v0, v0, v12, v4
	v_pk_fma_f16 v1, v1, v12, v5
	s_delay_alu instid0(VALU_DEP_4) | instskip(NEXT) | instid1(VALU_DEP_4)
	v_pk_fma_f16 v2, v2, v12, v6
	v_pk_fma_f16 v3, v3, v12, v7
	v_mul_u32_u24_e32 v4, 0x10001, v42
	v_pk_fma_f16 v0, v8, v13, v0
	v_pk_fma_f16 v1, v9, v13, v1
	v_pk_fma_f16 v2, v10, v13, v2
	v_pk_fma_f16 v3, v11, v13, v3
	v_mul_u32_u24_e32 v5, 0x10001, v14
	v_pk_fma_f16 v0, v16, v4, v0
	v_pk_fma_f16 v1, v17, v4, v1
	;; [unrolled: 5-line block ×5, first 2 shown]
	v_pk_fma_f16 v2, v32, v5, v2
	v_pk_fma_f16 v3, v33, v5, v3
	s_delay_alu instid0(VALU_DEP_4) | instskip(NEXT) | instid1(VALU_DEP_4)
	v_pk_fma_f16 v71, v34, v4, v0
	v_pk_fma_f16 v70, v35, v4, v1
	s_delay_alu instid0(VALU_DEP_4) | instskip(NEXT) | instid1(VALU_DEP_4)
	v_pk_fma_f16 v41, v36, v4, v2
	v_pk_fma_f16 v40, v37, v4, v3
.LBB55_22:
	v_cmp_lt_i32_e32 vcc_lo, v92, v20
	s_cmp_eq_u64 s[12:13], 0
	s_cselect_b32 s2, -1, 0
	s_cmp_lg_u32 s24, 0
	v_cndmask_b32_e32 v0, v90, v92, vcc_lo
	v_cmp_lt_i32_e32 vcc_lo, v91, v20
	s_cselect_b32 s3, -1, 0
	s_delay_alu instid0(SALU_CYCLE_1) | instskip(NEXT) | instid1(VALU_DEP_2)
	s_or_b32 s2, s3, s2
	v_dual_cndmask_b32 v1, v90, v91 :: v_dual_lshlrev_b32 v0, 2, v0
	v_cmp_lt_i32_e32 vcc_lo, v93, v20
	s_delay_alu instid0(VALU_DEP_2)
	v_lshlrev_b32_e32 v1, 2, v1
	ds_bpermute_b32 v0, v0, v75
	v_cndmask_b32_e32 v2, v90, v93, vcc_lo
	v_cmp_lt_i32_e32 vcc_lo, v94, v20
	s_wait_dscnt 0x0
	v_add_f32_e32 v0, v75, v0
	ds_bpermute_b32 v1, v1, v0
	s_wait_dscnt 0x0
	v_dual_lshlrev_b32 v2, 2, v2 :: v_dual_add_f32 v0, v0, v1
	ds_bpermute_b32 v1, v2, v0
	v_cndmask_b32_e32 v2, v90, v94, vcc_lo
	v_cmp_lt_i32_e32 vcc_lo, v95, v20
	s_wait_dscnt 0x0
	s_delay_alu instid0(VALU_DEP_2) | instskip(SKIP_4) | instid1(VALU_DEP_1)
	v_dual_add_f32 v0, v0, v1 :: v_dual_lshlrev_b32 v2, 2, v2
	ds_bpermute_b32 v1, v2, v0
	s_wait_dscnt 0x0
	v_dual_add_f32 v0, v0, v1 :: v_dual_cndmask_b32 v2, v90, v95, vcc_lo
	s_and_b32 vcc_lo, exec_lo, s2
	v_lshlrev_b32_e32 v2, 2, v2
	ds_bpermute_b32 v1, v2, v0
	s_wait_dscnt 0x0
	v_add_f32_e32 v47, v0, v1
	s_cbranch_vccnz .LBB55_25
; %bb.23:
	v_mov_b32_e32 v0, s33
	global_load_b32 v1, v0, s[12:13] scale_offset
	s_wait_loadcnt 0x0
	v_dual_max_num_f32 v0, v46, v46 :: v_dual_max_num_f32 v2, v1, v1
	s_delay_alu instid0(VALU_DEP_1) | instskip(NEXT) | instid1(VALU_DEP_1)
	v_max_num_f32_e32 v0, v0, v2
	v_sub_f32_e32 v2, v46, v0
	s_delay_alu instid0(VALU_DEP_1) | instskip(SKIP_2) | instid1(VALU_DEP_3)
	v_mul_f32_e32 v3, 0x3fb8aa3b, v2
	v_sub_f32_e32 v1, v1, v0
	v_cmp_ngt_f32_e32 vcc_lo, 0xc2ce8ed0, v2
	v_fma_f32 v4, 0x3fb8aa3b, v2, -v3
	v_rndne_f32_e32 v5, v3
	s_delay_alu instid0(VALU_DEP_1) | instskip(SKIP_2) | instid1(VALU_DEP_3)
	v_dual_fmac_f32 v4, 0x32a5705f, v2 :: v_dual_sub_f32 v3, v3, v5
	v_mul_f32_e32 v6, 0x3fb8aa3b, v1
	v_cvt_i32_f32_e32 v5, v5
	v_add_f32_e32 v3, v3, v4
	s_delay_alu instid0(VALU_DEP_3) | instskip(SKIP_1) | instid1(VALU_DEP_3)
	v_fma_f32 v4, 0x3fb8aa3b, v1, -v6
	v_rndne_f32_e32 v7, v6
	v_exp_f32_e32 v3, v3
	v_nop
	s_delay_alu instid0(TRANS32_DEP_1) | instskip(NEXT) | instid1(VALU_DEP_3)
	v_ldexp_f32 v3, v3, v5
	v_cvt_i32_f32_e32 v5, v7
	s_delay_alu instid0(VALU_DEP_2) | instskip(SKIP_1) | instid1(VALU_DEP_2)
	v_cndmask_b32_e32 v3, 0, v3, vcc_lo
	v_cmp_nlt_f32_e32 vcc_lo, 0x42b17218, v2
	v_cndmask_b32_e32 v2, 0x7f800000, v3, vcc_lo
	v_sub_f32_e32 v6, v6, v7
	v_cmp_ngt_f32_e32 vcc_lo, 0xc2ce8ed0, v1
	v_fmac_f32_e32 v4, 0x32a5705f, v1
	s_delay_alu instid0(VALU_DEP_1) | instskip(NEXT) | instid1(VALU_DEP_1)
	v_add_f32_e32 v4, v6, v4
	v_exp_f32_e32 v4, v4
	v_nop
	s_delay_alu instid0(TRANS32_DEP_1) | instskip(SKIP_1) | instid1(VALU_DEP_2)
	v_ldexp_f32 v3, v4, v5
	v_cvt_f16_f32_e32 v4, v2
	v_cndmask_b32_e32 v3, 0, v3, vcc_lo
	v_cmp_nlt_f32_e32 vcc_lo, 0x42b17218, v1
	s_delay_alu instid0(VALU_DEP_3) | instskip(NEXT) | instid1(VALU_DEP_3)
	v_and_b32_e32 v4, 0xffff, v4
	v_cndmask_b32_e32 v1, 0x7f800000, v3, vcc_lo
	s_delay_alu instid0(VALU_DEP_2) | instskip(NEXT) | instid1(VALU_DEP_2)
	v_mul_u32_u24_e32 v3, 0x10001, v4
	v_fmac_f32_e32 v1, v47, v2
	s_delay_alu instid0(VALU_DEP_2)
	v_pk_mul_f16 v71, v71, v3
	v_pk_mul_f16 v70, v70, v3
	;; [unrolled: 1-line block ×4, first 2 shown]
	v_mov_b64_e32 v[46:47], v[0:1]
	s_mov_b32 s2, exec_lo
	v_cmpx_gt_i32_e64 s22, v86
	s_cbranch_execnz .LBB55_26
.LBB55_24:
	s_sendmsg sendmsg(MSG_DEALLOC_VGPRS)
	s_endpgm
.LBB55_25:
	s_delay_alu instid0(VALU_DEP_1)
	v_mov_b32_e32 v1, v47
	s_mov_b32 s2, exec_lo
	s_wait_xcnt 0x0
	v_cmpx_gt_i32_e64 s22, v86
	s_cbranch_execz .LBB55_24
.LBB55_26:
	v_div_scale_f32 v2, null, v1, v1, 1.0
	v_mad_u32 v0, s28, s22, v86
	s_load_b32 s1, s[0:1], 0xd4
	v_div_scale_f32 v7, vcc_lo, 1.0, v1, 1.0
	s_delay_alu instid0(VALU_DEP_3)
	v_rcp_f32_e32 v5, v2
	v_lshrrev_b32_e32 v16, 16, v41
	v_cvt_f32_f16_e32 v6, v70
	v_cvt_f32_f16_e32 v8, v41
	;; [unrolled: 1-line block ×3, first 2 shown]
	s_wait_xcnt 0x0
	v_cmp_eq_u32_e64 s0, 0, v87
	v_lshrrev_b32_e32 v11, 16, v71
	v_fma_f32 v3, -v2, v5, 1.0
	v_mad_u32 v0, v0, s23, s33
	v_dual_lshrrev_b32 v15, 16, v70 :: v_dual_lshrrev_b32 v17, 16, v40
	s_delay_alu instid0(VALU_DEP_3) | instskip(NEXT) | instid1(VALU_DEP_1)
	v_dual_fmac_f32 v5, v3, v5 :: v_dual_mov_b32 v3, 0
	v_mul_f32_e32 v9, v7, v5
	s_wait_kmcnt 0x0
	s_cmp_lg_u32 s1, 1
	s_delay_alu instid0(VALU_DEP_4) | instskip(SKIP_3) | instid1(VALU_DEP_1)
	v_mad_u32 v0, s1, v0, s24
	s_cselect_b32 s1, -1, 0
	v_fma_f32 v4, -v2, v9, v7
	s_and_b32 s0, s0, s1
	v_fmac_f32_e32 v9, v4, v5
	v_cvt_f32_f16_e32 v4, v71
	s_delay_alu instid0(VALU_DEP_2) | instskip(NEXT) | instid1(VALU_DEP_1)
	v_fma_f32 v2, -v2, v9, v7
	v_div_fmas_f32 v7, v2, v5, v9
	v_lshl_add_u32 v2, v0, 8, v88
	v_cvt_f32_f16_e32 v5, v11
	v_cvt_f32_f16_e32 v9, v16
	;; [unrolled: 1-line block ×3, first 2 shown]
	v_div_fixup_f32 v1, v7, v1, 1.0
	v_lshl_add_u64 v[12:13], v[2:3], 2, s[16:17]
	v_add_nc_u32_e32 v2, 0x80, v2
	v_cvt_f32_f16_e32 v7, v15
	s_delay_alu instid0(VALU_DEP_4) | instskip(NEXT) | instid1(VALU_DEP_3)
	v_cndmask_b32_e64 v14, v1, 1.0, s1
	v_lshl_add_u64 v[16:17], v[2:3], 2, s[16:17]
	s_delay_alu instid0(VALU_DEP_2) | instskip(NEXT) | instid1(VALU_DEP_4)
	v_pk_mul_f32 v[2:3], v[14:15], v[4:5] op_sel_hi:[0,1]
	v_pk_mul_f32 v[4:5], v[14:15], v[6:7] op_sel_hi:[0,1]
	;; [unrolled: 1-line block ×4, first 2 shown]
	s_clause 0x1
	global_store_b128 v[12:13], v[2:5], off
	global_store_b128 v[16:17], v[6:9], off
	s_wait_xcnt 0x0
	s_and_b32 exec_lo, exec_lo, s0
	s_cbranch_execz .LBB55_24
; %bb.27:
	global_store_b64 v0, v[46:47], s[18:19] scale_offset
	s_sendmsg sendmsg(MSG_DEALLOC_VGPRS)
	s_endpgm
	.section	.rodata,"a",@progbits
	.p2align	6, 0x0
	.amdhsa_kernel _ZL15flash_attn_tileILi256ELi256ELi2ELi1ELb0EEvPKcS1_S1_S1_S1_PKiPfP15HIP_vector_typeIfLj2EEffffjfiS5_IjLj3EEiiiiiiiiiiiliiliiiiil
		.amdhsa_group_segment_fixed_size 5760
		.amdhsa_private_segment_fixed_size 32
		.amdhsa_kernarg_size 464
		.amdhsa_user_sgpr_count 2
		.amdhsa_user_sgpr_dispatch_ptr 0
		.amdhsa_user_sgpr_queue_ptr 0
		.amdhsa_user_sgpr_kernarg_segment_ptr 1
		.amdhsa_user_sgpr_dispatch_id 0
		.amdhsa_user_sgpr_kernarg_preload_length 0
		.amdhsa_user_sgpr_kernarg_preload_offset 0
		.amdhsa_user_sgpr_private_segment_size 0
		.amdhsa_wavefront_size32 1
		.amdhsa_uses_dynamic_stack 0
		.amdhsa_enable_private_segment 1
		.amdhsa_system_sgpr_workgroup_id_x 1
		.amdhsa_system_sgpr_workgroup_id_y 1
		.amdhsa_system_sgpr_workgroup_id_z 1
		.amdhsa_system_sgpr_workgroup_info 0
		.amdhsa_system_vgpr_workitem_id 1
		.amdhsa_next_free_vgpr 116
		.amdhsa_next_free_sgpr 47
		.amdhsa_named_barrier_count 0
		.amdhsa_reserve_vcc 1
		.amdhsa_float_round_mode_32 0
		.amdhsa_float_round_mode_16_64 0
		.amdhsa_float_denorm_mode_32 3
		.amdhsa_float_denorm_mode_16_64 3
		.amdhsa_fp16_overflow 0
		.amdhsa_memory_ordered 1
		.amdhsa_forward_progress 1
		.amdhsa_inst_pref_size 116
		.amdhsa_round_robin_scheduling 0
		.amdhsa_exception_fp_ieee_invalid_op 0
		.amdhsa_exception_fp_denorm_src 0
		.amdhsa_exception_fp_ieee_div_zero 0
		.amdhsa_exception_fp_ieee_overflow 0
		.amdhsa_exception_fp_ieee_underflow 0
		.amdhsa_exception_fp_ieee_inexact 0
		.amdhsa_exception_int_div_zero 0
	.end_amdhsa_kernel
	.section	.text._ZL15flash_attn_tileILi256ELi256ELi2ELi1ELb0EEvPKcS1_S1_S1_S1_PKiPfP15HIP_vector_typeIfLj2EEffffjfiS5_IjLj3EEiiiiiiiiiiiliiliiiiil,"axG",@progbits,_ZL15flash_attn_tileILi256ELi256ELi2ELi1ELb0EEvPKcS1_S1_S1_S1_PKiPfP15HIP_vector_typeIfLj2EEffffjfiS5_IjLj3EEiiiiiiiiiiiliiliiiiil,comdat
.Lfunc_end55:
	.size	_ZL15flash_attn_tileILi256ELi256ELi2ELi1ELb0EEvPKcS1_S1_S1_S1_PKiPfP15HIP_vector_typeIfLj2EEffffjfiS5_IjLj3EEiiiiiiiiiiiliiliiiiil, .Lfunc_end55-_ZL15flash_attn_tileILi256ELi256ELi2ELi1ELb0EEvPKcS1_S1_S1_S1_PKiPfP15HIP_vector_typeIfLj2EEffffjfiS5_IjLj3EEiiiiiiiiiiiliiliiiiil
                                        ; -- End function
	.set _ZL15flash_attn_tileILi256ELi256ELi2ELi1ELb0EEvPKcS1_S1_S1_S1_PKiPfP15HIP_vector_typeIfLj2EEffffjfiS5_IjLj3EEiiiiiiiiiiiliiliiiiil.num_vgpr, 116
	.set _ZL15flash_attn_tileILi256ELi256ELi2ELi1ELb0EEvPKcS1_S1_S1_S1_PKiPfP15HIP_vector_typeIfLj2EEffffjfiS5_IjLj3EEiiiiiiiiiiiliiliiiiil.num_agpr, 0
	.set _ZL15flash_attn_tileILi256ELi256ELi2ELi1ELb0EEvPKcS1_S1_S1_S1_PKiPfP15HIP_vector_typeIfLj2EEffffjfiS5_IjLj3EEiiiiiiiiiiiliiliiiiil.numbered_sgpr, 47
	.set _ZL15flash_attn_tileILi256ELi256ELi2ELi1ELb0EEvPKcS1_S1_S1_S1_PKiPfP15HIP_vector_typeIfLj2EEffffjfiS5_IjLj3EEiiiiiiiiiiiliiliiiiil.num_named_barrier, 0
	.set _ZL15flash_attn_tileILi256ELi256ELi2ELi1ELb0EEvPKcS1_S1_S1_S1_PKiPfP15HIP_vector_typeIfLj2EEffffjfiS5_IjLj3EEiiiiiiiiiiiliiliiiiil.private_seg_size, 32
	.set _ZL15flash_attn_tileILi256ELi256ELi2ELi1ELb0EEvPKcS1_S1_S1_S1_PKiPfP15HIP_vector_typeIfLj2EEffffjfiS5_IjLj3EEiiiiiiiiiiiliiliiiiil.uses_vcc, 1
	.set _ZL15flash_attn_tileILi256ELi256ELi2ELi1ELb0EEvPKcS1_S1_S1_S1_PKiPfP15HIP_vector_typeIfLj2EEffffjfiS5_IjLj3EEiiiiiiiiiiiliiliiiiil.uses_flat_scratch, 1
	.set _ZL15flash_attn_tileILi256ELi256ELi2ELi1ELb0EEvPKcS1_S1_S1_S1_PKiPfP15HIP_vector_typeIfLj2EEffffjfiS5_IjLj3EEiiiiiiiiiiiliiliiiiil.has_dyn_sized_stack, 0
	.set _ZL15flash_attn_tileILi256ELi256ELi2ELi1ELb0EEvPKcS1_S1_S1_S1_PKiPfP15HIP_vector_typeIfLj2EEffffjfiS5_IjLj3EEiiiiiiiiiiiliiliiiiil.has_recursion, 0
	.set _ZL15flash_attn_tileILi256ELi256ELi2ELi1ELb0EEvPKcS1_S1_S1_S1_PKiPfP15HIP_vector_typeIfLj2EEffffjfiS5_IjLj3EEiiiiiiiiiiiliiliiiiil.has_indirect_call, 0
	.section	.AMDGPU.csdata,"",@progbits
; Kernel info:
; codeLenInByte = 14804
; TotalNumSgprs: 49
; NumVgprs: 116
; ScratchSize: 32
; MemoryBound: 0
; FloatMode: 240
; IeeeMode: 1
; LDSByteSize: 5760 bytes/workgroup (compile time only)
; SGPRBlocks: 0
; VGPRBlocks: 7
; NumSGPRsForWavesPerEU: 49
; NumVGPRsForWavesPerEU: 116
; NamedBarCnt: 0
; Occupancy: 8
; WaveLimiterHint : 1
; COMPUTE_PGM_RSRC2:SCRATCH_EN: 1
; COMPUTE_PGM_RSRC2:USER_SGPR: 2
; COMPUTE_PGM_RSRC2:TRAP_HANDLER: 0
; COMPUTE_PGM_RSRC2:TGID_X_EN: 1
; COMPUTE_PGM_RSRC2:TGID_Y_EN: 1
; COMPUTE_PGM_RSRC2:TGID_Z_EN: 1
; COMPUTE_PGM_RSRC2:TIDIG_COMP_CNT: 1
	.section	.text._ZL33flash_attn_stream_k_fixup_uniformILi256ELi2ELi1EEvPfPK15HIP_vector_typeIfLj2EEiiiiiiS1_IjLj3EES5_S5_,"axG",@progbits,_ZL33flash_attn_stream_k_fixup_uniformILi256ELi2ELi1EEvPfPK15HIP_vector_typeIfLj2EEiiiiiiS1_IjLj3EES5_S5_,comdat
	.globl	_ZL33flash_attn_stream_k_fixup_uniformILi256ELi2ELi1EEvPfPK15HIP_vector_typeIfLj2EEiiiiiiS1_IjLj3EES5_S5_ ; -- Begin function _ZL33flash_attn_stream_k_fixup_uniformILi256ELi2ELi1EEvPfPK15HIP_vector_typeIfLj2EEiiiiiiS1_IjLj3EES5_S5_
	.p2align	8
	.type	_ZL33flash_attn_stream_k_fixup_uniformILi256ELi2ELi1EEvPfPK15HIP_vector_typeIfLj2EEiiiiiiS1_IjLj3EES5_S5_,@function
_ZL33flash_attn_stream_k_fixup_uniformILi256ELi2ELi1EEvPfPK15HIP_vector_typeIfLj2EEiiiiiiS1_IjLj3EES5_S5_: ; @_ZL33flash_attn_stream_k_fixup_uniformILi256ELi2ELi1EEvPfPK15HIP_vector_typeIfLj2EEiiiiiiS1_IjLj3EES5_S5_
; %bb.0:
	s_load_b256 s[4:11], s[0:1], 0x1c
	s_bfe_u32 s2, ttmp6, 0x40014
	s_lshr_b32 s3, ttmp7, 16
	s_add_co_i32 s2, s2, 1
	s_bfe_u32 s13, ttmp6, 0x40010
	s_mul_i32 s2, s3, s2
	s_bfe_u32 s12, ttmp6, 0x40008
	s_and_b32 s14, ttmp7, 0xffff
	s_add_co_i32 s13, s13, 1
	s_bfe_u32 s15, ttmp6, 0x4000c
	s_add_co_i32 s2, s12, s2
	s_mul_i32 s12, s14, s13
	s_bfe_u32 s13, ttmp6, 0x40004
	s_add_co_i32 s15, s15, 1
	s_add_co_i32 s13, s13, s12
	s_and_b32 s12, ttmp6, 15
	s_mul_i32 s15, ttmp9, s15
	s_getreg_b32 s20, hwreg(HW_REG_IB_STS2, 6, 4)
	s_add_co_i32 s12, s12, s15
	s_load_b128 s[16:19], s[0:1], 0x3c
	s_cmp_eq_u32 s20, 0
	s_cselect_b32 s12, ttmp9, s12
	s_cselect_b32 s13, s14, s13
	s_wait_kmcnt 0x0
	s_mul_hi_u32 s7, s7, s12
	s_cselect_b32 s14, s3, s2
	s_add_co_i32 s2, s12, s7
	s_delay_alu instid0(SALU_CYCLE_1) | instskip(NEXT) | instid1(SALU_CYCLE_1)
	s_lshr_b32 s7, s2, s8
	s_mul_i32 s2, s7, s9
	s_delay_alu instid0(SALU_CYCLE_1) | instskip(NEXT) | instid1(SALU_CYCLE_1)
	s_sub_co_i32 s8, s12, s2
	s_mul_hi_u32 s2, s8, s10
	s_delay_alu instid0(SALU_CYCLE_1) | instskip(SKIP_2) | instid1(SALU_CYCLE_1)
	s_add_co_i32 s9, s8, s2
	s_load_b64 s[2:3], s[0:1], 0x10
	s_lshr_b32 s15, s9, s11
	s_mul_i32 s9, s15, s16
	s_delay_alu instid0(SALU_CYCLE_1) | instskip(NEXT) | instid1(SALU_CYCLE_1)
	s_sub_co_i32 s8, s8, s9
	s_mul_hi_u32 s9, s8, s17
	s_delay_alu instid0(SALU_CYCLE_1) | instskip(NEXT) | instid1(SALU_CYCLE_1)
	s_add_co_i32 s9, s8, s9
	s_lshr_b32 s16, s9, s18
	s_delay_alu instid0(SALU_CYCLE_1) | instskip(NEXT) | instid1(SALU_CYCLE_1)
	s_mul_i32 s9, s16, s19
	s_sub_co_i32 s17, s8, s9
	s_delay_alu instid0(SALU_CYCLE_1) | instskip(NEXT) | instid1(SALU_CYCLE_1)
	s_lshl_b32 s8, s17, 1
	s_add_co_i32 s8, s8, s13
	s_wait_kmcnt 0x0
	s_cmp_lt_i32 s8, s2
	s_cselect_b32 s8, -1, 0
	s_add_co_i32 s9, s16, s14
	s_delay_alu instid0(SALU_CYCLE_1) | instskip(SKIP_1) | instid1(SALU_CYCLE_1)
	s_cmp_lt_i32 s9, s5
	s_cselect_b32 s9, -1, 0
	s_and_b32 s8, s8, s9
	s_delay_alu instid0(SALU_CYCLE_1)
	s_and_not1_b32 vcc_lo, exec_lo, s8
	s_cbranch_vccnz .LBB56_6
; %bb.1:
	s_mul_i32 s2, s7, s2
	s_load_b128 s[8:11], s[0:1], 0x0
	s_wait_xcnt 0x0
	s_add_co_i32 s0, s2, s13
	s_mul_i32 s15, s15, s5
	s_mul_i32 s0, s0, s3
	;; [unrolled: 1-line block ×3, first 2 shown]
	s_add_co_i32 s0, s0, s14
	s_lshl_b32 s1, s1, 9
	s_add_co_i32 s0, s0, s15
	s_mul_i32 s7, s6, s12
	s_add_co_i32 s0, s0, s16
	s_add_co_i32 s5, s7, s6
	s_lshl_b32 s0, s0, 8
	s_add_co_i32 s13, s13, s14
	s_add_co_i32 s1, s1, s0
	s_lshl_b32 s0, s5, 1
	v_or_b32_e32 v4, s1, v0
	s_add_co_i32 s0, s13, s0
	s_add_co_i32 s2, s5, -2
	s_add_co_i32 s0, s0, -2
	s_delay_alu instid0(SALU_CYCLE_1)
	s_ashr_i32 s1, s0, 31
	s_wait_kmcnt 0x0
	global_load_b32 v3, v4, s[8:9] scale_offset
	s_lshl_b64 s[0:1], s[0:1], 3
	v_ashrrev_i32_e32 v5, 31, v4
	s_add_nc_u64 s[0:1], s[10:11], s[0:1]
	s_cmp_lt_i32 s2, s7
	s_load_b32 s14, s[0:1], 0x4
	s_cbranch_scc1 .LBB56_4
; %bb.2:
	s_wait_xcnt 0x0
	s_load_b32 s0, s[0:1], 0x0
	s_add_co_i32 s12, s12, 1
	s_lshl_b32 s3, s13, 8
	s_wait_xcnt 0x0
	s_mul_i32 s1, s6, s12
	s_lshl_b32 s2, s4, 3
	s_lshl_b32 s6, s1, 9
	;; [unrolled: 1-line block ×3, first 2 shown]
	s_add_co_i32 s6, s3, s6
	s_ashr_i32 s3, s2, 31
	s_wait_kmcnt 0x0
	v_dual_mov_b32 v2, s14 :: v_dual_bitop2_b32 v0, s6, v0 bitop3:0x54
	s_add_co_i32 s1, s13, s1
	s_lshl_b32 s4, s4, 1
	s_lshl_b64 s[2:3], s[2:3], 2
	s_delay_alu instid0(VALU_DEP_1)
	v_add_nc_u32_e32 v0, 0xfffffc00, v0
	s_add_co_i32 s4, s1, s4
	s_add_nc_u64 s[2:3], s[10:11], s[2:3]
	s_add_co_i32 s1, s5, -1
	s_add_co_i32 s4, s4, -4
.LBB56_3:                               ; =>This Inner Loop Header: Depth=1
	global_load_b32 v7, v0, s[2:3] scale_offset
	s_ashr_i32 s5, s4, 31
	v_max_num_f32_e64 v1, s0, s0
	s_lshl_b64 s[12:13], s[4:5], 3
	s_delay_alu instid0(SALU_CYCLE_1) | instskip(SKIP_1) | instid1(VALU_DEP_1)
	s_add_nc_u64 s[12:13], s[10:11], s[12:13]
	s_load_b64 s[12:13], s[12:13], 0x0
	v_readfirstlane_b32 s5, v1
	v_add_nc_u32_e32 v0, 0xfffffe00, v0
	s_wait_kmcnt 0x0
	v_max_num_f32_e64 v1, s12, s12
	s_delay_alu instid0(VALU_DEP_1) | instskip(SKIP_1) | instid1(SALU_CYCLE_3)
	v_readfirstlane_b32 s6, v1
	s_max_num_f32 s5, s5, s6
	s_sub_f32 s0, s0, s5
	s_sub_f32 s6, s12, s5
	s_delay_alu instid0(SALU_CYCLE_2) | instskip(NEXT) | instid1(SALU_CYCLE_2)
	s_mul_f32 s12, s0, 0x3fb8aa3b
	s_mul_f32 s14, s6, 0x3fb8aa3b
	s_delay_alu instid0(SALU_CYCLE_2)
	s_xor_b32 s15, s12, 0x80000000
	s_rndne_f32 s16, s12
	s_fmamk_f32 s15, s0, 0x3fb8aa3b, s15
	s_cmp_nlt_f32 s0, 0xc2ce8ed0
	s_rndne_f32 s17, s14
	s_sub_f32 s12, s12, s16
	s_fmamk_f32 s15, s0, 0x32a5705f, s15
	s_cselect_b32 vcc_lo, -1, 0
	s_cmp_ngt_f32 s0, 0x42b17218
	s_delay_alu instid0(SALU_CYCLE_1) | instskip(SKIP_2) | instid1(SALU_CYCLE_1)
	s_add_f32 s12, s12, s15
	s_cvt_i32_f32 s15, s16
	s_sub_f32 s16, s14, s17
	v_s_exp_f32 s12, s12
	v_nop
	s_delay_alu instid0(TRANS32_DEP_1) | instskip(SKIP_1) | instid1(VALU_DEP_1)
	v_ldexp_f32 v1, s12, s15
	s_cvt_i32_f32 s12, s17
	v_cndmask_b32_e32 v1, 0, v1, vcc_lo
	s_cselect_b32 vcc_lo, -1, 0
	s_cmp_ge_f32 s0, 0xc1a00000
	s_delay_alu instid0(VALU_DEP_1)
	v_cndmask_b32_e32 v1, 0x7f800000, v1, vcc_lo
	s_cselect_b32 vcc_lo, -1, 0
	s_xor_b32 s0, s14, 0x80000000
	s_cmp_nlt_f32 s6, 0xc2ce8ed0
	s_fmamk_f32 s0, s6, 0x3fb8aa3b, s0
	v_cndmask_b32_e32 v10, 0, v1, vcc_lo
	s_delay_alu instid0(SALU_CYCLE_2) | instskip(NEXT) | instid1(SALU_CYCLE_3)
	s_fmamk_f32 s0, s6, 0x32a5705f, s0
	s_add_f32 s0, s16, s0
	s_delay_alu instid0(SALU_CYCLE_3) | instskip(SKIP_1) | instid1(TRANS32_DEP_1)
	v_s_exp_f32 s0, s0
	v_nop
	v_ldexp_f32 v6, s0, s12
	s_cselect_b32 s0, -1, 0
	s_cmp_ngt_f32 s6, 0x42b17218
	s_delay_alu instid0(VALU_DEP_1) | instskip(SKIP_2) | instid1(VALU_DEP_1)
	v_cndmask_b32_e64 v6, 0, v6, s0
	s_cselect_b32 s0, -1, 0
	s_cmp_ge_f32 s6, 0xc1a00000
	v_cndmask_b32_e64 v8, 0x7f800000, v6, s0
	s_cselect_b32 s0, -1, 0
	v_mov_b32_e32 v6, s13
	s_add_co_i32 s1, s1, -1
	s_add_co_i32 s4, s4, -2
	v_cndmask_b32_e64 v8, 0, v8, s0
	s_cmp_le_i32 s1, s7
	s_mov_b32 s0, s5
	s_wait_loadcnt 0x0
	s_delay_alu instid0(VALU_DEP_1) | instskip(NEXT) | instid1(VALU_DEP_1)
	v_pk_mul_f32 v[6:7], v[6:7], v[8:9] op_sel_hi:[1,0]
	v_pk_fma_f32 v[2:3], v[2:3], v[10:11], v[6:7] op_sel_hi:[1,0,1]
	s_cbranch_scc0 .LBB56_3
	s_branch .LBB56_5
.LBB56_4:
	s_wait_kmcnt 0x0
	v_mov_b32_e32 v2, s14
.LBB56_5:
	v_lshl_add_u64 v[0:1], v[4:5], 2, s[8:9]
	s_wait_loadcnt 0x0
	s_delay_alu instid0(VALU_DEP_2) | instskip(NEXT) | instid1(VALU_DEP_1)
	v_div_scale_f32 v4, null, v2, v2, v3
	v_rcp_f32_e32 v5, v4
	v_nop
	s_delay_alu instid0(TRANS32_DEP_1) | instskip(NEXT) | instid1(VALU_DEP_1)
	v_fma_f32 v6, -v4, v5, 1.0
	v_fmac_f32_e32 v5, v6, v5
	v_div_scale_f32 v6, vcc_lo, v3, v2, v3
	s_delay_alu instid0(VALU_DEP_1) | instskip(NEXT) | instid1(VALU_DEP_1)
	v_mul_f32_e32 v7, v6, v5
	v_fma_f32 v8, -v4, v7, v6
	s_delay_alu instid0(VALU_DEP_1) | instskip(NEXT) | instid1(VALU_DEP_1)
	v_fmac_f32_e32 v7, v8, v5
	v_fma_f32 v4, -v4, v7, v6
	s_delay_alu instid0(VALU_DEP_1) | instskip(NEXT) | instid1(VALU_DEP_1)
	v_div_fmas_f32 v4, v4, v5, v7
	v_div_fixup_f32 v2, v4, v2, v3
	global_store_b32 v[0:1], v2, off
.LBB56_6:
	s_endpgm
	.section	.rodata,"a",@progbits
	.p2align	6, 0x0
	.amdhsa_kernel _ZL33flash_attn_stream_k_fixup_uniformILi256ELi2ELi1EEvPfPK15HIP_vector_typeIfLj2EEiiiiiiS1_IjLj3EES5_S5_
		.amdhsa_group_segment_fixed_size 0
		.amdhsa_private_segment_fixed_size 0
		.amdhsa_kernarg_size 76
		.amdhsa_user_sgpr_count 2
		.amdhsa_user_sgpr_dispatch_ptr 0
		.amdhsa_user_sgpr_queue_ptr 0
		.amdhsa_user_sgpr_kernarg_segment_ptr 1
		.amdhsa_user_sgpr_dispatch_id 0
		.amdhsa_user_sgpr_kernarg_preload_length 0
		.amdhsa_user_sgpr_kernarg_preload_offset 0
		.amdhsa_user_sgpr_private_segment_size 0
		.amdhsa_wavefront_size32 1
		.amdhsa_uses_dynamic_stack 0
		.amdhsa_enable_private_segment 0
		.amdhsa_system_sgpr_workgroup_id_x 1
		.amdhsa_system_sgpr_workgroup_id_y 1
		.amdhsa_system_sgpr_workgroup_id_z 1
		.amdhsa_system_sgpr_workgroup_info 0
		.amdhsa_system_vgpr_workitem_id 0
		.amdhsa_next_free_vgpr 12
		.amdhsa_next_free_sgpr 21
		.amdhsa_named_barrier_count 0
		.amdhsa_reserve_vcc 1
		.amdhsa_float_round_mode_32 0
		.amdhsa_float_round_mode_16_64 0
		.amdhsa_float_denorm_mode_32 3
		.amdhsa_float_denorm_mode_16_64 3
		.amdhsa_fp16_overflow 0
		.amdhsa_memory_ordered 1
		.amdhsa_forward_progress 1
		.amdhsa_inst_pref_size 9
		.amdhsa_round_robin_scheduling 0
		.amdhsa_exception_fp_ieee_invalid_op 0
		.amdhsa_exception_fp_denorm_src 0
		.amdhsa_exception_fp_ieee_div_zero 0
		.amdhsa_exception_fp_ieee_overflow 0
		.amdhsa_exception_fp_ieee_underflow 0
		.amdhsa_exception_fp_ieee_inexact 0
		.amdhsa_exception_int_div_zero 0
	.end_amdhsa_kernel
	.section	.text._ZL33flash_attn_stream_k_fixup_uniformILi256ELi2ELi1EEvPfPK15HIP_vector_typeIfLj2EEiiiiiiS1_IjLj3EES5_S5_,"axG",@progbits,_ZL33flash_attn_stream_k_fixup_uniformILi256ELi2ELi1EEvPfPK15HIP_vector_typeIfLj2EEiiiiiiS1_IjLj3EES5_S5_,comdat
.Lfunc_end56:
	.size	_ZL33flash_attn_stream_k_fixup_uniformILi256ELi2ELi1EEvPfPK15HIP_vector_typeIfLj2EEiiiiiiS1_IjLj3EES5_S5_, .Lfunc_end56-_ZL33flash_attn_stream_k_fixup_uniformILi256ELi2ELi1EEvPfPK15HIP_vector_typeIfLj2EEiiiiiiS1_IjLj3EES5_S5_
                                        ; -- End function
	.set _ZL33flash_attn_stream_k_fixup_uniformILi256ELi2ELi1EEvPfPK15HIP_vector_typeIfLj2EEiiiiiiS1_IjLj3EES5_S5_.num_vgpr, 12
	.set _ZL33flash_attn_stream_k_fixup_uniformILi256ELi2ELi1EEvPfPK15HIP_vector_typeIfLj2EEiiiiiiS1_IjLj3EES5_S5_.num_agpr, 0
	.set _ZL33flash_attn_stream_k_fixup_uniformILi256ELi2ELi1EEvPfPK15HIP_vector_typeIfLj2EEiiiiiiS1_IjLj3EES5_S5_.numbered_sgpr, 21
	.set _ZL33flash_attn_stream_k_fixup_uniformILi256ELi2ELi1EEvPfPK15HIP_vector_typeIfLj2EEiiiiiiS1_IjLj3EES5_S5_.num_named_barrier, 0
	.set _ZL33flash_attn_stream_k_fixup_uniformILi256ELi2ELi1EEvPfPK15HIP_vector_typeIfLj2EEiiiiiiS1_IjLj3EES5_S5_.private_seg_size, 0
	.set _ZL33flash_attn_stream_k_fixup_uniformILi256ELi2ELi1EEvPfPK15HIP_vector_typeIfLj2EEiiiiiiS1_IjLj3EES5_S5_.uses_vcc, 1
	.set _ZL33flash_attn_stream_k_fixup_uniformILi256ELi2ELi1EEvPfPK15HIP_vector_typeIfLj2EEiiiiiiS1_IjLj3EES5_S5_.uses_flat_scratch, 0
	.set _ZL33flash_attn_stream_k_fixup_uniformILi256ELi2ELi1EEvPfPK15HIP_vector_typeIfLj2EEiiiiiiS1_IjLj3EES5_S5_.has_dyn_sized_stack, 0
	.set _ZL33flash_attn_stream_k_fixup_uniformILi256ELi2ELi1EEvPfPK15HIP_vector_typeIfLj2EEiiiiiiS1_IjLj3EES5_S5_.has_recursion, 0
	.set _ZL33flash_attn_stream_k_fixup_uniformILi256ELi2ELi1EEvPfPK15HIP_vector_typeIfLj2EEiiiiiiS1_IjLj3EES5_S5_.has_indirect_call, 0
	.section	.AMDGPU.csdata,"",@progbits
; Kernel info:
; codeLenInByte = 1080
; TotalNumSgprs: 23
; NumVgprs: 12
; ScratchSize: 0
; MemoryBound: 0
; FloatMode: 240
; IeeeMode: 1
; LDSByteSize: 0 bytes/workgroup (compile time only)
; SGPRBlocks: 0
; VGPRBlocks: 0
; NumSGPRsForWavesPerEU: 23
; NumVGPRsForWavesPerEU: 12
; NamedBarCnt: 0
; Occupancy: 16
; WaveLimiterHint : 0
; COMPUTE_PGM_RSRC2:SCRATCH_EN: 0
; COMPUTE_PGM_RSRC2:USER_SGPR: 2
; COMPUTE_PGM_RSRC2:TRAP_HANDLER: 0
; COMPUTE_PGM_RSRC2:TGID_X_EN: 1
; COMPUTE_PGM_RSRC2:TGID_Y_EN: 1
; COMPUTE_PGM_RSRC2:TGID_Z_EN: 1
; COMPUTE_PGM_RSRC2:TIDIG_COMP_CNT: 0
	.section	.text._ZL33flash_attn_stream_k_fixup_generalILi256ELi2ELi1EEvPfPK15HIP_vector_typeIfLj2EEiiiiS1_IjLj3EES5_S5_S5_,"axG",@progbits,_ZL33flash_attn_stream_k_fixup_generalILi256ELi2ELi1EEvPfPK15HIP_vector_typeIfLj2EEiiiiS1_IjLj3EES5_S5_S5_,comdat
	.globl	_ZL33flash_attn_stream_k_fixup_generalILi256ELi2ELi1EEvPfPK15HIP_vector_typeIfLj2EEiiiiS1_IjLj3EES5_S5_S5_ ; -- Begin function _ZL33flash_attn_stream_k_fixup_generalILi256ELi2ELi1EEvPfPK15HIP_vector_typeIfLj2EEiiiiS1_IjLj3EES5_S5_S5_
	.p2align	8
	.type	_ZL33flash_attn_stream_k_fixup_generalILi256ELi2ELi1EEvPfPK15HIP_vector_typeIfLj2EEiiiiS1_IjLj3EES5_S5_S5_,@function
_ZL33flash_attn_stream_k_fixup_generalILi256ELi2ELi1EEvPfPK15HIP_vector_typeIfLj2EEiiiiS1_IjLj3EES5_S5_S5_: ; @_ZL33flash_attn_stream_k_fixup_generalILi256ELi2ELi1EEvPfPK15HIP_vector_typeIfLj2EEiiiiS1_IjLj3EES5_S5_S5_
; %bb.0:
	s_clause 0x1
	s_load_b128 s[4:7], s[0:1], 0x10
	s_load_b32 s16, s[0:1], 0x50
	s_bfe_u32 s2, ttmp6, 0x4000c
	s_and_b32 s3, ttmp6, 15
	s_add_co_i32 s2, s2, 1
	s_getreg_b32 s15, hwreg(HW_REG_IB_STS2, 6, 4)
	s_mul_i32 s2, ttmp9, s2
	s_mov_b32 s17, 0
	s_add_co_i32 s3, s3, s2
	s_cmp_eq_u32 s15, 0
	s_cselect_b32 s2, ttmp9, s3
	s_delay_alu instid0(SALU_CYCLE_1) | instskip(SKIP_3) | instid1(SALU_CYCLE_1)
	s_ashr_i32 s3, s2, 31
	s_wait_kmcnt 0x0
	s_ashr_i32 s19, s7, 31
	s_mov_b32 s18, s7
	s_mul_u64 s[8:9], s[18:19], s[2:3]
	s_delay_alu instid0(SALU_CYCLE_1) | instskip(NEXT) | instid1(SALU_CYCLE_1)
	s_and_b64 s[10:11], s[8:9], 0xffffffff00000000
	s_cmp_lg_u64 s[10:11], 0
	s_cbranch_scc0 .LBB57_21
; %bb.1:
	s_add_nc_u64 s[10:11], s[16:17], 0
	s_mov_b32 s23, s17
	s_xor_b64 s[10:11], s[10:11], 0
	s_mov_b32 s27, s17
	s_cvt_f32_u32 s3, s10
	s_cvt_f32_u32 s7, s11
	s_sub_nc_u64 s[20:21], 0, s[10:11]
	s_delay_alu instid0(SALU_CYCLE_2) | instskip(NEXT) | instid1(SALU_CYCLE_3)
	s_fmamk_f32 s3, s7, 0x4f800000, s3
	v_s_rcp_f32 s3, s3
	s_delay_alu instid0(TRANS32_DEP_1) | instskip(NEXT) | instid1(SALU_CYCLE_3)
	s_mul_f32 s3, s3, 0x5f7ffffc
	s_mul_f32 s7, s3, 0x2f800000
	s_delay_alu instid0(SALU_CYCLE_3) | instskip(NEXT) | instid1(SALU_CYCLE_3)
	s_trunc_f32 s7, s7
	s_fmamk_f32 s3, s7, 0xcf800000, s3
	s_cvt_u32_f32 s13, s7
	s_delay_alu instid0(SALU_CYCLE_2) | instskip(NEXT) | instid1(SALU_CYCLE_3)
	s_cvt_u32_f32 s12, s3
	s_mul_u64 s[24:25], s[20:21], s[12:13]
	s_delay_alu instid0(SALU_CYCLE_1)
	s_mul_hi_u32 s29, s12, s25
	s_mul_i32 s28, s12, s25
	s_mul_hi_u32 s22, s12, s24
	s_mul_i32 s7, s13, s24
	s_add_nc_u64 s[22:23], s[22:23], s[28:29]
	s_mul_hi_u32 s3, s13, s24
	s_mul_hi_u32 s14, s13, s25
	s_add_co_u32 s7, s22, s7
	s_add_co_ci_u32 s26, s23, s3
	s_mul_i32 s24, s13, s25
	s_add_co_ci_u32 s25, s14, 0
	s_delay_alu instid0(SALU_CYCLE_1) | instskip(SKIP_3) | instid1(SALU_CYCLE_1)
	s_add_nc_u64 s[22:23], s[26:27], s[24:25]
	s_mov_b32 s25, s17
	s_add_co_u32 s12, s12, s22
	s_cselect_b32 s3, -1, 0
	s_cmp_lg_u32 s3, 0
	s_add_co_ci_u32 s13, s13, s23
	s_mov_b32 s23, s17
	s_mul_u64 s[20:21], s[20:21], s[12:13]
	s_delay_alu instid0(SALU_CYCLE_1)
	s_mul_hi_u32 s27, s12, s21
	s_mul_i32 s26, s12, s21
	s_mul_hi_u32 s22, s12, s20
	s_mul_i32 s7, s13, s20
	s_add_nc_u64 s[22:23], s[22:23], s[26:27]
	s_mul_hi_u32 s3, s13, s20
	s_mul_hi_u32 s14, s13, s21
	s_add_co_u32 s7, s22, s7
	s_add_co_ci_u32 s24, s23, s3
	s_mul_i32 s20, s13, s21
	s_add_co_ci_u32 s21, s14, 0
	s_mov_b32 s23, s17
	s_add_nc_u64 s[20:21], s[24:25], s[20:21]
	s_delay_alu instid0(SALU_CYCLE_1) | instskip(SKIP_1) | instid1(SALU_CYCLE_1)
	s_add_co_u32 s3, s12, s20
	s_cselect_b32 s7, -1, 0
	s_cmp_lg_u32 s7, 0
	s_add_co_ci_u32 s7, s13, s21
	s_ashr_i32 s12, s9, 31
	s_delay_alu instid0(SALU_CYCLE_1) | instskip(NEXT) | instid1(SALU_CYCLE_1)
	s_mov_b32 s13, s12
	s_add_nc_u64 s[20:21], s[8:9], s[12:13]
	s_delay_alu instid0(SALU_CYCLE_1) | instskip(NEXT) | instid1(SALU_CYCLE_1)
	s_xor_b64 s[20:21], s[20:21], s[12:13]
	s_mul_hi_u32 s27, s20, s7
	s_mul_i32 s26, s20, s7
	s_mul_hi_u32 s22, s20, s3
	s_mul_hi_u32 s14, s21, s3
	s_mul_i32 s3, s21, s3
	s_add_nc_u64 s[22:23], s[22:23], s[26:27]
	s_mul_hi_u32 s9, s21, s7
	s_add_co_u32 s3, s22, s3
	s_add_co_ci_u32 s24, s23, s14
	s_mul_i32 s26, s21, s7
	s_add_co_ci_u32 s27, s9, 0
	s_delay_alu instid0(SALU_CYCLE_1) | instskip(NEXT) | instid1(SALU_CYCLE_1)
	s_add_nc_u64 s[22:23], s[24:25], s[26:27]
	s_and_b64 s[24:25], s[22:23], 0xffffffff00000000
	s_delay_alu instid0(SALU_CYCLE_1) | instskip(NEXT) | instid1(SALU_CYCLE_1)
	s_or_b32 s24, s24, s22
	s_mul_u64 s[22:23], s[10:11], s[24:25]
	s_add_nc_u64 s[26:27], s[24:25], 1
	s_sub_co_u32 s3, s20, s22
	s_cselect_b32 s7, -1, 0
	s_sub_co_i32 s9, s21, s23
	s_cmp_lg_u32 s7, 0
	s_add_nc_u64 s[28:29], s[24:25], 2
	s_sub_co_ci_u32 s9, s9, s11
	s_sub_co_u32 s14, s3, s10
	s_cselect_b32 s20, -1, 0
	s_delay_alu instid0(SALU_CYCLE_1) | instskip(SKIP_1) | instid1(SALU_CYCLE_1)
	s_cmp_lg_u32 s20, 0
	s_sub_co_ci_u32 s9, s9, 0
	s_cmp_ge_u32 s9, s11
	s_cselect_b32 s20, -1, 0
	s_cmp_ge_u32 s14, s10
	s_cselect_b32 s14, -1, 0
	s_cmp_eq_u32 s9, s11
	s_cselect_b32 s9, s14, s20
	s_delay_alu instid0(SALU_CYCLE_1) | instskip(SKIP_4) | instid1(SALU_CYCLE_1)
	s_cmp_lg_u32 s9, 0
	s_cselect_b32 s9, s28, s26
	s_cselect_b32 s14, s29, s27
	s_cmp_lg_u32 s7, 0
	s_sub_co_ci_u32 s7, s21, s23
	s_cmp_ge_u32 s7, s11
	s_cselect_b32 s20, -1, 0
	s_cmp_ge_u32 s3, s10
	s_cselect_b32 s3, -1, 0
	s_cmp_eq_u32 s7, s11
	s_cselect_b32 s3, s3, s20
	s_delay_alu instid0(SALU_CYCLE_1) | instskip(SKIP_4) | instid1(SALU_CYCLE_1)
	s_cmp_lg_u32 s3, 0
	s_mov_b32 s3, s17
	s_cselect_b32 s11, s14, s25
	s_cselect_b32 s10, s9, s24
	s_xor_b64 s[12:13], s[12:13], 0
	s_xor_b64 s[10:11], s[10:11], s[12:13]
	s_delay_alu instid0(SALU_CYCLE_1)
	s_sub_nc_u64 s[20:21], s[10:11], s[12:13]
	s_and_not1_b32 vcc_lo, exec_lo, s3
	s_cbranch_vccnz .LBB57_3
.LBB57_2:
	v_cvt_f32_u32_e32 v1, s16
	s_sub_co_i32 s7, 0, s16
	s_mov_b32 s21, 0
	s_delay_alu instid0(VALU_DEP_1) | instskip(SKIP_1) | instid1(TRANS32_DEP_1)
	v_rcp_iflag_f32_e32 v1, v1
	v_nop
	v_mul_f32_e32 v1, 0x4f7ffffe, v1
	s_delay_alu instid0(VALU_DEP_1) | instskip(NEXT) | instid1(VALU_DEP_1)
	v_cvt_u32_f32_e32 v1, v1
	v_readfirstlane_b32 s3, v1
	s_mul_i32 s7, s7, s3
	s_delay_alu instid0(SALU_CYCLE_1) | instskip(NEXT) | instid1(SALU_CYCLE_1)
	s_mul_hi_u32 s7, s3, s7
	s_add_co_i32 s3, s3, s7
	s_delay_alu instid0(SALU_CYCLE_1) | instskip(NEXT) | instid1(SALU_CYCLE_1)
	s_mul_hi_u32 s3, s8, s3
	s_mul_i32 s7, s3, s16
	s_delay_alu instid0(SALU_CYCLE_1)
	s_sub_co_i32 s7, s8, s7
	s_add_co_i32 s8, s3, 1
	s_sub_co_i32 s9, s7, s16
	s_cmp_ge_u32 s7, s16
	s_cselect_b32 s3, s8, s3
	s_cselect_b32 s7, s9, s7
	s_add_co_i32 s8, s3, 1
	s_cmp_ge_u32 s7, s16
	s_cselect_b32 s20, s8, s3
.LBB57_3:
	s_add_co_i32 s8, s2, 1
	s_delay_alu instid0(SALU_CYCLE_1) | instskip(NEXT) | instid1(SALU_CYCLE_1)
	s_ashr_i32 s9, s8, 31
	s_mul_u64 s[8:9], s[18:19], s[8:9]
	s_delay_alu instid0(SALU_CYCLE_1) | instskip(NEXT) | instid1(SALU_CYCLE_1)
	s_and_b64 s[10:11], s[8:9], 0xffffffff00000000
	s_cmp_lg_u64 s[10:11], 0
	s_cbranch_scc0 .LBB57_22
; %bb.4:
	s_add_nc_u64 s[10:11], s[16:17], 0
	s_delay_alu instid0(SALU_CYCLE_1) | instskip(SKIP_4) | instid1(SALU_CYCLE_2)
	s_xor_b64 s[12:13], s[10:11], 0
	s_mov_b32 s11, 0
	s_cvt_f32_u32 s3, s12
	s_cvt_f32_u32 s7, s13
	s_sub_nc_u64 s[24:25], 0, s[12:13]
	s_fmamk_f32 s3, s7, 0x4f800000, s3
	s_delay_alu instid0(SALU_CYCLE_3) | instskip(NEXT) | instid1(TRANS32_DEP_1)
	v_s_rcp_f32 s3, s3
	s_mul_f32 s3, s3, 0x5f7ffffc
	s_delay_alu instid0(SALU_CYCLE_3) | instskip(NEXT) | instid1(SALU_CYCLE_3)
	s_mul_f32 s7, s3, 0x2f800000
	s_trunc_f32 s7, s7
	s_delay_alu instid0(SALU_CYCLE_3) | instskip(SKIP_1) | instid1(SALU_CYCLE_2)
	s_fmamk_f32 s3, s7, 0xcf800000, s3
	s_cvt_u32_f32 s23, s7
	s_cvt_u32_f32 s22, s3
	s_delay_alu instid0(SALU_CYCLE_3) | instskip(NEXT) | instid1(SALU_CYCLE_1)
	s_mul_u64 s[26:27], s[24:25], s[22:23]
	s_mul_hi_u32 s29, s22, s27
	s_mul_i32 s28, s22, s27
	s_mul_hi_u32 s10, s22, s26
	s_mul_i32 s7, s23, s26
	s_add_nc_u64 s[28:29], s[10:11], s[28:29]
	s_mul_hi_u32 s3, s23, s26
	s_mul_hi_u32 s14, s23, s27
	s_add_co_u32 s7, s28, s7
	s_add_co_ci_u32 s10, s29, s3
	s_mul_i32 s26, s23, s27
	s_add_co_ci_u32 s27, s14, 0
	s_delay_alu instid0(SALU_CYCLE_1) | instskip(NEXT) | instid1(SALU_CYCLE_1)
	s_add_nc_u64 s[26:27], s[10:11], s[26:27]
	s_add_co_u32 s22, s22, s26
	s_cselect_b32 s3, -1, 0
	s_delay_alu instid0(SALU_CYCLE_1) | instskip(SKIP_1) | instid1(SALU_CYCLE_1)
	s_cmp_lg_u32 s3, 0
	s_add_co_ci_u32 s23, s23, s27
	s_mul_u64 s[24:25], s[24:25], s[22:23]
	s_delay_alu instid0(SALU_CYCLE_1)
	s_mul_hi_u32 s27, s22, s25
	s_mul_i32 s26, s22, s25
	s_mul_hi_u32 s10, s22, s24
	s_mul_i32 s7, s23, s24
	s_add_nc_u64 s[26:27], s[10:11], s[26:27]
	s_mul_hi_u32 s3, s23, s24
	s_mul_hi_u32 s14, s23, s25
	s_add_co_u32 s7, s26, s7
	s_add_co_ci_u32 s10, s27, s3
	s_mul_i32 s24, s23, s25
	s_add_co_ci_u32 s25, s14, 0
	s_delay_alu instid0(SALU_CYCLE_1) | instskip(NEXT) | instid1(SALU_CYCLE_1)
	s_add_nc_u64 s[24:25], s[10:11], s[24:25]
	s_add_co_u32 s3, s22, s24
	s_cselect_b32 s7, -1, 0
	s_delay_alu instid0(SALU_CYCLE_1) | instskip(SKIP_2) | instid1(SALU_CYCLE_1)
	s_cmp_lg_u32 s7, 0
	s_add_co_ci_u32 s7, s23, s25
	s_ashr_i32 s22, s9, 31
	s_mov_b32 s23, s22
	s_delay_alu instid0(SALU_CYCLE_1) | instskip(NEXT) | instid1(SALU_CYCLE_1)
	s_add_nc_u64 s[24:25], s[8:9], s[22:23]
	s_xor_b64 s[24:25], s[24:25], s[22:23]
	s_delay_alu instid0(SALU_CYCLE_1)
	s_mul_hi_u32 s27, s24, s7
	s_mul_i32 s26, s24, s7
	s_mul_hi_u32 s10, s24, s3
	s_mul_hi_u32 s14, s25, s3
	s_mul_i32 s3, s25, s3
	s_add_nc_u64 s[26:27], s[10:11], s[26:27]
	s_mul_hi_u32 s9, s25, s7
	s_add_co_u32 s3, s26, s3
	s_add_co_ci_u32 s10, s27, s14
	s_mul_i32 s28, s25, s7
	s_add_co_ci_u32 s29, s9, 0
	s_delay_alu instid0(SALU_CYCLE_1) | instskip(NEXT) | instid1(SALU_CYCLE_1)
	s_add_nc_u64 s[26:27], s[10:11], s[28:29]
	s_and_b64 s[28:29], s[26:27], 0xffffffff00000000
	s_delay_alu instid0(SALU_CYCLE_1) | instskip(NEXT) | instid1(SALU_CYCLE_1)
	s_or_b32 s28, s28, s26
	s_mul_u64 s[26:27], s[12:13], s[28:29]
	s_add_nc_u64 s[30:31], s[28:29], 1
	s_sub_co_u32 s3, s24, s26
	s_cselect_b32 s7, -1, 0
	s_sub_co_i32 s9, s25, s27
	s_cmp_lg_u32 s7, 0
	s_add_nc_u64 s[34:35], s[28:29], 2
	s_sub_co_ci_u32 s9, s9, s13
	s_sub_co_u32 s10, s3, s12
	s_cselect_b32 s14, -1, 0
	s_delay_alu instid0(SALU_CYCLE_1) | instskip(SKIP_1) | instid1(SALU_CYCLE_1)
	s_cmp_lg_u32 s14, 0
	s_sub_co_ci_u32 s9, s9, 0
	s_cmp_ge_u32 s9, s13
	s_cselect_b32 s14, -1, 0
	s_cmp_ge_u32 s10, s12
	s_cselect_b32 s10, -1, 0
	s_cmp_eq_u32 s9, s13
	s_cselect_b32 s9, s10, s14
	s_delay_alu instid0(SALU_CYCLE_1) | instskip(SKIP_4) | instid1(SALU_CYCLE_1)
	s_cmp_lg_u32 s9, 0
	s_cselect_b32 s9, s34, s30
	s_cselect_b32 s10, s35, s31
	s_cmp_lg_u32 s7, 0
	s_sub_co_ci_u32 s7, s25, s27
	s_cmp_ge_u32 s7, s13
	s_cselect_b32 s14, -1, 0
	s_cmp_ge_u32 s3, s12
	s_cselect_b32 s3, -1, 0
	s_cmp_eq_u32 s7, s13
	s_cselect_b32 s3, s3, s14
	s_delay_alu instid0(SALU_CYCLE_1) | instskip(SKIP_3) | instid1(SALU_CYCLE_1)
	s_cmp_lg_u32 s3, 0
	s_cselect_b32 s13, s10, s29
	s_cselect_b32 s12, s9, s28
	s_xor_b64 s[22:23], s[22:23], 0
	s_xor_b64 s[12:13], s[12:13], s[22:23]
	s_delay_alu instid0(SALU_CYCLE_1)
	s_sub_nc_u64 s[24:25], s[12:13], s[22:23]
	s_load_b96 s[12:14], s[0:1], 0x44
	s_cbranch_execnz .LBB57_6
.LBB57_5:
	v_cvt_f32_u32_e32 v1, s16
	s_sub_co_i32 s7, 0, s16
	s_delay_alu instid0(VALU_DEP_1) | instskip(SKIP_1) | instid1(TRANS32_DEP_1)
	v_rcp_iflag_f32_e32 v1, v1
	v_nop
	v_mul_f32_e32 v1, 0x4f7ffffe, v1
	s_delay_alu instid0(VALU_DEP_1) | instskip(NEXT) | instid1(VALU_DEP_1)
	v_cvt_u32_f32_e32 v1, v1
	v_readfirstlane_b32 s3, v1
	s_mul_i32 s7, s7, s3
	s_delay_alu instid0(SALU_CYCLE_1) | instskip(NEXT) | instid1(SALU_CYCLE_1)
	s_mul_hi_u32 s7, s3, s7
	s_add_co_i32 s3, s3, s7
	s_delay_alu instid0(SALU_CYCLE_1) | instskip(NEXT) | instid1(SALU_CYCLE_1)
	s_mul_hi_u32 s3, s8, s3
	s_mul_i32 s7, s3, s16
	s_delay_alu instid0(SALU_CYCLE_1)
	s_sub_co_i32 s7, s8, s7
	s_add_co_i32 s8, s3, 1
	s_sub_co_i32 s9, s7, s16
	s_cmp_ge_u32 s7, s16
	s_cselect_b32 s3, s8, s3
	s_cselect_b32 s7, s9, s7
	s_add_co_i32 s8, s3, 1
	s_cmp_ge_u32 s7, s16
	s_cselect_b32 s24, s8, s3
.LBB57_6:
	s_delay_alu instid0(SALU_CYCLE_1)
	s_cmp_eq_u32 s20, s24
	s_mov_b64 s[8:9], 0xffffffff
	s_cselect_b32 s3, -1, 0
	s_and_b64 s[8:9], s[20:21], s[8:9]
	s_mov_b32 s23, 0
	s_wait_kmcnt 0x0
	s_mov_b32 s22, s12
	s_mov_b32 s25, s23
	s_mul_u64 s[10:11], s[8:9], s[22:23]
	s_delay_alu instid0(SALU_CYCLE_1) | instskip(SKIP_2) | instid1(SALU_CYCLE_1)
	s_add_co_i32 s7, s11, s20
	s_mul_u64 s[10:11], s[24:25], s[22:23]
	s_lshr_b32 s12, s7, s13
	s_mul_i32 s7, s12, s14
	s_delay_alu instid0(SALU_CYCLE_1) | instskip(SKIP_2) | instid1(SALU_CYCLE_1)
	s_cmp_eq_u32 s7, s20
	s_cselect_b32 s7, -1, 0
	s_add_co_i32 s10, s11, s24
	s_lshr_b32 s10, s10, s13
	s_delay_alu instid0(SALU_CYCLE_1)
	s_cmp_eq_u32 s12, s10
	s_mul_i32 s10, s10, s14
	s_cselect_b32 s11, -1, 0
	s_cmp_lg_u32 s10, s24
	s_cselect_b32 s10, -1, 0
	s_or_b32 s3, s3, s7
	s_and_b32 s10, s11, s10
	s_delay_alu instid0(SALU_CYCLE_1) | instskip(NEXT) | instid1(SALU_CYCLE_1)
	s_or_b32 s3, s3, s10
	s_and_b32 vcc_lo, exec_lo, s3
	s_cbranch_vccnz .LBB57_24
; %bb.7:
	s_load_b256 s[24:31], s[0:1], 0x20
	s_bfe_u32 s7, ttmp6, 0x40014
	s_bfe_u32 s33, ttmp6, 0x40010
	s_lshr_b32 s3, ttmp7, 16
	s_add_co_i32 s7, s7, 1
	s_and_b32 s21, ttmp7, 0xffff
	s_add_co_i32 s33, s33, 1
	s_bfe_u32 s10, ttmp6, 0x40008
	s_mul_i32 s7, s3, s7
	s_bfe_u32 s34, ttmp6, 0x40004
	s_mul_i32 s33, s21, s33
	s_mov_b32 s11, s23
	s_add_co_i32 s7, s10, s7
	s_add_co_i32 s34, s34, s33
	s_cmp_eq_u32 s15, 0
	s_cselect_b32 s15, s21, s34
	s_cselect_b32 s3, s3, s7
	s_wait_kmcnt 0x0
	s_mov_b32 s10, s24
	s_delay_alu instid0(SALU_CYCLE_1) | instskip(SKIP_2) | instid1(SALU_CYCLE_1)
	s_mul_u64 s[8:9], s[8:9], s[10:11]
	s_load_b32 s8, s[0:1], 0x40
	s_add_co_i32 s7, s9, s20
	s_lshr_b32 s7, s7, s25
	s_delay_alu instid0(SALU_CYCLE_1) | instskip(NEXT) | instid1(SALU_CYCLE_1)
	s_mul_i32 s9, s7, s26
	s_sub_co_i32 s9, s20, s9
	s_delay_alu instid0(SALU_CYCLE_1) | instskip(NEXT) | instid1(SALU_CYCLE_1)
	s_mul_hi_u32 s10, s9, s27
	s_add_co_i32 s10, s9, s10
	s_delay_alu instid0(SALU_CYCLE_1) | instskip(NEXT) | instid1(SALU_CYCLE_1)
	s_lshr_b32 s21, s10, s28
	s_mul_i32 s10, s21, s29
	s_delay_alu instid0(SALU_CYCLE_1) | instskip(NEXT) | instid1(SALU_CYCLE_1)
	s_sub_co_i32 s10, s9, s10
	s_mul_hi_u32 s9, s10, s30
	s_delay_alu instid0(SALU_CYCLE_1) | instskip(NEXT) | instid1(SALU_CYCLE_1)
	s_add_co_i32 s9, s10, s9
	s_lshr_b32 s24, s9, s31
	s_mov_b32 s9, s23
	s_wait_kmcnt 0x0
	s_mul_i32 s8, s24, s8
	s_delay_alu instid0(SALU_CYCLE_1) | instskip(NEXT) | instid1(SALU_CYCLE_1)
	s_sub_co_i32 s8, s10, s8
	s_mul_u64 s[10:11], s[8:9], s[22:23]
	s_delay_alu instid0(SALU_CYCLE_1) | instskip(NEXT) | instid1(SALU_CYCLE_1)
	s_add_co_i32 s8, s8, s11
	s_lshr_b32 s25, s8, s13
	s_delay_alu instid0(SALU_CYCLE_1) | instskip(NEXT) | instid1(SALU_CYCLE_1)
	s_lshl_b32 s8, s25, 1
	s_add_co_i32 s8, s8, s15
	s_delay_alu instid0(SALU_CYCLE_1) | instskip(SKIP_2) | instid1(SALU_CYCLE_1)
	s_cmp_lt_i32 s8, s4
	s_cselect_b32 s8, -1, 0
	s_add_co_i32 s9, s24, s3
	s_cmp_lt_i32 s9, s6
	s_cselect_b32 s9, -1, 0
	s_delay_alu instid0(SALU_CYCLE_1) | instskip(NEXT) | instid1(SALU_CYCLE_1)
	s_and_b32 s8, s8, s9
	s_and_not1_b32 vcc_lo, exec_lo, s8
	s_cbranch_vccnz .LBB57_24
; %bb.8:
	s_mul_i32 s4, s7, s4
	s_load_b128 s[8:11], s[0:1], 0x0
	s_wait_xcnt 0x0
	s_add_co_i32 s0, s4, s15
	s_mul_i32 s21, s21, s6
	s_mul_i32 s0, s0, s5
	;; [unrolled: 1-line block ×3, first 2 shown]
	s_add_co_i32 s0, s0, s3
	s_lshl_b32 s1, s1, 9
	s_add_co_i32 s0, s0, s21
	s_add_co_i32 s15, s15, s3
	s_add_co_i32 s0, s0, s24
	v_lshl_or_b32 v6, s15, 8, v0
	s_lshl_b32 s0, s0, 8
	v_cvt_f32_u32_e32 v4, s16
	s_add_co_i32 s1, s1, s0
	s_lshl_b32 s24, s16, 3
	v_or_b32_e32 v2, s1, v0
	s_add_nc_u64 s[0:1], s[16:17], 0
	v_rcp_iflag_f32_e32 v4, v4
	s_xor_b64 s[6:7], s[0:1], 0
	s_lshl_b32 s0, s2, 1
	s_cvt_f32_u32 s3, s6
	s_add_co_i32 s0, s0, s15
	s_cvt_f32_u32 s4, s7
	s_ashr_i32 s1, s0, 31
	s_mov_b32 s25, 0
	s_lshl_b64 s[0:1], s[0:1], 3
	s_fmamk_f32 s3, s4, 0x4f800000, s3
	s_wait_kmcnt 0x0
	s_add_nc_u64 s[0:1], s[10:11], s[0:1]
	s_add_co_i32 s36, s2, -1
	s_load_b64 s[28:29], s[0:1], 0x0
	v_s_rcp_f32 s3, s3
	s_wait_xcnt 0x0
	s_lshl_b64 s[0:1], s[24:25], 2
	s_sub_nc_u64 s[34:35], 0, s[6:7]
	s_add_nc_u64 s[26:27], s[10:11], s[0:1]
	v_mul_f32_e32 v4, 0x4f7ffffe, v4
	s_delay_alu instid0(TRANS32_DEP_1) | instskip(NEXT) | instid1(VALU_DEP_1)
	s_mul_f32 s3, s3, 0x5f7ffffc
	v_cvt_u32_f32_e32 v7, v4
	s_delay_alu instid0(SALU_CYCLE_2) | instskip(NEXT) | instid1(SALU_CYCLE_3)
	s_mul_f32 s4, s3, 0x2f800000
	s_trunc_f32 s4, s4
	s_wait_kmcnt 0x0
	v_mov_b32_e32 v0, s29
	global_load_b32 v1, v2, s[8:9] scale_offset
	v_ashrrev_i32_e32 v3, 31, v2
	s_fmamk_f32 s0, s4, 0xcf800000, s3
	s_cvt_u32_f32 s31, s4
	s_wait_xcnt 0x0
	s_delay_alu instid0(VALU_DEP_1)
	v_lshl_add_u64 v[2:3], v[2:3], 2, s[8:9]
	s_cvt_u32_f32 s30, s0
	s_mov_b64 s[8:9], 0xffffffff
.LBB57_9:                               ; =>This Inner Loop Header: Depth=1
	s_ashr_i32 s37, s36, 31
                                        ; implicit-def: $sgpr40_sgpr41
	s_delay_alu instid0(SALU_CYCLE_1) | instskip(NEXT) | instid1(SALU_CYCLE_1)
	s_mul_u64 s[0:1], s[36:37], s[18:19]
	s_and_b64 s[2:3], s[0:1], 0xffffffff00000000
	s_delay_alu instid0(SALU_CYCLE_1)
	s_cmp_lg_u64 s[2:3], 0
	s_mov_b32 s2, -1
	s_cbranch_scc0 .LBB57_11
; %bb.10:                               ;   in Loop: Header=BB57_9 Depth=1
	s_mul_u64 s[2:3], s[34:35], s[30:31]
	s_delay_alu instid0(SALU_CYCLE_1)
	s_mul_hi_u32 s5, s30, s3
	s_mul_i32 s4, s30, s3
	s_mul_hi_u32 s24, s30, s2
	s_mul_hi_u32 s17, s31, s2
	s_add_nc_u64 s[4:5], s[24:25], s[4:5]
	s_mul_i32 s2, s31, s2
	s_mul_hi_u32 s21, s31, s3
	s_add_co_u32 s2, s4, s2
	s_add_co_ci_u32 s24, s5, s17
	s_add_co_ci_u32 s5, s21, 0
	s_mul_i32 s4, s31, s3
	s_delay_alu instid0(SALU_CYCLE_1) | instskip(NEXT) | instid1(SALU_CYCLE_1)
	s_add_nc_u64 s[2:3], s[24:25], s[4:5]
	s_add_co_u32 s2, s30, s2
	s_cselect_b32 s4, -1, 0
	s_delay_alu instid0(SALU_CYCLE_1) | instskip(SKIP_1) | instid1(SALU_CYCLE_1)
	s_cmp_lg_u32 s4, 0
	s_add_co_ci_u32 s3, s31, s3
	s_mul_u64 s[4:5], s[34:35], s[2:3]
	s_delay_alu instid0(SALU_CYCLE_1)
	s_mul_hi_u32 s39, s2, s5
	s_mul_i32 s38, s2, s5
	s_mul_hi_u32 s24, s2, s4
	s_mul_hi_u32 s17, s3, s4
	s_mul_i32 s4, s3, s4
	s_add_nc_u64 s[38:39], s[24:25], s[38:39]
	s_mul_hi_u32 s21, s3, s5
	s_add_co_u32 s4, s38, s4
	s_add_co_ci_u32 s24, s39, s17
	s_mul_i32 s4, s3, s5
	s_add_co_ci_u32 s5, s21, 0
	s_delay_alu instid0(SALU_CYCLE_1) | instskip(NEXT) | instid1(SALU_CYCLE_1)
	s_add_nc_u64 s[4:5], s[24:25], s[4:5]
	s_add_co_u32 s17, s2, s4
	s_cselect_b32 s2, -1, 0
	s_delay_alu instid0(SALU_CYCLE_1) | instskip(SKIP_2) | instid1(SALU_CYCLE_1)
	s_cmp_lg_u32 s2, 0
	s_add_co_ci_u32 s21, s3, s5
	s_ashr_i32 s2, s1, 31
	s_mov_b32 s3, s2
	s_delay_alu instid0(SALU_CYCLE_1) | instskip(NEXT) | instid1(SALU_CYCLE_1)
	s_add_nc_u64 s[4:5], s[0:1], s[2:3]
	s_xor_b64 s[4:5], s[4:5], s[2:3]
	s_delay_alu instid0(SALU_CYCLE_1)
	s_mul_hi_u32 s39, s4, s21
	s_mul_i32 s38, s4, s21
	s_mul_hi_u32 s24, s4, s17
	s_mul_hi_u32 s29, s5, s17
	s_mul_i32 s17, s5, s17
	s_add_nc_u64 s[38:39], s[24:25], s[38:39]
	s_mul_hi_u32 s1, s5, s21
	s_add_co_u32 s17, s38, s17
	s_add_co_ci_u32 s24, s39, s29
	s_mul_i32 s40, s5, s21
	s_add_co_ci_u32 s41, s1, 0
	s_delay_alu instid0(SALU_CYCLE_1) | instskip(NEXT) | instid1(SALU_CYCLE_1)
	s_add_nc_u64 s[38:39], s[24:25], s[40:41]
	s_and_b64 s[40:41], s[38:39], 0xffffffff00000000
	s_delay_alu instid0(SALU_CYCLE_1) | instskip(NEXT) | instid1(SALU_CYCLE_1)
	s_or_b32 s40, s40, s38
	s_mul_u64 s[38:39], s[6:7], s[40:41]
	s_add_nc_u64 s[42:43], s[40:41], 1
	s_sub_co_u32 s1, s4, s38
	s_cselect_b32 s4, -1, 0
	s_sub_co_i32 s17, s5, s39
	s_cmp_lg_u32 s4, 0
	s_add_nc_u64 s[44:45], s[40:41], 2
	s_sub_co_ci_u32 s17, s17, s7
	s_sub_co_u32 s21, s1, s6
	s_cselect_b32 s24, -1, 0
	s_delay_alu instid0(SALU_CYCLE_1) | instskip(SKIP_1) | instid1(SALU_CYCLE_1)
	s_cmp_lg_u32 s24, 0
	s_sub_co_ci_u32 s17, s17, 0
	s_cmp_ge_u32 s17, s7
	s_cselect_b32 s24, -1, 0
	s_cmp_ge_u32 s21, s6
	s_cselect_b32 s21, -1, 0
	s_cmp_eq_u32 s17, s7
	s_cselect_b32 s17, s21, s24
	s_delay_alu instid0(SALU_CYCLE_1) | instskip(SKIP_4) | instid1(SALU_CYCLE_1)
	s_cmp_lg_u32 s17, 0
	s_cselect_b32 s17, s44, s42
	s_cselect_b32 s21, s45, s43
	s_cmp_lg_u32 s4, 0
	s_sub_co_ci_u32 s4, s5, s39
	s_cmp_ge_u32 s4, s7
	s_cselect_b32 s5, -1, 0
	s_cmp_ge_u32 s1, s6
	s_cselect_b32 s1, -1, 0
	s_cmp_eq_u32 s4, s7
	s_cselect_b32 s1, s1, s5
	s_delay_alu instid0(SALU_CYCLE_1) | instskip(SKIP_3) | instid1(SALU_CYCLE_1)
	s_cmp_lg_u32 s1, 0
	s_cselect_b32 s5, s21, s41
	s_cselect_b32 s4, s17, s40
	s_xor_b64 s[2:3], s[2:3], 0
	s_xor_b64 s[4:5], s[4:5], s[2:3]
	s_delay_alu instid0(SALU_CYCLE_1)
	s_sub_nc_u64 s[40:41], s[4:5], s[2:3]
	s_mov_b32 s2, 0
.LBB57_11:                              ;   in Loop: Header=BB57_9 Depth=1
	s_delay_alu instid0(SALU_CYCLE_1)
	s_and_not1_b32 vcc_lo, exec_lo, s2
	s_cbranch_vccnz .LBB57_13
; %bb.12:                               ;   in Loop: Header=BB57_9 Depth=1
	v_readfirstlane_b32 s1, v7
	s_sub_co_i32 s2, 0, s16
	s_delay_alu instid0(SALU_CYCLE_1) | instskip(NEXT) | instid1(SALU_CYCLE_1)
	s_mul_i32 s2, s2, s1
	s_mul_hi_u32 s2, s1, s2
	s_delay_alu instid0(SALU_CYCLE_1) | instskip(NEXT) | instid1(SALU_CYCLE_1)
	s_add_co_i32 s1, s1, s2
	s_mul_hi_u32 s1, s0, s1
	s_delay_alu instid0(SALU_CYCLE_1) | instskip(NEXT) | instid1(SALU_CYCLE_1)
	s_mul_i32 s2, s1, s16
	s_sub_co_i32 s0, s0, s2
	s_add_co_i32 s2, s1, 1
	s_sub_co_i32 s3, s0, s16
	s_cmp_ge_u32 s0, s16
	s_cselect_b32 s1, s2, s1
	s_cselect_b32 s0, s3, s0
	s_add_co_i32 s2, s1, 1
	s_cmp_ge_u32 s0, s16
	s_cselect_b32 s24, s2, s1
	s_delay_alu instid0(SALU_CYCLE_1)
	s_mov_b64 s[40:41], s[24:25]
.LBB57_13:                              ;   in Loop: Header=BB57_9 Depth=1
	s_delay_alu instid0(SALU_CYCLE_1)
	s_cmp_lg_u32 s20, s40
	s_mov_b32 s0, -1
                                        ; implicit-def: $vgpr4_vgpr5
                                        ; implicit-def: $sgpr24
                                        ; implicit-def: $sgpr17
                                        ; implicit-def: $sgpr21
                                        ; implicit-def: $sgpr29
	s_cbranch_scc0 .LBB57_18
; %bb.14:                               ;   in Loop: Header=BB57_9 Depth=1
	s_add_co_i32 s0, s36, s16
	v_max_num_f32_e64 v4, s28, s28
	s_lshl_b32 s0, s0, 1
	s_mov_b32 s29, s20
	s_add_co_i32 s0, s0, s15
	s_load_b64 s[38:39], s[10:11], s0 offset:0x0 scale_offset
	s_wait_xcnt 0x0
	v_readfirstlane_b32 s0, v4
	s_wait_kmcnt 0x0
	v_max_num_f32_e64 v5, s38, s38
	s_delay_alu instid0(VALU_DEP_1) | instskip(SKIP_1) | instid1(SALU_CYCLE_3)
	v_readfirstlane_b32 s1, v5
	s_max_num_f32 s17, s0, s1
	s_sub_f32 s33, s28, s17
	s_sub_f32 s37, s38, s17
	s_delay_alu instid0(SALU_CYCLE_2)
	s_cmp_nlt_f32 s33, 0xc2ce8ed0
	s_cselect_b32 s1, -1, 0
	s_cmp_ngt_f32 s33, 0x42b17218
	s_cselect_b32 s2, -1, 0
	s_cmp_ge_f32 s33, 0xc1a00000
	s_cselect_b32 s0, -1, 0
	s_cmp_nlt_f32 s37, 0xc2ce8ed0
	s_cselect_b32 s3, -1, 0
	s_cmp_ngt_f32 s37, 0x42b17218
	s_cselect_b32 s4, -1, 0
	s_cmp_ge_f32 s37, 0xc1a00000
	s_cselect_b32 s5, -1, 0
	s_and_b64 s[42:43], s[40:41], s[8:9]
	s_delay_alu instid0(SALU_CYCLE_1) | instskip(NEXT) | instid1(SALU_CYCLE_1)
	s_mul_u64 s[42:43], s[42:43], s[22:23]
	s_add_co_i32 s21, s43, s40
	s_delay_alu instid0(SALU_CYCLE_1) | instskip(NEXT) | instid1(SALU_CYCLE_1)
	s_lshr_b32 s21, s21, s13
	s_mul_i32 s24, s21, s14
	s_delay_alu instid0(SALU_CYCLE_1) | instskip(SKIP_3) | instid1(SALU_CYCLE_1)
	s_cmp_eq_u32 s24, s40
	s_cselect_b32 s24, -1, 0
	s_cmp_lt_u32 s21, s12
	s_cselect_b32 s21, -1, 0
	s_or_b32 s21, s21, s24
	s_mov_b32 s24, -1
	s_and_b32 vcc_lo, exec_lo, s21
	s_mov_b32 s21, s36
	s_cbranch_vccnz .LBB57_16
; %bb.15:                               ;   in Loop: Header=BB57_9 Depth=1
	s_add_co_i32 s21, s36, -1
	s_mov_b32 s24, 0
	s_mov_b32 s29, s40
.LBB57_16:                              ;   in Loop: Header=BB57_9 Depth=1
	v_lshl_add_u32 v4, s36, 9, v6
	s_mul_f32 s40, s33, 0x3fb8aa3b
	s_mul_f32 s38, s37, 0x3fb8aa3b
	s_delay_alu instid0(SALU_CYCLE_2)
	s_xor_b32 s42, s40, 0x80000000
	global_load_b32 v5, v4, s[26:27] scale_offset
	s_fmamk_f32 s42, s33, 0x3fb8aa3b, s42
	s_rndne_f32 s44, s40
	s_xor_b32 s41, s38, 0x80000000
	s_rndne_f32 s43, s38
	s_fmamk_f32 s33, s33, 0x32a5705f, s42
	s_sub_f32 s40, s40, s44
	s_fmamk_f32 s41, s37, 0x3fb8aa3b, s41
	s_sub_f32 s38, s38, s43
	s_delay_alu instid0(SALU_CYCLE_1) | instskip(NEXT) | instid1(SALU_CYCLE_1)
	s_add_f32 s33, s40, s33
	s_fmamk_f32 s37, s37, 0x32a5705f, s41
	s_cvt_i32_f32 s40, s44
	s_delay_alu instid0(SALU_CYCLE_1) | instskip(NEXT) | instid1(SALU_CYCLE_1)
	v_s_exp_f32 s33, s33
	s_add_f32 s37, s38, s37
	s_cvt_i32_f32 s38, s43
	s_delay_alu instid0(SALU_CYCLE_2) | instskip(NEXT) | instid1(TRANS32_DEP_2)
	v_s_exp_f32 s37, s37
	v_ldexp_f32 v8, s33, s40
	s_wait_xcnt 0x0
	s_delay_alu instid0(TRANS32_DEP_1) | instskip(NEXT) | instid1(VALU_DEP_2)
	v_ldexp_f32 v4, s37, s38
	v_cndmask_b32_e64 v8, 0, v8, s1
	s_delay_alu instid0(VALU_DEP_1) | instskip(NEXT) | instid1(VALU_DEP_1)
	v_cndmask_b32_e64 v9, 0x7f800000, v8, s2
	v_dual_cndmask_b32 v4, 0, v4, s3 :: v_dual_cndmask_b32 v10, 0, v9, s0
	s_delay_alu instid0(VALU_DEP_1) | instskip(NEXT) | instid1(VALU_DEP_1)
	v_cndmask_b32_e64 v4, 0x7f800000, v4, s4
	v_dual_cndmask_b32 v8, 0, v4, s5 :: v_dual_mov_b32 v4, s39
	s_wait_loadcnt 0x0
	s_delay_alu instid0(VALU_DEP_1) | instskip(NEXT) | instid1(VALU_DEP_1)
	v_pk_mul_f32 v[4:5], v[4:5], v[8:9] op_sel_hi:[1,0]
	v_pk_fma_f32 v[4:5], v[0:1], v[10:11], v[4:5] op_sel_hi:[1,0,1]
	s_cbranch_execz .LBB57_19
.LBB57_17:                              ;   in Loop: Header=BB57_9 Depth=1
	s_and_not1_b32 vcc_lo, exec_lo, s24
	s_cbranch_vccnz .LBB57_20
	s_branch .LBB57_23
.LBB57_18:                              ;   in Loop: Header=BB57_9 Depth=1
	s_and_not1_b32 vcc_lo, exec_lo, s0
	s_cbranch_vccnz .LBB57_17
.LBB57_19:                              ;   in Loop: Header=BB57_9 Depth=1
	s_wait_loadcnt 0x0
	v_mov_b64_e32 v[4:5], v[0:1]
	s_add_co_i32 s21, s36, -1
	s_mov_b32 s29, s20
	s_mov_b32 s17, s28
	s_cbranch_execz .LBB57_23
.LBB57_20:                              ;   in Loop: Header=BB57_9 Depth=1
	s_wait_loadcnt 0x0
	s_delay_alu instid0(VALU_DEP_1)
	v_mov_b64_e32 v[0:1], v[4:5]
	s_mov_b32 s20, s29
	s_mov_b32 s36, s21
	;; [unrolled: 1-line block ×3, first 2 shown]
	s_branch .LBB57_9
.LBB57_21:
                                        ; implicit-def: $sgpr20_sgpr21
	s_branch .LBB57_2
.LBB57_22:
                                        ; implicit-def: $sgpr24_sgpr25
	s_load_b96 s[12:14], s[0:1], 0x44
	s_branch .LBB57_5
.LBB57_23:
	s_delay_alu instid0(VALU_DEP_1) | instskip(SKIP_1) | instid1(VALU_DEP_1)
	v_div_scale_f32 v0, null, v4, v4, v5
	s_wait_loadcnt 0x0
	v_rcp_f32_e32 v1, v0
	v_nop
	s_delay_alu instid0(TRANS32_DEP_1) | instskip(NEXT) | instid1(VALU_DEP_1)
	v_fma_f32 v6, -v0, v1, 1.0
	v_fmac_f32_e32 v1, v6, v1
	v_div_scale_f32 v6, vcc_lo, v5, v4, v5
	s_delay_alu instid0(VALU_DEP_1) | instskip(NEXT) | instid1(VALU_DEP_1)
	v_mul_f32_e32 v7, v6, v1
	v_fma_f32 v8, -v0, v7, v6
	s_delay_alu instid0(VALU_DEP_1) | instskip(NEXT) | instid1(VALU_DEP_1)
	v_fmac_f32_e32 v7, v8, v1
	v_fma_f32 v0, -v0, v7, v6
	s_delay_alu instid0(VALU_DEP_1) | instskip(NEXT) | instid1(VALU_DEP_1)
	v_div_fmas_f32 v0, v0, v1, v7
	v_div_fixup_f32 v0, v0, v4, v5
	global_store_b32 v[2:3], v0, off
.LBB57_24:
	s_endpgm
	.section	.rodata,"a",@progbits
	.p2align	6, 0x0
	.amdhsa_kernel _ZL33flash_attn_stream_k_fixup_generalILi256ELi2ELi1EEvPfPK15HIP_vector_typeIfLj2EEiiiiS1_IjLj3EES5_S5_S5_
		.amdhsa_group_segment_fixed_size 0
		.amdhsa_private_segment_fixed_size 0
		.amdhsa_kernarg_size 336
		.amdhsa_user_sgpr_count 2
		.amdhsa_user_sgpr_dispatch_ptr 0
		.amdhsa_user_sgpr_queue_ptr 0
		.amdhsa_user_sgpr_kernarg_segment_ptr 1
		.amdhsa_user_sgpr_dispatch_id 0
		.amdhsa_user_sgpr_kernarg_preload_length 0
		.amdhsa_user_sgpr_kernarg_preload_offset 0
		.amdhsa_user_sgpr_private_segment_size 0
		.amdhsa_wavefront_size32 1
		.amdhsa_uses_dynamic_stack 0
		.amdhsa_enable_private_segment 0
		.amdhsa_system_sgpr_workgroup_id_x 1
		.amdhsa_system_sgpr_workgroup_id_y 1
		.amdhsa_system_sgpr_workgroup_id_z 1
		.amdhsa_system_sgpr_workgroup_info 0
		.amdhsa_system_vgpr_workitem_id 0
		.amdhsa_next_free_vgpr 12
		.amdhsa_next_free_sgpr 46
		.amdhsa_named_barrier_count 0
		.amdhsa_reserve_vcc 1
		.amdhsa_float_round_mode_32 0
		.amdhsa_float_round_mode_16_64 0
		.amdhsa_float_denorm_mode_32 3
		.amdhsa_float_denorm_mode_16_64 3
		.amdhsa_fp16_overflow 0
		.amdhsa_memory_ordered 1
		.amdhsa_forward_progress 1
		.amdhsa_inst_pref_size 27
		.amdhsa_round_robin_scheduling 0
		.amdhsa_exception_fp_ieee_invalid_op 0
		.amdhsa_exception_fp_denorm_src 0
		.amdhsa_exception_fp_ieee_div_zero 0
		.amdhsa_exception_fp_ieee_overflow 0
		.amdhsa_exception_fp_ieee_underflow 0
		.amdhsa_exception_fp_ieee_inexact 0
		.amdhsa_exception_int_div_zero 0
	.end_amdhsa_kernel
	.section	.text._ZL33flash_attn_stream_k_fixup_generalILi256ELi2ELi1EEvPfPK15HIP_vector_typeIfLj2EEiiiiS1_IjLj3EES5_S5_S5_,"axG",@progbits,_ZL33flash_attn_stream_k_fixup_generalILi256ELi2ELi1EEvPfPK15HIP_vector_typeIfLj2EEiiiiS1_IjLj3EES5_S5_S5_,comdat
.Lfunc_end57:
	.size	_ZL33flash_attn_stream_k_fixup_generalILi256ELi2ELi1EEvPfPK15HIP_vector_typeIfLj2EEiiiiS1_IjLj3EES5_S5_S5_, .Lfunc_end57-_ZL33flash_attn_stream_k_fixup_generalILi256ELi2ELi1EEvPfPK15HIP_vector_typeIfLj2EEiiiiS1_IjLj3EES5_S5_S5_
                                        ; -- End function
	.set _ZL33flash_attn_stream_k_fixup_generalILi256ELi2ELi1EEvPfPK15HIP_vector_typeIfLj2EEiiiiS1_IjLj3EES5_S5_S5_.num_vgpr, 12
	.set _ZL33flash_attn_stream_k_fixup_generalILi256ELi2ELi1EEvPfPK15HIP_vector_typeIfLj2EEiiiiS1_IjLj3EES5_S5_S5_.num_agpr, 0
	.set _ZL33flash_attn_stream_k_fixup_generalILi256ELi2ELi1EEvPfPK15HIP_vector_typeIfLj2EEiiiiS1_IjLj3EES5_S5_S5_.numbered_sgpr, 46
	.set _ZL33flash_attn_stream_k_fixup_generalILi256ELi2ELi1EEvPfPK15HIP_vector_typeIfLj2EEiiiiS1_IjLj3EES5_S5_S5_.num_named_barrier, 0
	.set _ZL33flash_attn_stream_k_fixup_generalILi256ELi2ELi1EEvPfPK15HIP_vector_typeIfLj2EEiiiiS1_IjLj3EES5_S5_S5_.private_seg_size, 0
	.set _ZL33flash_attn_stream_k_fixup_generalILi256ELi2ELi1EEvPfPK15HIP_vector_typeIfLj2EEiiiiS1_IjLj3EES5_S5_S5_.uses_vcc, 1
	.set _ZL33flash_attn_stream_k_fixup_generalILi256ELi2ELi1EEvPfPK15HIP_vector_typeIfLj2EEiiiiS1_IjLj3EES5_S5_S5_.uses_flat_scratch, 0
	.set _ZL33flash_attn_stream_k_fixup_generalILi256ELi2ELi1EEvPfPK15HIP_vector_typeIfLj2EEiiiiS1_IjLj3EES5_S5_S5_.has_dyn_sized_stack, 0
	.set _ZL33flash_attn_stream_k_fixup_generalILi256ELi2ELi1EEvPfPK15HIP_vector_typeIfLj2EEiiiiS1_IjLj3EES5_S5_S5_.has_recursion, 0
	.set _ZL33flash_attn_stream_k_fixup_generalILi256ELi2ELi1EEvPfPK15HIP_vector_typeIfLj2EEiiiiS1_IjLj3EES5_S5_S5_.has_indirect_call, 0
	.section	.AMDGPU.csdata,"",@progbits
; Kernel info:
; codeLenInByte = 3352
; TotalNumSgprs: 48
; NumVgprs: 12
; ScratchSize: 0
; MemoryBound: 0
; FloatMode: 240
; IeeeMode: 1
; LDSByteSize: 0 bytes/workgroup (compile time only)
; SGPRBlocks: 0
; VGPRBlocks: 0
; NumSGPRsForWavesPerEU: 48
; NumVGPRsForWavesPerEU: 12
; NamedBarCnt: 0
; Occupancy: 16
; WaveLimiterHint : 0
; COMPUTE_PGM_RSRC2:SCRATCH_EN: 0
; COMPUTE_PGM_RSRC2:USER_SGPR: 2
; COMPUTE_PGM_RSRC2:TRAP_HANDLER: 0
; COMPUTE_PGM_RSRC2:TGID_X_EN: 1
; COMPUTE_PGM_RSRC2:TGID_Y_EN: 1
; COMPUTE_PGM_RSRC2:TGID_Z_EN: 1
; COMPUTE_PGM_RSRC2:TIDIG_COMP_CNT: 0
	.section	.text._ZL15flash_attn_tileILi256ELi256ELi4ELi8ELb1EEvPKcS1_S1_S1_S1_PKiPfP15HIP_vector_typeIfLj2EEffffjfiS5_IjLj3EEiiiiiiiiiiiliiliiiiil,"axG",@progbits,_ZL15flash_attn_tileILi256ELi256ELi4ELi8ELb1EEvPKcS1_S1_S1_S1_PKiPfP15HIP_vector_typeIfLj2EEffffjfiS5_IjLj3EEiiiiiiiiiiiliiliiiiil,comdat
	.globl	_ZL15flash_attn_tileILi256ELi256ELi4ELi8ELb1EEvPKcS1_S1_S1_S1_PKiPfP15HIP_vector_typeIfLj2EEffffjfiS5_IjLj3EEiiiiiiiiiiiliiliiiiil ; -- Begin function _ZL15flash_attn_tileILi256ELi256ELi4ELi8ELb1EEvPKcS1_S1_S1_S1_PKiPfP15HIP_vector_typeIfLj2EEffffjfiS5_IjLj3EEiiiiiiiiiiiliiliiiiil
	.p2align	8
	.type	_ZL15flash_attn_tileILi256ELi256ELi4ELi8ELb1EEvPKcS1_S1_S1_S1_PKiPfP15HIP_vector_typeIfLj2EEffffjfiS5_IjLj3EEiiiiiiiiiiiliiliiiiil,@function
_ZL15flash_attn_tileILi256ELi256ELi4ELi8ELb1EEvPKcS1_S1_S1_S1_PKiPfP15HIP_vector_typeIfLj2EEffffjfiS5_IjLj3EEiiiiiiiiiiiliiliiiiil: ; @_ZL15flash_attn_tileILi256ELi256ELi4ELi8ELb1EEvPKcS1_S1_S1_S1_PKiPfP15HIP_vector_typeIfLj2EEffffjfiS5_IjLj3EEiiiiiiiiiiiliiliiiiil
; %bb.0:
	s_clause 0x1
	s_load_b128 s[20:23], s[0:1], 0x5c
	s_load_b64 s[28:29], s[0:1], 0x80
	s_bfe_u32 s5, ttmp6, 0x40014
	s_lshr_b32 s4, ttmp7, 16
	s_add_co_i32 s5, s5, 1
	s_bfe_u32 s6, ttmp6, 0x40008
	s_mul_i32 s5, s4, s5
	s_getreg_b32 s27, hwreg(HW_REG_IB_STS2, 6, 4)
	s_add_co_i32 s6, s6, s5
	s_load_b64 s[36:37], s[0:1], 0xb8
	s_mov_b32 s35, 0
	s_mov_b64 s[30:31], 0
	s_wait_kmcnt 0x0
	s_ashr_i32 s2, s23, 31
	s_delay_alu instid0(SALU_CYCLE_1) | instskip(NEXT) | instid1(SALU_CYCLE_1)
	s_lshr_b32 s2, s2, 29
	s_add_co_i32 s2, s23, s2
	s_delay_alu instid0(SALU_CYCLE_1) | instskip(NEXT) | instid1(SALU_CYCLE_1)
	s_ashr_i32 s2, s2, 3
	s_cvt_f32_u32 s3, s2
	s_sub_co_i32 s7, 0, s2
	s_delay_alu instid0(SALU_CYCLE_2) | instskip(SKIP_1) | instid1(TRANS32_DEP_1)
	v_rcp_iflag_f32_e32 v1, s3
	v_nop
	v_readfirstlane_b32 s3, v1
	s_mul_f32 s3, s3, 0x4f7ffffe
	s_delay_alu instid0(SALU_CYCLE_3) | instskip(NEXT) | instid1(SALU_CYCLE_3)
	s_cvt_u32_f32 s3, s3
	s_mul_i32 s7, s7, s3
	s_delay_alu instid0(SALU_CYCLE_1) | instskip(NEXT) | instid1(SALU_CYCLE_1)
	s_mul_hi_u32 s7, s3, s7
	s_add_co_i32 s3, s3, s7
	s_cmp_eq_u32 s27, 0
	s_cselect_b32 s4, s4, s6
	s_delay_alu instid0(SALU_CYCLE_1) | instskip(NEXT) | instid1(SALU_CYCLE_1)
	s_mul_hi_u32 s3, s4, s3
	s_mul_i32 s5, s3, s2
	s_add_co_i32 s6, s3, 1
	s_sub_co_i32 s5, s4, s5
	s_delay_alu instid0(SALU_CYCLE_1)
	s_sub_co_i32 s7, s5, s2
	s_cmp_ge_u32 s5, s2
	s_cselect_b32 s3, s6, s3
	s_cselect_b32 s5, s7, s5
	s_add_co_i32 s6, s3, 1
	s_cmp_ge_u32 s5, s2
	s_cselect_b32 s2, s6, s3
	s_abs_i32 s3, s29
	s_lshl_b32 s4, s4, 3
	s_cvt_f32_u32 s5, s3
	s_sub_co_i32 s6, 0, s3
	s_mul_i32 s7, s2, s23
	s_abs_i32 s8, s23
	v_rcp_iflag_f32_e32 v1, s5
	s_sub_co_i32 s33, s4, s7
	v_nop
	s_delay_alu instid0(TRANS32_DEP_1) | instskip(SKIP_1) | instid1(SALU_CYCLE_3)
	v_readfirstlane_b32 s5, v1
	s_mul_f32 s5, s5, 0x4f7ffffe
	s_cvt_u32_f32 s5, s5
	s_delay_alu instid0(SALU_CYCLE_3) | instskip(NEXT) | instid1(SALU_CYCLE_1)
	s_mul_i32 s6, s6, s5
	s_mul_hi_u32 s6, s5, s6
	s_delay_alu instid0(SALU_CYCLE_1) | instskip(NEXT) | instid1(SALU_CYCLE_1)
	s_add_co_i32 s5, s5, s6
	s_mul_hi_u32 s4, s8, s5
	s_xor_b32 s5, s23, s29
	s_mul_i32 s6, s4, s3
	s_ashr_i32 s24, s5, 31
	s_sub_co_i32 s5, s8, s6
	s_add_co_i32 s6, s4, 1
	s_sub_co_i32 s7, s5, s3
	s_cmp_ge_u32 s5, s3
	s_cselect_b32 s4, s6, s4
	s_cselect_b32 s5, s7, s5
	s_add_co_i32 s6, s4, 1
	s_cmp_ge_u32 s5, s3
	s_cselect_b32 s3, s6, s4
	s_load_b512 s[4:19], s[0:1], 0x0
	s_xor_b32 s3, s3, s24
	s_delay_alu instid0(SALU_CYCLE_1) | instskip(NEXT) | instid1(SALU_CYCLE_1)
	s_sub_co_i32 s3, s3, s24
	s_abs_i32 s38, s3
	s_delay_alu instid0(SALU_CYCLE_1) | instskip(NEXT) | instid1(SALU_CYCLE_3)
	s_cvt_f32_u32 s24, s38
	v_rcp_iflag_f32_e32 v1, s24
	v_nop
	s_delay_alu instid0(TRANS32_DEP_1)
	v_readfirstlane_b32 s34, v1
	s_wait_kmcnt 0x0
	s_cmp_eq_u64 s[10:11], 0
	s_cbranch_scc1 .LBB58_2
; %bb.1:
	s_abs_i32 s26, s36
	s_abs_i32 s29, s2
	s_cvt_f32_u32 s24, s26
	s_sub_co_i32 s25, 0, s26
	s_delay_alu instid0(SALU_CYCLE_2) | instskip(SKIP_1) | instid1(TRANS32_DEP_1)
	v_rcp_iflag_f32_e32 v1, s24
	v_nop
	v_readfirstlane_b32 s24, v1
	s_mul_f32 s24, s24, 0x4f7ffffe
	s_delay_alu instid0(SALU_CYCLE_3) | instskip(NEXT) | instid1(SALU_CYCLE_3)
	s_cvt_u32_f32 s24, s24
	s_mul_i32 s25, s25, s24
	s_delay_alu instid0(SALU_CYCLE_1) | instskip(NEXT) | instid1(SALU_CYCLE_1)
	s_mul_hi_u32 s25, s24, s25
	s_add_co_i32 s24, s24, s25
	s_delay_alu instid0(SALU_CYCLE_1) | instskip(SKIP_2) | instid1(SALU_CYCLE_1)
	s_mul_hi_u32 s30, s29, s24
	s_load_b64 s[24:25], s[0:1], 0xc8
	s_mul_i32 s30, s30, s26
	s_sub_co_i32 s29, s29, s30
	s_ashr_i32 s30, s2, 31
	s_sub_co_i32 s31, s29, s26
	s_cmp_ge_u32 s29, s26
	s_cselect_b32 s29, s31, s29
	s_delay_alu instid0(SALU_CYCLE_1) | instskip(SKIP_2) | instid1(SALU_CYCLE_1)
	s_sub_co_i32 s31, s29, s26
	s_cmp_ge_u32 s29, s26
	s_cselect_b32 s26, s31, s29
	s_xor_b32 s26, s26, s30
	s_delay_alu instid0(SALU_CYCLE_1) | instskip(NEXT) | instid1(SALU_CYCLE_1)
	s_sub_co_i32 s30, s26, s30
	s_ashr_i32 s31, s30, 31
	s_wait_kmcnt 0x0
	s_mul_u64 s[24:25], s[24:25], s[30:31]
	s_delay_alu instid0(SALU_CYCLE_1)
	s_add_nc_u64 s[30:31], s[10:11], s[24:25]
.LBB58_2:
	s_bfe_u32 s10, ttmp6, 0x4000c
	v_dual_lshrrev_b32 v1, 10, v0 :: v_dual_mov_b32 v3, 0
	s_add_co_i32 s10, s10, 1
	s_and_b32 s11, ttmp6, 15
	s_mul_i32 s10, ttmp9, s10
	s_delay_alu instid0(VALU_DEP_1)
	v_bfe_u32 v1, v1, 1, 9
	s_add_co_i32 s11, s11, s10
	s_cmp_eq_u32 s27, 0
	s_load_b96 s[24:26], s[0:1], 0x70
	s_cselect_b32 s29, ttmp9, s11
	v_dual_mov_b32 v13, v3 :: v_dual_mov_b32 v11, v3
	v_lshl_add_u32 v70, s29, 2, v1
	v_and_b32_e32 v71, 0x3ff, v0
	v_dual_mov_b32 v9, v3 :: v_dual_mov_b32 v33, v3
	s_delay_alu instid0(VALU_DEP_3) | instskip(NEXT) | instid1(VALU_DEP_1)
	v_mul_hi_u32 v1, s20, v70
	v_dual_lshlrev_b32 v10, 4, v71 :: v_dual_add_nc_u32 v1, v70, v1
	s_wait_kmcnt 0x0
	s_mul_i32 s10, s33, s25
	s_mov_b32 s20, s25
	s_ashr_i32 s11, s10, 31
	v_lshrrev_b32_e32 v1, s21, v1
	s_ashr_i32 s21, s25, 31
	s_ashr_i32 s25, s24, 31
	s_lshr_b64 s[20:21], s[20:21], 2
	s_lshr_b64 s[24:25], s[24:25], 2
	v_mul_lo_u32 v1, v1, s22
	s_delay_alu instid0(VALU_DEP_1) | instskip(SKIP_1) | instid1(VALU_DEP_1)
	v_sub_nc_u32_e32 v2, v70, v1
	v_bfe_u32 v1, v0, 10, 10
	v_dual_lshlrev_b32 v72, 3, v71 :: v_dual_lshlrev_b32 v0, 11, v1
	v_lshlrev_b32_e32 v42, 2, v1
	s_delay_alu instid0(VALU_DEP_4) | instskip(SKIP_1) | instid1(VALU_DEP_3)
	v_mul_u64_e32 v[4:5], s[24:25], v[2:3]
	s_mul_i32 s24, s2, s26
	v_add_nc_u32_e32 v3, 0x4400, v72
	s_ashr_i32 s25, s24, 31
	v_bitop3_b32 v12, v42, 6, 2 bitop3:0xc8
	v_and_b32_e32 v32, 4, v42
	v_bitop3_b32 v8, v42, 5, 1 bitop3:0xc8
	s_add_nc_u64 s[4:5], s[4:5], s[24:25]
	s_cmp_eq_u64 s[14:15], 0
	v_mul_u64_e32 v[16:17], s[20:21], v[12:13]
	v_bitop3_b32 v12, v42, 7, 3 bitop3:0xc8
	v_mul_u64_e32 v[6:7], s[20:21], v[32:33]
	v_mul_u64_e32 v[8:9], s[20:21], v[8:9]
	s_add_nc_u64 s[4:5], s[4:5], s[10:11]
	v_or_b32_e32 v33, 1, v42
	v_mul_u64_e32 v[24:25], s[20:21], v[12:13]
	v_lshl_add_u64 v[4:5], v[4:5], 2, s[4:5]
	s_load_b32 s4, s[0:1], 0x40
	s_delay_alu instid0(VALU_DEP_1) | instskip(NEXT) | instid1(VALU_DEP_1)
	v_add_nc_u64_e32 v[26:27], v[4:5], v[10:11]
	v_lshl_add_u64 v[18:19], v[6:7], 2, v[26:27]
	v_lshl_add_u64 v[28:29], v[8:9], 2, v[26:27]
	;; [unrolled: 1-line block ×4, first 2 shown]
	s_clause 0x7
	global_load_b128 v[4:7], v[18:19], off
	global_load_b128 v[8:11], v[18:19], off offset:512
	global_load_b128 v[12:15], v[28:29], off
	global_load_b128 v[16:19], v[28:29], off offset:512
	;; [unrolled: 2-line block ×4, first 2 shown]
	s_wait_xcnt 0x0
	v_add_nc_u32_e32 v40, v3, v0
	v_lshl_add_u32 v33, v33, 9, v3
	s_wait_loadcnt 0x6
	s_wait_kmcnt 0x0
	v_fma_mixlo_f16 v8, s4, v8, 0
	v_fma_mixlo_f16 v4, s4, v4, 0
	;; [unrolled: 1-line block ×8, first 2 shown]
	s_wait_loadcnt 0x5
	v_fma_mixlo_f16 v12, s4, v12, 0
	v_fma_mixlo_f16 v13, s4, v13, 0
	s_wait_loadcnt 0x4
	v_fma_mixlo_f16 v16, s4, v16, 0
	v_fma_mixlo_f16 v17, s4, v17, 0
	;; [unrolled: 1-line block ×4, first 2 shown]
	s_wait_loadcnt 0x3
	v_fma_mixlo_f16 v20, s4, v20, 0
	v_fma_mixlo_f16 v21, s4, v21, 0
	s_wait_loadcnt 0x2
	v_fma_mixlo_f16 v24, s4, v24, 0
	v_fma_mixlo_f16 v25, s4, v25, 0
	v_fma_mixlo_f16 v18, s4, v18, 0
	v_fma_mixlo_f16 v19, s4, v19, 0
	s_wait_loadcnt 0x1
	v_fma_mixlo_f16 v28, s4, v28, 0
	v_fma_mixlo_f16 v29, s4, v29, 0
	s_wait_loadcnt 0x0
	v_fma_mixlo_f16 v34, s4, v34, 0
	v_fma_mixlo_f16 v35, s4, v35, 0
	v_dual_lshlrev_b32 v5, 16, v5 :: v_dual_bitop2_b32 v38, 2, v42 bitop3:0x54
	v_dual_lshlrev_b32 v7, 16, v7 :: v_dual_bitop2_b32 v39, 3, v42 bitop3:0x54
	v_and_b32_e32 v4, 0xffff, v4
	v_and_b32_e32 v6, 0xffff, v6
	v_dual_lshlrev_b32 v9, 16, v9 :: v_dual_lshlrev_b32 v11, 16, v11
	v_and_b32_e32 v8, 0xffff, v8
	v_and_b32_e32 v10, 0xffff, v10
	v_dual_lshlrev_b32 v13, 16, v13 :: v_dual_lshlrev_b32 v15, 16, v15
	v_and_b32_e32 v12, 0xffff, v12
	v_dual_lshlrev_b32 v17, 16, v17 :: v_dual_lshlrev_b32 v19, 16, v19
	v_and_b32_e32 v16, 0xffff, v16
	v_fma_mixlo_f16 v22, s4, v22, 0
	v_fma_mixlo_f16 v23, s4, v23, 0
	;; [unrolled: 1-line block ×4, first 2 shown]
	v_and_b32_e32 v14, 0xffff, v14
	s_delay_alu instid0(VALU_DEP_4) | instskip(SKIP_1) | instid1(VALU_DEP_4)
	v_dual_lshlrev_b32 v21, 16, v21 :: v_dual_lshlrev_b32 v23, 16, v23
	v_and_b32_e32 v20, 0xffff, v20
	v_dual_lshlrev_b32 v25, 16, v25 :: v_dual_lshlrev_b32 v27, 16, v27
	v_and_b32_e32 v24, 0xffff, v24
	v_fma_mixlo_f16 v30, s4, v30, 0
	v_fma_mixlo_f16 v31, s4, v31, 0
	;; [unrolled: 1-line block ×4, first 2 shown]
	v_and_b32_e32 v18, 0xffff, v18
	s_delay_alu instid0(VALU_DEP_4) | instskip(SKIP_1) | instid1(VALU_DEP_4)
	v_dual_lshlrev_b32 v29, 16, v29 :: v_dual_lshlrev_b32 v31, 16, v31
	v_and_b32_e32 v28, 0xffff, v28
	v_dual_lshlrev_b32 v35, 16, v35 :: v_dual_lshlrev_b32 v37, 16, v37
	v_and_b32_e32 v34, 0xffff, v34
	v_or_b32_e32 v4, v5, v4
	v_or3_b32 v5, v7, v6, 0
	v_or_b32_e32 v6, v9, v8
	v_or3_b32 v7, v11, v10, 0
	v_or_b32_e32 v8, v13, v12
	v_or_b32_e32 v10, v17, v16
	v_and_b32_e32 v22, 0xffff, v22
	v_and_b32_e32 v26, 0xffff, v26
	v_or3_b32 v9, v15, v14, 0
	v_or_b32_e32 v12, v21, v20
	v_or_b32_e32 v14, v25, v24
	v_and_b32_e32 v30, 0xffff, v30
	v_and_b32_e32 v36, 0xffff, v36
	v_or3_b32 v11, v19, v18, 0
	v_or_b32_e32 v16, v29, v28
	v_or_b32_e32 v18, v35, v34
	v_or3_b32 v4, 0, 0, v4
	v_or3_b32 v6, 0, 0, v6
	;; [unrolled: 1-line block ×4, first 2 shown]
	v_lshl_add_u32 v38, v38, 9, v3
	v_or3_b32 v13, v23, v22, 0
	v_or3_b32 v15, v27, v26, 0
	;; [unrolled: 1-line block ×4, first 2 shown]
	v_lshl_add_u32 v3, v39, 9, v3
	v_or3_b32 v17, v31, v30, 0
	v_or3_b32 v19, v37, v36, 0
	;; [unrolled: 1-line block ×4, first 2 shown]
	ds_store_2addr_b64 v40, v[4:5], v[6:7] offset1:32
	ds_store_2addr_b64 v33, v[8:9], v[10:11] offset1:32
	;; [unrolled: 1-line block ×4, first 2 shown]
	s_wait_dscnt 0x0
	s_barrier_signal -1
	s_barrier_wait -1
	s_cbranch_scc1 .LBB58_4
; %bb.3:
	s_load_b32 s4, s[0:1], 0xd0
	s_wait_kmcnt 0x0
	s_mul_i32 s4, s4, s2
	s_delay_alu instid0(SALU_CYCLE_1)
	s_add_co_i32 s4, s4, s29
	s_load_b32 s28, s[14:15], s4 offset:0x0 scale_offset
.LBB58_4:
	s_wait_xcnt 0x0
	s_bfe_u32 s4, ttmp6, 0x40010
	s_and_b32 s5, ttmp7, 0xffff
	s_add_co_i32 s4, s4, 1
	s_bfe_u32 s10, ttmp6, 0x40004
	s_mul_i32 s4, s5, s4
	v_lshlrev_b32_e32 v33, 2, v71
	s_add_co_i32 s10, s10, s4
	s_cmp_eq_u32 s27, 0
	v_mbcnt_lo_u32_b32 v73, -1, 0
	s_cselect_b32 s29, s5, s10
	s_mov_b32 s5, 0
	s_lshl_b32 s4, s29, 6
	s_wait_kmcnt 0x0
	s_cmp_lt_i32 s4, s28
	s_cbranch_scc1 .LBB58_7
; %bb.5:
	v_mbcnt_lo_u32_b32 v4, -1, 0
	s_delay_alu instid0(VALU_DEP_1)
	v_dual_mov_b32 v74, 32 :: v_dual_bitop2_b32 v95, 16, v4 bitop3:0x14
	v_xor_b32_e32 v94, 8, v4
	v_xor_b32_e32 v93, 4, v4
	;; [unrolled: 1-line block ×4, first 2 shown]
	s_and_not1_b32 vcc_lo, exec_lo, s5
	s_cbranch_vccz .LBB58_8
; %bb.6:
	v_dual_mov_b32 v29, 0 :: v_dual_mov_b32 v35, 0
	v_dual_mov_b32 v3, 0xfeffffff :: v_dual_mov_b32 v2, 0xfeffffff
	;; [unrolled: 1-line block ×3, first 2 shown]
	s_delay_alu instid0(VALU_DEP_3)
	v_dual_mov_b32 v34, v35 :: v_dual_mov_b32 v37, v35
	v_dual_mov_b32 v36, v35 :: v_dual_mov_b32 v90, 0
	;; [unrolled: 1-line block ×9, first 2 shown]
	s_branch .LBB58_44
.LBB58_7:
                                        ; implicit-def: $vgpr4
                                        ; implicit-def: $vgpr74
                                        ; implicit-def: $vgpr95
                                        ; implicit-def: $vgpr94
                                        ; implicit-def: $vgpr93
                                        ; implicit-def: $vgpr92
                                        ; implicit-def: $vgpr91
.LBB58_8:
	s_clause 0x1
	s_load_b128 s[24:27], s[0:1], 0x98
	s_load_b64 s[14:15], s[0:1], 0x8c
	s_mul_f32 s5, s34, 0x4f7ffffe
	s_sub_co_i32 s10, 0, s38
	s_load_b64 s[20:21], s[0:1], 0xa8
	v_dual_lshrrev_b32 v3, 4, v71 :: v_dual_bitop2_b32 v4, 60, v33 bitop3:0x40
	s_cvt_u32_f32 s5, s5
	s_ashr_i32 s39, s3, 31
	s_abs_i32 s34, s33
	s_mov_b32 s11, s35
	s_mul_i32 s10, s10, s5
	v_lshl_add_u32 v3, v1, 1, v3
	s_mul_hi_u32 s3, s5, s10
	s_ashr_i32 s36, s33, 31
	s_add_co_i32 s10, s5, s3
	s_ashr_i32 s40, s37, 1
	s_mul_u64 s[10:11], s[34:35], s[10:11]
	s_ashr_i32 s3, s2, 31
	s_mul_i32 s5, s11, s38
	s_xor_b32 s36, s36, s39
	s_wait_kmcnt 0x0
	s_ashr_i32 s14, s14, 2
	s_sub_co_i32 s5, s34, s5
	v_mul_lo_u32 v38, s14, v3
	s_ashr_i32 s10, s26, 2
	s_add_co_i32 s26, s11, 1
	s_sub_co_i32 s34, s5, s38
	s_cmp_ge_u32 s5, s38
	s_load_b32 s35, s[0:1], 0x54
	s_cselect_b32 s11, s26, s11
	s_cselect_b32 s5, s34, s5
	s_add_co_i32 s26, s11, 1
	s_cmp_ge_u32 s5, s38
	s_mul_u64 s[24:25], s[24:25], s[2:3]
	s_cselect_b32 s5, s26, s11
	s_mul_u64 s[20:21], s[20:21], s[2:3]
	s_lshl_b32 s3, s14, 4
	s_delay_alu instid0(SALU_CYCLE_1) | instskip(SKIP_3) | instid1(VALU_DEP_4)
	v_dual_lshlrev_b32 v5, 2, v4 :: v_dual_add_nc_u32 v40, s3, v38
	v_mul_lo_u32 v6, s10, v1
	v_mov_b32_e32 v43, 0
	v_dual_mov_b32 v22, 0 :: v_dual_add_nc_u32 v79, 0x4400, v0
	v_add_nc_u32_e32 v44, s3, v40
	v_mad_u32 v82, v2, s40, v71
	v_mad_u32_u24 v75, 0x110, v3, v5
	s_xor_b32 s5, s5, s36
	s_add_nc_u64 s[6:7], s[6:7], s[24:25]
	v_dual_ashrrev_i32 v45, 31, v44 :: v_dual_add_nc_u32 v46, s3, v44
	s_lshl_b32 s3, s10, 3
	s_delay_alu instid0(SALU_CYCLE_1) | instskip(SKIP_1) | instid1(VALU_DEP_2)
	v_dual_lshlrev_b32 v1, 9, v1 :: v_dual_add_nc_u32 v8, s3, v6
	s_sub_co_i32 s5, s5, s36
	v_ashrrev_i32_e32 v47, 31, v46
	s_mul_i32 s36, s5, s15
	s_delay_alu instid0(VALU_DEP_2) | instskip(SKIP_2) | instid1(VALU_DEP_2)
	v_lshl_add_u32 v81, v33, 2, v1
	v_dual_add_nc_u32 v0, s3, v8 :: v_dual_ashrrev_i32 v7, 31, v6
	v_dual_mov_b32 v28, 0 :: v_dual_add_nc_u32 v83, 0x8400, v1
	v_dual_mov_b32 v58, 0xfeffffff :: v_dual_ashrrev_i32 v1, 31, v0
	v_add_nc_u32_e32 v2, s3, v0
	v_ashrrev_i32_e32 v9, 31, v8
	v_lshlrev_b64_e32 v[50:51], 2, v[6:7]
	s_mul_i32 s24, s5, s27
	v_lshlrev_b64_e32 v[54:55], 2, v[0:1]
	v_ashrrev_i32_e32 v3, 31, v2
	v_lshlrev_b64_e32 v[52:53], 2, v[8:9]
	v_dual_ashrrev_i32 v39, 31, v38 :: v_dual_ashrrev_i32 v41, 31, v40
	v_dual_mov_b32 v49, v43 :: v_dual_add_nc_u32 v76, 0x1100, v75
	s_delay_alu instid0(VALU_DEP_4)
	v_lshlrev_b64_e32 v[56:57], 2, v[2:3]
	v_dual_mov_b32 v74, 32 :: v_dual_add_nc_u32 v77, 0x2200, v75
	v_dual_mov_b32 v23, 0 :: v_dual_add_nc_u32 v78, 0x3300, v75
	v_mul_u32_u24_e32 v80, 0x110, v71
	v_dual_mov_b32 v21, 0 :: v_dual_add_nc_u32 v84, 0x1000, v81
	v_dual_mov_b32 v26, 0 :: v_dual_add_nc_u32 v85, 0x2000, v81
	;; [unrolled: 1-line block ×3, first 2 shown]
	v_dual_mov_b32 v27, 0 :: v_dual_lshlrev_b32 v48, 2, v4
	v_dual_mov_b32 v20, 0 :: v_dual_mov_b32 v30, 0
	v_dual_mov_b32 v31, 0 :: v_dual_mov_b32 v87, 0
	;; [unrolled: 1-line block ×8, first 2 shown]
	s_ashr_i32 s37, s36, 31
	s_add_nc_u64 s[8:9], s[8:9], s[20:21]
	s_ashr_i32 s25, s24, 31
	s_add_nc_u64 s[6:7], s[6:7], s[36:37]
	s_add_nc_u64 s[8:9], s[8:9], s[24:25]
	s_ashr_i32 s15, s14, 31
	s_ashr_i32 s11, s10, 31
	s_add_nc_u64 s[20:21], s[0:1], 0xd0
	s_mov_b32 s3, 0xbbbac73d
.LBB58_9:                               ; =>This Inner Loop Header: Depth=1
	s_ashr_i32 s5, s4, 31
	v_mov_b32_e32 v105, 0
	s_mul_u64 s[24:25], s[4:5], s[14:15]
	v_mov_b32_e32 v106, 0
	s_lshl_b64 s[24:25], s[24:25], 2
	s_delay_alu instid0(SALU_CYCLE_1) | instskip(NEXT) | instid1(SALU_CYCLE_1)
	s_add_nc_u64 s[24:25], s[6:7], s[24:25]
	v_lshl_add_u64 v[0:1], v[38:39], 2, s[24:25]
	v_lshl_add_u64 v[2:3], v[40:41], 2, s[24:25]
	;; [unrolled: 1-line block ×4, first 2 shown]
	s_delay_alu instid0(VALU_DEP_4) | instskip(NEXT) | instid1(VALU_DEP_4)
	v_add_nc_u64_e32 v[0:1], v[0:1], v[48:49]
	v_add_nc_u64_e32 v[2:3], v[2:3], v[48:49]
	s_delay_alu instid0(VALU_DEP_4) | instskip(NEXT) | instid1(VALU_DEP_4)
	v_add_nc_u64_e32 v[4:5], v[4:5], v[48:49]
	v_add_nc_u64_e32 v[6:7], v[6:7], v[48:49]
	s_clause 0x3
	global_load_b128 v[8:11], v[0:1], off
	global_load_b128 v[12:15], v[2:3], off
	;; [unrolled: 1-line block ×4, first 2 shown]
	s_wait_loadcnt 0x3
	ds_store_b128 v75, v[8:11]
	s_wait_loadcnt 0x2
	ds_store_b128 v76, v[12:15]
	;; [unrolled: 2-line block ×4, first 2 shown]
	s_wait_dscnt 0x0
	s_barrier_signal -1
	s_barrier_wait -1
	ds_load_b128 v[14:17], v80
	ds_load_b128 v[62:65], v79
	ds_load_b128 v[66:69], v79 offset:512
	ds_load_b128 v[92:95], v79 offset:1024
	v_dual_mov_b32 v12, 0 :: v_dual_mov_b32 v10, 0
	ds_load_b128 v[96:99], v79 offset:1536
	ds_load_b128 v[100:103], v80 offset:8704
	v_dual_mov_b32 v8, 0 :: v_dual_mov_b32 v13, 0
	v_dual_mov_b32 v11, 0 :: v_dual_mov_b32 v9, 0
	s_wait_dscnt 0x4
	;;#ASMSTART
	v_dot2_f32_f16 v12, v14, v62, v12
	;;#ASMEND
	;;#ASMSTART
	v_dot2_f32_f16 v12, v15, v63, v12
	;;#ASMEND
	;;#ASMSTART
	v_dot2_f32_f16 v12, v16, v64, v12
	;;#ASMEND
	;;#ASMSTART
	v_dot2_f32_f16 v12, v17, v65, v12
	;;#ASMEND
	s_wait_dscnt 0x3
	;;#ASMSTART
	v_dot2_f32_f16 v10, v14, v66, v10
	;;#ASMEND
	;;#ASMSTART
	v_dot2_f32_f16 v10, v15, v67, v10
	;;#ASMEND
	;;#ASMSTART
	v_dot2_f32_f16 v10, v16, v68, v10
	;;#ASMEND
	;;#ASMSTART
	v_dot2_f32_f16 v10, v17, v69, v10
	;;#ASMEND
	;; [unrolled: 13-line block ×5, first 2 shown]
	;;#ASMSTART
	v_dot2_f32_f16 v11, v100, v66, v11
	;;#ASMEND
	;;#ASMSTART
	v_dot2_f32_f16 v11, v101, v67, v11
	;;#ASMEND
	;; [unrolled: 3-line block ×12, first 2 shown]
	ds_load_b128 v[14:17], v80 offset:16
	ds_load_b128 v[62:65], v79 offset:16
	;; [unrolled: 1-line block ×6, first 2 shown]
	s_wait_dscnt 0x4
	;;#ASMSTART
	v_dot2_f32_f16 v12, v14, v62, v12
	;;#ASMEND
	;;#ASMSTART
	v_dot2_f32_f16 v12, v15, v63, v12
	;;#ASMEND
	;;#ASMSTART
	v_dot2_f32_f16 v12, v16, v64, v12
	;;#ASMEND
	;;#ASMSTART
	v_dot2_f32_f16 v12, v17, v65, v12
	;;#ASMEND
	s_wait_dscnt 0x3
	;;#ASMSTART
	v_dot2_f32_f16 v10, v14, v66, v10
	;;#ASMEND
	;;#ASMSTART
	v_dot2_f32_f16 v10, v15, v67, v10
	;;#ASMEND
	;;#ASMSTART
	v_dot2_f32_f16 v10, v16, v68, v10
	;;#ASMEND
	;;#ASMSTART
	v_dot2_f32_f16 v10, v17, v69, v10
	;;#ASMEND
	;; [unrolled: 13-line block ×5, first 2 shown]
	;;#ASMSTART
	v_dot2_f32_f16 v11, v100, v66, v11
	;;#ASMEND
	;;#ASMSTART
	v_dot2_f32_f16 v11, v101, v67, v11
	;;#ASMEND
	;; [unrolled: 3-line block ×12, first 2 shown]
	ds_load_b128 v[14:17], v80 offset:32
	ds_load_b128 v[62:65], v79 offset:32
	ds_load_b128 v[66:69], v79 offset:544
	ds_load_b128 v[92:95], v79 offset:1056
	ds_load_b128 v[96:99], v79 offset:1568
	ds_load_b128 v[100:103], v80 offset:8736
	s_wait_dscnt 0x4
	;;#ASMSTART
	v_dot2_f32_f16 v12, v14, v62, v12
	;;#ASMEND
	;;#ASMSTART
	v_dot2_f32_f16 v12, v15, v63, v12
	;;#ASMEND
	;;#ASMSTART
	v_dot2_f32_f16 v12, v16, v64, v12
	;;#ASMEND
	;;#ASMSTART
	v_dot2_f32_f16 v12, v17, v65, v12
	;;#ASMEND
	s_wait_dscnt 0x3
	;;#ASMSTART
	v_dot2_f32_f16 v10, v14, v66, v10
	;;#ASMEND
	;;#ASMSTART
	v_dot2_f32_f16 v10, v15, v67, v10
	;;#ASMEND
	;;#ASMSTART
	v_dot2_f32_f16 v10, v16, v68, v10
	;;#ASMEND
	;;#ASMSTART
	v_dot2_f32_f16 v10, v17, v69, v10
	;;#ASMEND
	;; [unrolled: 13-line block ×5, first 2 shown]
	;;#ASMSTART
	v_dot2_f32_f16 v11, v100, v66, v11
	;;#ASMEND
	;;#ASMSTART
	v_dot2_f32_f16 v11, v101, v67, v11
	;;#ASMEND
	;; [unrolled: 3-line block ×12, first 2 shown]
	ds_load_b128 v[14:17], v80 offset:48
	ds_load_b128 v[62:65], v79 offset:48
	;; [unrolled: 1-line block ×6, first 2 shown]
	s_wait_dscnt 0x4
	;;#ASMSTART
	v_dot2_f32_f16 v12, v14, v62, v12
	;;#ASMEND
	;;#ASMSTART
	v_dot2_f32_f16 v12, v15, v63, v12
	;;#ASMEND
	;;#ASMSTART
	v_dot2_f32_f16 v12, v16, v64, v12
	;;#ASMEND
	;;#ASMSTART
	v_dot2_f32_f16 v12, v17, v65, v12
	;;#ASMEND
	s_wait_dscnt 0x3
	;;#ASMSTART
	v_dot2_f32_f16 v10, v14, v66, v10
	;;#ASMEND
	;;#ASMSTART
	v_dot2_f32_f16 v10, v15, v67, v10
	;;#ASMEND
	;;#ASMSTART
	v_dot2_f32_f16 v10, v16, v68, v10
	;;#ASMEND
	;;#ASMSTART
	v_dot2_f32_f16 v10, v17, v69, v10
	;;#ASMEND
	;; [unrolled: 13-line block ×5, first 2 shown]
	;;#ASMSTART
	v_dot2_f32_f16 v11, v100, v66, v11
	;;#ASMEND
	;;#ASMSTART
	v_dot2_f32_f16 v11, v101, v67, v11
	;;#ASMEND
	;; [unrolled: 3-line block ×12, first 2 shown]
	ds_load_b128 v[14:17], v80 offset:64
	ds_load_b128 v[62:65], v79 offset:64
	;; [unrolled: 1-line block ×6, first 2 shown]
	s_wait_dscnt 0x4
	;;#ASMSTART
	v_dot2_f32_f16 v12, v14, v62, v12
	;;#ASMEND
	;;#ASMSTART
	v_dot2_f32_f16 v12, v15, v63, v12
	;;#ASMEND
	;;#ASMSTART
	v_dot2_f32_f16 v12, v16, v64, v12
	;;#ASMEND
	;;#ASMSTART
	v_dot2_f32_f16 v12, v17, v65, v12
	;;#ASMEND
	s_wait_dscnt 0x3
	;;#ASMSTART
	v_dot2_f32_f16 v10, v14, v66, v10
	;;#ASMEND
	;;#ASMSTART
	v_dot2_f32_f16 v10, v15, v67, v10
	;;#ASMEND
	;;#ASMSTART
	v_dot2_f32_f16 v10, v16, v68, v10
	;;#ASMEND
	;;#ASMSTART
	v_dot2_f32_f16 v10, v17, v69, v10
	;;#ASMEND
	;; [unrolled: 13-line block ×5, first 2 shown]
	;;#ASMSTART
	v_dot2_f32_f16 v11, v100, v66, v11
	;;#ASMEND
	;;#ASMSTART
	v_dot2_f32_f16 v11, v101, v67, v11
	;;#ASMEND
	;; [unrolled: 3-line block ×12, first 2 shown]
	ds_load_b128 v[14:17], v80 offset:80
	ds_load_b128 v[62:65], v79 offset:80
	;; [unrolled: 1-line block ×6, first 2 shown]
	s_wait_dscnt 0x4
	;;#ASMSTART
	v_dot2_f32_f16 v12, v14, v62, v12
	;;#ASMEND
	;;#ASMSTART
	v_dot2_f32_f16 v12, v15, v63, v12
	;;#ASMEND
	;;#ASMSTART
	v_dot2_f32_f16 v12, v16, v64, v12
	;;#ASMEND
	;;#ASMSTART
	v_dot2_f32_f16 v12, v17, v65, v12
	;;#ASMEND
	s_wait_dscnt 0x3
	;;#ASMSTART
	v_dot2_f32_f16 v10, v14, v66, v10
	;;#ASMEND
	;;#ASMSTART
	v_dot2_f32_f16 v10, v15, v67, v10
	;;#ASMEND
	;;#ASMSTART
	v_dot2_f32_f16 v10, v16, v68, v10
	;;#ASMEND
	;;#ASMSTART
	v_dot2_f32_f16 v10, v17, v69, v10
	;;#ASMEND
	;; [unrolled: 13-line block ×5, first 2 shown]
	;;#ASMSTART
	v_dot2_f32_f16 v11, v100, v66, v11
	;;#ASMEND
	;;#ASMSTART
	v_dot2_f32_f16 v11, v101, v67, v11
	;;#ASMEND
	;; [unrolled: 3-line block ×12, first 2 shown]
	ds_load_b128 v[14:17], v80 offset:96
	ds_load_b128 v[62:65], v79 offset:96
	;; [unrolled: 1-line block ×6, first 2 shown]
	s_wait_dscnt 0x4
	;;#ASMSTART
	v_dot2_f32_f16 v12, v14, v62, v12
	;;#ASMEND
	;;#ASMSTART
	v_dot2_f32_f16 v12, v15, v63, v12
	;;#ASMEND
	;;#ASMSTART
	v_dot2_f32_f16 v12, v16, v64, v12
	;;#ASMEND
	;;#ASMSTART
	v_dot2_f32_f16 v12, v17, v65, v12
	;;#ASMEND
	s_wait_dscnt 0x3
	;;#ASMSTART
	v_dot2_f32_f16 v10, v14, v66, v10
	;;#ASMEND
	;;#ASMSTART
	v_dot2_f32_f16 v10, v15, v67, v10
	;;#ASMEND
	;;#ASMSTART
	v_dot2_f32_f16 v10, v16, v68, v10
	;;#ASMEND
	;;#ASMSTART
	v_dot2_f32_f16 v10, v17, v69, v10
	;;#ASMEND
	;; [unrolled: 13-line block ×5, first 2 shown]
	;;#ASMSTART
	v_dot2_f32_f16 v11, v100, v66, v11
	;;#ASMEND
	;;#ASMSTART
	v_dot2_f32_f16 v11, v101, v67, v11
	;;#ASMEND
	;; [unrolled: 3-line block ×12, first 2 shown]
	ds_load_b128 v[14:17], v80 offset:112
	ds_load_b128 v[62:65], v79 offset:112
	;; [unrolled: 1-line block ×6, first 2 shown]
	s_wait_dscnt 0x4
	;;#ASMSTART
	v_dot2_f32_f16 v12, v14, v62, v12
	;;#ASMEND
	;;#ASMSTART
	v_dot2_f32_f16 v12, v15, v63, v12
	;;#ASMEND
	;;#ASMSTART
	v_dot2_f32_f16 v12, v16, v64, v12
	;;#ASMEND
	;;#ASMSTART
	v_dot2_f32_f16 v12, v17, v65, v12
	;;#ASMEND
	s_wait_dscnt 0x3
	;;#ASMSTART
	v_dot2_f32_f16 v10, v14, v66, v10
	;;#ASMEND
	;;#ASMSTART
	v_dot2_f32_f16 v10, v15, v67, v10
	;;#ASMEND
	;;#ASMSTART
	v_dot2_f32_f16 v10, v16, v68, v10
	;;#ASMEND
	;;#ASMSTART
	v_dot2_f32_f16 v10, v17, v69, v10
	;;#ASMEND
	;; [unrolled: 13-line block ×5, first 2 shown]
	;;#ASMSTART
	v_dot2_f32_f16 v11, v100, v66, v11
	;;#ASMEND
	;;#ASMSTART
	v_dot2_f32_f16 v11, v101, v67, v11
	;;#ASMEND
	;; [unrolled: 3-line block ×12, first 2 shown]
	ds_load_b128 v[14:17], v80 offset:128
	ds_load_b128 v[62:65], v79 offset:128
	;; [unrolled: 1-line block ×6, first 2 shown]
	s_wait_dscnt 0x4
	;;#ASMSTART
	v_dot2_f32_f16 v12, v14, v62, v12
	;;#ASMEND
	;;#ASMSTART
	v_dot2_f32_f16 v12, v15, v63, v12
	;;#ASMEND
	;;#ASMSTART
	v_dot2_f32_f16 v12, v16, v64, v12
	;;#ASMEND
	;;#ASMSTART
	v_dot2_f32_f16 v12, v17, v65, v12
	;;#ASMEND
	s_wait_dscnt 0x3
	;;#ASMSTART
	v_dot2_f32_f16 v10, v14, v66, v10
	;;#ASMEND
	;;#ASMSTART
	v_dot2_f32_f16 v10, v15, v67, v10
	;;#ASMEND
	;;#ASMSTART
	v_dot2_f32_f16 v10, v16, v68, v10
	;;#ASMEND
	;;#ASMSTART
	v_dot2_f32_f16 v10, v17, v69, v10
	;;#ASMEND
	;; [unrolled: 13-line block ×5, first 2 shown]
	;;#ASMSTART
	v_dot2_f32_f16 v11, v100, v66, v11
	;;#ASMEND
	;;#ASMSTART
	v_dot2_f32_f16 v11, v101, v67, v11
	;;#ASMEND
	;; [unrolled: 3-line block ×12, first 2 shown]
	ds_load_b128 v[14:17], v80 offset:144
	ds_load_b128 v[62:65], v79 offset:144
	;; [unrolled: 1-line block ×6, first 2 shown]
	s_wait_dscnt 0x4
	;;#ASMSTART
	v_dot2_f32_f16 v12, v14, v62, v12
	;;#ASMEND
	;;#ASMSTART
	v_dot2_f32_f16 v12, v15, v63, v12
	;;#ASMEND
	;;#ASMSTART
	v_dot2_f32_f16 v12, v16, v64, v12
	;;#ASMEND
	;;#ASMSTART
	v_dot2_f32_f16 v12, v17, v65, v12
	;;#ASMEND
	s_wait_dscnt 0x3
	;;#ASMSTART
	v_dot2_f32_f16 v10, v14, v66, v10
	;;#ASMEND
	;;#ASMSTART
	v_dot2_f32_f16 v10, v15, v67, v10
	;;#ASMEND
	;;#ASMSTART
	v_dot2_f32_f16 v10, v16, v68, v10
	;;#ASMEND
	;;#ASMSTART
	v_dot2_f32_f16 v10, v17, v69, v10
	;;#ASMEND
	;; [unrolled: 13-line block ×5, first 2 shown]
	;;#ASMSTART
	v_dot2_f32_f16 v11, v100, v66, v11
	;;#ASMEND
	;;#ASMSTART
	v_dot2_f32_f16 v11, v101, v67, v11
	;;#ASMEND
	;;#ASMSTART
	v_dot2_f32_f16 v11, v102, v68, v11
	;;#ASMEND
	;;#ASMSTART
	v_dot2_f32_f16 v11, v103, v69, v11
	;;#ASMEND
	;;#ASMSTART
	v_dot2_f32_f16 v9, v100, v92, v9
	;;#ASMEND
	;;#ASMSTART
	v_dot2_f32_f16 v9, v101, v93, v9
	;;#ASMEND
	;;#ASMSTART
	v_dot2_f32_f16 v9, v102, v94, v9
	;;#ASMEND
	;;#ASMSTART
	v_dot2_f32_f16 v9, v103, v95, v9
	;;#ASMEND
	;;#ASMSTART
	v_dot2_f32_f16 v106, v100, v96, v106
	;;#ASMEND
	;;#ASMSTART
	v_dot2_f32_f16 v106, v101, v97, v106
	;;#ASMEND
	;;#ASMSTART
	v_dot2_f32_f16 v106, v102, v98, v106
	;;#ASMEND
	;;#ASMSTART
	v_dot2_f32_f16 v106, v103, v99, v106
	;;#ASMEND
	ds_load_b128 v[14:17], v80 offset:160
	ds_load_b128 v[62:65], v79 offset:160
	;; [unrolled: 1-line block ×6, first 2 shown]
	s_wait_dscnt 0x4
	;;#ASMSTART
	v_dot2_f32_f16 v12, v14, v62, v12
	;;#ASMEND
	;;#ASMSTART
	v_dot2_f32_f16 v12, v15, v63, v12
	;;#ASMEND
	;;#ASMSTART
	v_dot2_f32_f16 v12, v16, v64, v12
	;;#ASMEND
	;;#ASMSTART
	v_dot2_f32_f16 v12, v17, v65, v12
	;;#ASMEND
	s_wait_dscnt 0x3
	;;#ASMSTART
	v_dot2_f32_f16 v10, v14, v66, v10
	;;#ASMEND
	;;#ASMSTART
	v_dot2_f32_f16 v10, v15, v67, v10
	;;#ASMEND
	;;#ASMSTART
	v_dot2_f32_f16 v10, v16, v68, v10
	;;#ASMEND
	;;#ASMSTART
	v_dot2_f32_f16 v10, v17, v69, v10
	;;#ASMEND
	;; [unrolled: 13-line block ×5, first 2 shown]
	;;#ASMSTART
	v_dot2_f32_f16 v11, v100, v66, v11
	;;#ASMEND
	;;#ASMSTART
	v_dot2_f32_f16 v11, v101, v67, v11
	;;#ASMEND
	;; [unrolled: 3-line block ×12, first 2 shown]
	ds_load_b128 v[14:17], v80 offset:176
	ds_load_b128 v[62:65], v79 offset:176
	ds_load_b128 v[66:69], v79 offset:688
	ds_load_b128 v[92:95], v79 offset:1200
	ds_load_b128 v[96:99], v79 offset:1712
	ds_load_b128 v[100:103], v80 offset:8880
	s_wait_dscnt 0x4
	;;#ASMSTART
	v_dot2_f32_f16 v12, v14, v62, v12
	;;#ASMEND
	;;#ASMSTART
	v_dot2_f32_f16 v12, v15, v63, v12
	;;#ASMEND
	;;#ASMSTART
	v_dot2_f32_f16 v12, v16, v64, v12
	;;#ASMEND
	;;#ASMSTART
	v_dot2_f32_f16 v12, v17, v65, v12
	;;#ASMEND
	s_wait_dscnt 0x3
	;;#ASMSTART
	v_dot2_f32_f16 v10, v14, v66, v10
	;;#ASMEND
	;;#ASMSTART
	v_dot2_f32_f16 v10, v15, v67, v10
	;;#ASMEND
	;;#ASMSTART
	v_dot2_f32_f16 v10, v16, v68, v10
	;;#ASMEND
	;;#ASMSTART
	v_dot2_f32_f16 v10, v17, v69, v10
	;;#ASMEND
	;; [unrolled: 13-line block ×5, first 2 shown]
	;;#ASMSTART
	v_dot2_f32_f16 v11, v100, v66, v11
	;;#ASMEND
	;;#ASMSTART
	v_dot2_f32_f16 v11, v101, v67, v11
	;;#ASMEND
	;; [unrolled: 3-line block ×12, first 2 shown]
	ds_load_b128 v[14:17], v80 offset:192
	ds_load_b128 v[62:65], v79 offset:192
	;; [unrolled: 1-line block ×6, first 2 shown]
	s_wait_dscnt 0x4
	;;#ASMSTART
	v_dot2_f32_f16 v12, v14, v62, v12
	;;#ASMEND
	;;#ASMSTART
	v_dot2_f32_f16 v12, v15, v63, v12
	;;#ASMEND
	;;#ASMSTART
	v_dot2_f32_f16 v12, v16, v64, v12
	;;#ASMEND
	;;#ASMSTART
	v_dot2_f32_f16 v12, v17, v65, v12
	;;#ASMEND
	s_wait_dscnt 0x3
	;;#ASMSTART
	v_dot2_f32_f16 v10, v14, v66, v10
	;;#ASMEND
	;;#ASMSTART
	v_dot2_f32_f16 v10, v15, v67, v10
	;;#ASMEND
	;;#ASMSTART
	v_dot2_f32_f16 v10, v16, v68, v10
	;;#ASMEND
	;;#ASMSTART
	v_dot2_f32_f16 v10, v17, v69, v10
	;;#ASMEND
	;; [unrolled: 13-line block ×5, first 2 shown]
	;;#ASMSTART
	v_dot2_f32_f16 v11, v100, v66, v11
	;;#ASMEND
	;;#ASMSTART
	v_dot2_f32_f16 v11, v101, v67, v11
	;;#ASMEND
	;; [unrolled: 3-line block ×12, first 2 shown]
	ds_load_b128 v[14:17], v80 offset:208
	ds_load_b128 v[62:65], v79 offset:208
	;; [unrolled: 1-line block ×6, first 2 shown]
	s_wait_dscnt 0x4
	;;#ASMSTART
	v_dot2_f32_f16 v12, v14, v62, v12
	;;#ASMEND
	;;#ASMSTART
	v_dot2_f32_f16 v12, v15, v63, v12
	;;#ASMEND
	;;#ASMSTART
	v_dot2_f32_f16 v12, v16, v64, v12
	;;#ASMEND
	;;#ASMSTART
	v_dot2_f32_f16 v12, v17, v65, v12
	;;#ASMEND
	s_wait_dscnt 0x3
	;;#ASMSTART
	v_dot2_f32_f16 v10, v14, v66, v10
	;;#ASMEND
	;;#ASMSTART
	v_dot2_f32_f16 v10, v15, v67, v10
	;;#ASMEND
	;;#ASMSTART
	v_dot2_f32_f16 v10, v16, v68, v10
	;;#ASMEND
	;;#ASMSTART
	v_dot2_f32_f16 v10, v17, v69, v10
	;;#ASMEND
	s_wait_dscnt 0x2
	;;#ASMSTART
	v_dot2_f32_f16 v8, v14, v92, v8
	;;#ASMEND
	;;#ASMSTART
	v_dot2_f32_f16 v8, v15, v93, v8
	;;#ASMEND
	;;#ASMSTART
	v_dot2_f32_f16 v8, v16, v94, v8
	;;#ASMEND
	;;#ASMSTART
	v_dot2_f32_f16 v8, v17, v95, v8
	;;#ASMEND
	s_wait_dscnt 0x1
	;;#ASMSTART
	v_dot2_f32_f16 v105, v14, v96, v105
	;;#ASMEND
	;;#ASMSTART
	v_dot2_f32_f16 v105, v15, v97, v105
	;;#ASMEND
	;;#ASMSTART
	v_dot2_f32_f16 v105, v16, v98, v105
	;;#ASMEND
	;;#ASMSTART
	v_dot2_f32_f16 v105, v17, v99, v105
	;;#ASMEND
	s_wait_dscnt 0x0
	;;#ASMSTART
	v_dot2_f32_f16 v13, v100, v62, v13
	;;#ASMEND
	;;#ASMSTART
	v_dot2_f32_f16 v13, v101, v63, v13
	;;#ASMEND
	;;#ASMSTART
	v_dot2_f32_f16 v13, v102, v64, v13
	;;#ASMEND
	;;#ASMSTART
	v_dot2_f32_f16 v13, v103, v65, v13
	;;#ASMEND
	;;#ASMSTART
	v_dot2_f32_f16 v11, v100, v66, v11
	;;#ASMEND
	;;#ASMSTART
	v_dot2_f32_f16 v11, v101, v67, v11
	;;#ASMEND
	;; [unrolled: 3-line block ×12, first 2 shown]
	ds_load_b128 v[14:17], v80 offset:224
	ds_load_b128 v[62:65], v79 offset:224
	;; [unrolled: 1-line block ×6, first 2 shown]
	s_wait_dscnt 0x4
	;;#ASMSTART
	v_dot2_f32_f16 v12, v14, v62, v12
	;;#ASMEND
	;;#ASMSTART
	v_dot2_f32_f16 v12, v15, v63, v12
	;;#ASMEND
	;;#ASMSTART
	v_dot2_f32_f16 v12, v16, v64, v12
	;;#ASMEND
	;;#ASMSTART
	v_dot2_f32_f16 v12, v17, v65, v12
	;;#ASMEND
	s_wait_dscnt 0x3
	;;#ASMSTART
	v_dot2_f32_f16 v10, v14, v66, v10
	;;#ASMEND
	;;#ASMSTART
	v_dot2_f32_f16 v10, v15, v67, v10
	;;#ASMEND
	;;#ASMSTART
	v_dot2_f32_f16 v10, v16, v68, v10
	;;#ASMEND
	;;#ASMSTART
	v_dot2_f32_f16 v10, v17, v69, v10
	;;#ASMEND
	;; [unrolled: 13-line block ×5, first 2 shown]
	;;#ASMSTART
	v_dot2_f32_f16 v11, v100, v66, v11
	;;#ASMEND
	;;#ASMSTART
	v_dot2_f32_f16 v11, v101, v67, v11
	;;#ASMEND
	;; [unrolled: 3-line block ×12, first 2 shown]
	ds_load_b128 v[14:17], v80 offset:240
	ds_load_b128 v[62:65], v79 offset:240
	;; [unrolled: 1-line block ×6, first 2 shown]
	s_wait_dscnt 0x4
	;;#ASMSTART
	v_dot2_f32_f16 v12, v14, v62, v12
	;;#ASMEND
	;;#ASMSTART
	v_dot2_f32_f16 v12, v15, v63, v12
	;;#ASMEND
	;;#ASMSTART
	v_dot2_f32_f16 v12, v16, v64, v12
	;;#ASMEND
	;;#ASMSTART
	v_dot2_f32_f16 v12, v17, v65, v12
	;;#ASMEND
	s_wait_dscnt 0x3
	;;#ASMSTART
	v_dot2_f32_f16 v10, v14, v66, v10
	;;#ASMEND
	;;#ASMSTART
	v_dot2_f32_f16 v10, v15, v67, v10
	;;#ASMEND
	;;#ASMSTART
	v_dot2_f32_f16 v10, v16, v68, v10
	;;#ASMEND
	;;#ASMSTART
	v_dot2_f32_f16 v10, v17, v69, v10
	;;#ASMEND
	s_wait_dscnt 0x2
	;;#ASMSTART
	v_dot2_f32_f16 v8, v14, v92, v8
	;;#ASMEND
	;;#ASMSTART
	v_dot2_f32_f16 v8, v15, v93, v8
	;;#ASMEND
	;;#ASMSTART
	v_dot2_f32_f16 v8, v16, v94, v8
	;;#ASMEND
	;;#ASMSTART
	v_dot2_f32_f16 v8, v17, v95, v8
	;;#ASMEND
	s_wait_dscnt 0x1
	;;#ASMSTART
	v_dot2_f32_f16 v105, v14, v96, v105
	;;#ASMEND
	;;#ASMSTART
	v_dot2_f32_f16 v105, v15, v97, v105
	;;#ASMEND
	;;#ASMSTART
	v_dot2_f32_f16 v105, v16, v98, v105
	;;#ASMEND
	;;#ASMSTART
	v_dot2_f32_f16 v105, v17, v99, v105
	;;#ASMEND
	s_wait_dscnt 0x0
	;;#ASMSTART
	v_dot2_f32_f16 v13, v100, v62, v13
	;;#ASMEND
	;;#ASMSTART
	v_dot2_f32_f16 v13, v101, v63, v13
	;;#ASMEND
	;;#ASMSTART
	v_dot2_f32_f16 v13, v102, v64, v13
	;;#ASMEND
	;;#ASMSTART
	v_dot2_f32_f16 v13, v103, v65, v13
	;;#ASMEND
	;;#ASMSTART
	v_dot2_f32_f16 v11, v100, v66, v11
	;;#ASMEND
	;;#ASMSTART
	v_dot2_f32_f16 v11, v101, v67, v11
	;;#ASMEND
	;; [unrolled: 3-line block ×12, first 2 shown]
	s_barrier_signal -1
	s_barrier_wait -1
	s_clause 0x3
	global_load_b128 v[14:17], v[0:1], off offset:256
	global_load_b128 v[62:65], v[2:3], off offset:256
	;; [unrolled: 1-line block ×4, first 2 shown]
	s_wait_loadcnt 0x3
	ds_store_b128 v75, v[14:17]
	s_wait_loadcnt 0x2
	ds_store_b128 v76, v[62:65]
	s_wait_loadcnt 0x1
	ds_store_b128 v77, v[66:69]
	s_wait_loadcnt 0x0
	ds_store_b128 v78, v[92:95]
	s_wait_dscnt 0x0
	s_barrier_signal -1
	s_barrier_wait -1
	ds_load_b128 v[0:3], v80
	ds_load_b128 v[4:7], v79 offset:256
	ds_load_b128 v[14:17], v79 offset:768
	;; [unrolled: 1-line block ×5, first 2 shown]
	s_wait_dscnt 0x4
	;;#ASMSTART
	v_dot2_f32_f16 v12, v0, v4, v12
	;;#ASMEND
	;;#ASMSTART
	v_dot2_f32_f16 v12, v1, v5, v12
	;;#ASMEND
	;;#ASMSTART
	v_dot2_f32_f16 v12, v2, v6, v12
	;;#ASMEND
	;;#ASMSTART
	v_dot2_f32_f16 v12, v3, v7, v12
	;;#ASMEND
	s_wait_dscnt 0x3
	;;#ASMSTART
	v_dot2_f32_f16 v10, v0, v14, v10
	;;#ASMEND
	;;#ASMSTART
	v_dot2_f32_f16 v10, v1, v15, v10
	;;#ASMEND
	;;#ASMSTART
	v_dot2_f32_f16 v10, v2, v16, v10
	;;#ASMEND
	;;#ASMSTART
	v_dot2_f32_f16 v10, v3, v17, v10
	;;#ASMEND
	;; [unrolled: 13-line block ×5, first 2 shown]
	;;#ASMSTART
	v_dot2_f32_f16 v11, v92, v14, v11
	;;#ASMEND
	;;#ASMSTART
	v_dot2_f32_f16 v11, v93, v15, v11
	;;#ASMEND
	;; [unrolled: 3-line block ×12, first 2 shown]
	ds_load_b128 v[0:3], v80 offset:16
	ds_load_b128 v[4:7], v79 offset:272
	;; [unrolled: 1-line block ×6, first 2 shown]
	s_wait_dscnt 0x4
	;;#ASMSTART
	v_dot2_f32_f16 v12, v0, v4, v12
	;;#ASMEND
	;;#ASMSTART
	v_dot2_f32_f16 v12, v1, v5, v12
	;;#ASMEND
	;;#ASMSTART
	v_dot2_f32_f16 v12, v2, v6, v12
	;;#ASMEND
	;;#ASMSTART
	v_dot2_f32_f16 v12, v3, v7, v12
	;;#ASMEND
	s_wait_dscnt 0x3
	;;#ASMSTART
	v_dot2_f32_f16 v10, v0, v14, v10
	;;#ASMEND
	;;#ASMSTART
	v_dot2_f32_f16 v10, v1, v15, v10
	;;#ASMEND
	;;#ASMSTART
	v_dot2_f32_f16 v10, v2, v16, v10
	;;#ASMEND
	;;#ASMSTART
	v_dot2_f32_f16 v10, v3, v17, v10
	;;#ASMEND
	;; [unrolled: 13-line block ×5, first 2 shown]
	;;#ASMSTART
	v_dot2_f32_f16 v11, v92, v14, v11
	;;#ASMEND
	;;#ASMSTART
	v_dot2_f32_f16 v11, v93, v15, v11
	;;#ASMEND
	;; [unrolled: 3-line block ×12, first 2 shown]
	ds_load_b128 v[0:3], v80 offset:32
	ds_load_b128 v[4:7], v79 offset:288
	;; [unrolled: 1-line block ×6, first 2 shown]
	s_wait_dscnt 0x4
	;;#ASMSTART
	v_dot2_f32_f16 v12, v0, v4, v12
	;;#ASMEND
	;;#ASMSTART
	v_dot2_f32_f16 v12, v1, v5, v12
	;;#ASMEND
	;;#ASMSTART
	v_dot2_f32_f16 v12, v2, v6, v12
	;;#ASMEND
	;;#ASMSTART
	v_dot2_f32_f16 v12, v3, v7, v12
	;;#ASMEND
	s_wait_dscnt 0x3
	;;#ASMSTART
	v_dot2_f32_f16 v10, v0, v14, v10
	;;#ASMEND
	;;#ASMSTART
	v_dot2_f32_f16 v10, v1, v15, v10
	;;#ASMEND
	;;#ASMSTART
	v_dot2_f32_f16 v10, v2, v16, v10
	;;#ASMEND
	;;#ASMSTART
	v_dot2_f32_f16 v10, v3, v17, v10
	;;#ASMEND
	;; [unrolled: 13-line block ×5, first 2 shown]
	;;#ASMSTART
	v_dot2_f32_f16 v11, v92, v14, v11
	;;#ASMEND
	;;#ASMSTART
	v_dot2_f32_f16 v11, v93, v15, v11
	;;#ASMEND
	;; [unrolled: 3-line block ×12, first 2 shown]
	ds_load_b128 v[0:3], v80 offset:48
	ds_load_b128 v[4:7], v79 offset:304
	;; [unrolled: 1-line block ×6, first 2 shown]
	s_wait_dscnt 0x4
	;;#ASMSTART
	v_dot2_f32_f16 v12, v0, v4, v12
	;;#ASMEND
	;;#ASMSTART
	v_dot2_f32_f16 v12, v1, v5, v12
	;;#ASMEND
	;;#ASMSTART
	v_dot2_f32_f16 v12, v2, v6, v12
	;;#ASMEND
	;;#ASMSTART
	v_dot2_f32_f16 v12, v3, v7, v12
	;;#ASMEND
	s_wait_dscnt 0x3
	;;#ASMSTART
	v_dot2_f32_f16 v10, v0, v14, v10
	;;#ASMEND
	;;#ASMSTART
	v_dot2_f32_f16 v10, v1, v15, v10
	;;#ASMEND
	;;#ASMSTART
	v_dot2_f32_f16 v10, v2, v16, v10
	;;#ASMEND
	;;#ASMSTART
	v_dot2_f32_f16 v10, v3, v17, v10
	;;#ASMEND
	;; [unrolled: 13-line block ×5, first 2 shown]
	;;#ASMSTART
	v_dot2_f32_f16 v11, v92, v14, v11
	;;#ASMEND
	;;#ASMSTART
	v_dot2_f32_f16 v11, v93, v15, v11
	;;#ASMEND
	;;#ASMSTART
	v_dot2_f32_f16 v11, v94, v16, v11
	;;#ASMEND
	;;#ASMSTART
	v_dot2_f32_f16 v11, v95, v17, v11
	;;#ASMEND
	;;#ASMSTART
	v_dot2_f32_f16 v9, v92, v62, v9
	;;#ASMEND
	;;#ASMSTART
	v_dot2_f32_f16 v9, v93, v63, v9
	;;#ASMEND
	;;#ASMSTART
	v_dot2_f32_f16 v9, v94, v64, v9
	;;#ASMEND
	;;#ASMSTART
	v_dot2_f32_f16 v9, v95, v65, v9
	;;#ASMEND
	;;#ASMSTART
	v_dot2_f32_f16 v106, v92, v66, v106
	;;#ASMEND
	;;#ASMSTART
	v_dot2_f32_f16 v106, v93, v67, v106
	;;#ASMEND
	;;#ASMSTART
	v_dot2_f32_f16 v106, v94, v68, v106
	;;#ASMEND
	;;#ASMSTART
	v_dot2_f32_f16 v106, v95, v69, v106
	;;#ASMEND
	ds_load_b128 v[0:3], v80 offset:64
	ds_load_b128 v[4:7], v79 offset:320
	;; [unrolled: 1-line block ×6, first 2 shown]
	s_wait_dscnt 0x4
	;;#ASMSTART
	v_dot2_f32_f16 v12, v0, v4, v12
	;;#ASMEND
	;;#ASMSTART
	v_dot2_f32_f16 v12, v1, v5, v12
	;;#ASMEND
	;;#ASMSTART
	v_dot2_f32_f16 v12, v2, v6, v12
	;;#ASMEND
	;;#ASMSTART
	v_dot2_f32_f16 v12, v3, v7, v12
	;;#ASMEND
	s_wait_dscnt 0x3
	;;#ASMSTART
	v_dot2_f32_f16 v10, v0, v14, v10
	;;#ASMEND
	;;#ASMSTART
	v_dot2_f32_f16 v10, v1, v15, v10
	;;#ASMEND
	;;#ASMSTART
	v_dot2_f32_f16 v10, v2, v16, v10
	;;#ASMEND
	;;#ASMSTART
	v_dot2_f32_f16 v10, v3, v17, v10
	;;#ASMEND
	;; [unrolled: 13-line block ×5, first 2 shown]
	;;#ASMSTART
	v_dot2_f32_f16 v11, v92, v14, v11
	;;#ASMEND
	;;#ASMSTART
	v_dot2_f32_f16 v11, v93, v15, v11
	;;#ASMEND
	;; [unrolled: 3-line block ×12, first 2 shown]
	ds_load_b128 v[0:3], v80 offset:80
	ds_load_b128 v[4:7], v79 offset:336
	;; [unrolled: 1-line block ×6, first 2 shown]
	s_wait_dscnt 0x4
	;;#ASMSTART
	v_dot2_f32_f16 v12, v0, v4, v12
	;;#ASMEND
	;;#ASMSTART
	v_dot2_f32_f16 v12, v1, v5, v12
	;;#ASMEND
	;;#ASMSTART
	v_dot2_f32_f16 v12, v2, v6, v12
	;;#ASMEND
	;;#ASMSTART
	v_dot2_f32_f16 v12, v3, v7, v12
	;;#ASMEND
	s_wait_dscnt 0x3
	;;#ASMSTART
	v_dot2_f32_f16 v10, v0, v14, v10
	;;#ASMEND
	;;#ASMSTART
	v_dot2_f32_f16 v10, v1, v15, v10
	;;#ASMEND
	;;#ASMSTART
	v_dot2_f32_f16 v10, v2, v16, v10
	;;#ASMEND
	;;#ASMSTART
	v_dot2_f32_f16 v10, v3, v17, v10
	;;#ASMEND
	;; [unrolled: 13-line block ×5, first 2 shown]
	;;#ASMSTART
	v_dot2_f32_f16 v11, v92, v14, v11
	;;#ASMEND
	;;#ASMSTART
	v_dot2_f32_f16 v11, v93, v15, v11
	;;#ASMEND
	;; [unrolled: 3-line block ×12, first 2 shown]
	ds_load_b128 v[0:3], v80 offset:96
	ds_load_b128 v[4:7], v79 offset:352
	;; [unrolled: 1-line block ×6, first 2 shown]
	s_wait_dscnt 0x4
	;;#ASMSTART
	v_dot2_f32_f16 v12, v0, v4, v12
	;;#ASMEND
	;;#ASMSTART
	v_dot2_f32_f16 v12, v1, v5, v12
	;;#ASMEND
	;;#ASMSTART
	v_dot2_f32_f16 v12, v2, v6, v12
	;;#ASMEND
	;;#ASMSTART
	v_dot2_f32_f16 v12, v3, v7, v12
	;;#ASMEND
	s_wait_dscnt 0x3
	;;#ASMSTART
	v_dot2_f32_f16 v10, v0, v14, v10
	;;#ASMEND
	;;#ASMSTART
	v_dot2_f32_f16 v10, v1, v15, v10
	;;#ASMEND
	;;#ASMSTART
	v_dot2_f32_f16 v10, v2, v16, v10
	;;#ASMEND
	;;#ASMSTART
	v_dot2_f32_f16 v10, v3, v17, v10
	;;#ASMEND
	;; [unrolled: 13-line block ×5, first 2 shown]
	;;#ASMSTART
	v_dot2_f32_f16 v11, v92, v14, v11
	;;#ASMEND
	;;#ASMSTART
	v_dot2_f32_f16 v11, v93, v15, v11
	;;#ASMEND
	;; [unrolled: 3-line block ×12, first 2 shown]
	ds_load_b128 v[0:3], v80 offset:112
	ds_load_b128 v[4:7], v79 offset:368
	;; [unrolled: 1-line block ×6, first 2 shown]
	s_wait_dscnt 0x4
	;;#ASMSTART
	v_dot2_f32_f16 v12, v0, v4, v12
	;;#ASMEND
	;;#ASMSTART
	v_dot2_f32_f16 v12, v1, v5, v12
	;;#ASMEND
	;;#ASMSTART
	v_dot2_f32_f16 v12, v2, v6, v12
	;;#ASMEND
	;;#ASMSTART
	v_dot2_f32_f16 v12, v3, v7, v12
	;;#ASMEND
	s_wait_dscnt 0x3
	;;#ASMSTART
	v_dot2_f32_f16 v10, v0, v14, v10
	;;#ASMEND
	;;#ASMSTART
	v_dot2_f32_f16 v10, v1, v15, v10
	;;#ASMEND
	;;#ASMSTART
	v_dot2_f32_f16 v10, v2, v16, v10
	;;#ASMEND
	;;#ASMSTART
	v_dot2_f32_f16 v10, v3, v17, v10
	;;#ASMEND
	;; [unrolled: 13-line block ×5, first 2 shown]
	;;#ASMSTART
	v_dot2_f32_f16 v11, v92, v14, v11
	;;#ASMEND
	;;#ASMSTART
	v_dot2_f32_f16 v11, v93, v15, v11
	;;#ASMEND
	;; [unrolled: 3-line block ×12, first 2 shown]
	ds_load_b128 v[0:3], v80 offset:128
	ds_load_b128 v[4:7], v79 offset:384
	;; [unrolled: 1-line block ×6, first 2 shown]
	s_wait_dscnt 0x4
	;;#ASMSTART
	v_dot2_f32_f16 v12, v0, v4, v12
	;;#ASMEND
	;;#ASMSTART
	v_dot2_f32_f16 v12, v1, v5, v12
	;;#ASMEND
	;;#ASMSTART
	v_dot2_f32_f16 v12, v2, v6, v12
	;;#ASMEND
	;;#ASMSTART
	v_dot2_f32_f16 v12, v3, v7, v12
	;;#ASMEND
	s_wait_dscnt 0x3
	;;#ASMSTART
	v_dot2_f32_f16 v10, v0, v14, v10
	;;#ASMEND
	;;#ASMSTART
	v_dot2_f32_f16 v10, v1, v15, v10
	;;#ASMEND
	;;#ASMSTART
	v_dot2_f32_f16 v10, v2, v16, v10
	;;#ASMEND
	;;#ASMSTART
	v_dot2_f32_f16 v10, v3, v17, v10
	;;#ASMEND
	;; [unrolled: 13-line block ×5, first 2 shown]
	;;#ASMSTART
	v_dot2_f32_f16 v11, v92, v14, v11
	;;#ASMEND
	;;#ASMSTART
	v_dot2_f32_f16 v11, v93, v15, v11
	;;#ASMEND
	;; [unrolled: 3-line block ×12, first 2 shown]
	ds_load_b128 v[0:3], v80 offset:144
	ds_load_b128 v[4:7], v79 offset:400
	;; [unrolled: 1-line block ×6, first 2 shown]
	s_wait_dscnt 0x4
	;;#ASMSTART
	v_dot2_f32_f16 v12, v0, v4, v12
	;;#ASMEND
	;;#ASMSTART
	v_dot2_f32_f16 v12, v1, v5, v12
	;;#ASMEND
	;;#ASMSTART
	v_dot2_f32_f16 v12, v2, v6, v12
	;;#ASMEND
	;;#ASMSTART
	v_dot2_f32_f16 v12, v3, v7, v12
	;;#ASMEND
	s_wait_dscnt 0x3
	;;#ASMSTART
	v_dot2_f32_f16 v10, v0, v14, v10
	;;#ASMEND
	;;#ASMSTART
	v_dot2_f32_f16 v10, v1, v15, v10
	;;#ASMEND
	;;#ASMSTART
	v_dot2_f32_f16 v10, v2, v16, v10
	;;#ASMEND
	;;#ASMSTART
	v_dot2_f32_f16 v10, v3, v17, v10
	;;#ASMEND
	;; [unrolled: 13-line block ×5, first 2 shown]
	;;#ASMSTART
	v_dot2_f32_f16 v11, v92, v14, v11
	;;#ASMEND
	;;#ASMSTART
	v_dot2_f32_f16 v11, v93, v15, v11
	;;#ASMEND
	;; [unrolled: 3-line block ×12, first 2 shown]
	ds_load_b128 v[0:3], v80 offset:160
	ds_load_b128 v[4:7], v79 offset:416
	;; [unrolled: 1-line block ×6, first 2 shown]
	s_wait_dscnt 0x4
	;;#ASMSTART
	v_dot2_f32_f16 v12, v0, v4, v12
	;;#ASMEND
	;;#ASMSTART
	v_dot2_f32_f16 v12, v1, v5, v12
	;;#ASMEND
	;;#ASMSTART
	v_dot2_f32_f16 v12, v2, v6, v12
	;;#ASMEND
	;;#ASMSTART
	v_dot2_f32_f16 v12, v3, v7, v12
	;;#ASMEND
	s_wait_dscnt 0x3
	;;#ASMSTART
	v_dot2_f32_f16 v10, v0, v14, v10
	;;#ASMEND
	;;#ASMSTART
	v_dot2_f32_f16 v10, v1, v15, v10
	;;#ASMEND
	;;#ASMSTART
	v_dot2_f32_f16 v10, v2, v16, v10
	;;#ASMEND
	;;#ASMSTART
	v_dot2_f32_f16 v10, v3, v17, v10
	;;#ASMEND
	;; [unrolled: 13-line block ×5, first 2 shown]
	;;#ASMSTART
	v_dot2_f32_f16 v11, v92, v14, v11
	;;#ASMEND
	;;#ASMSTART
	v_dot2_f32_f16 v11, v93, v15, v11
	;;#ASMEND
	;; [unrolled: 3-line block ×12, first 2 shown]
	ds_load_b128 v[0:3], v80 offset:176
	ds_load_b128 v[4:7], v79 offset:432
	;; [unrolled: 1-line block ×6, first 2 shown]
	s_wait_dscnt 0x4
	;;#ASMSTART
	v_dot2_f32_f16 v12, v0, v4, v12
	;;#ASMEND
	;;#ASMSTART
	v_dot2_f32_f16 v12, v1, v5, v12
	;;#ASMEND
	;;#ASMSTART
	v_dot2_f32_f16 v12, v2, v6, v12
	;;#ASMEND
	;;#ASMSTART
	v_dot2_f32_f16 v12, v3, v7, v12
	;;#ASMEND
	s_wait_dscnt 0x3
	;;#ASMSTART
	v_dot2_f32_f16 v10, v0, v14, v10
	;;#ASMEND
	;;#ASMSTART
	v_dot2_f32_f16 v10, v1, v15, v10
	;;#ASMEND
	;;#ASMSTART
	v_dot2_f32_f16 v10, v2, v16, v10
	;;#ASMEND
	;;#ASMSTART
	v_dot2_f32_f16 v10, v3, v17, v10
	;;#ASMEND
	;; [unrolled: 13-line block ×5, first 2 shown]
	;;#ASMSTART
	v_dot2_f32_f16 v11, v92, v14, v11
	;;#ASMEND
	;;#ASMSTART
	v_dot2_f32_f16 v11, v93, v15, v11
	;;#ASMEND
	;; [unrolled: 3-line block ×12, first 2 shown]
	ds_load_b128 v[0:3], v80 offset:192
	ds_load_b128 v[4:7], v79 offset:448
	;; [unrolled: 1-line block ×6, first 2 shown]
	s_wait_dscnt 0x4
	;;#ASMSTART
	v_dot2_f32_f16 v12, v0, v4, v12
	;;#ASMEND
	;;#ASMSTART
	v_dot2_f32_f16 v12, v1, v5, v12
	;;#ASMEND
	;;#ASMSTART
	v_dot2_f32_f16 v12, v2, v6, v12
	;;#ASMEND
	;;#ASMSTART
	v_dot2_f32_f16 v12, v3, v7, v12
	;;#ASMEND
	s_wait_dscnt 0x3
	;;#ASMSTART
	v_dot2_f32_f16 v10, v0, v14, v10
	;;#ASMEND
	;;#ASMSTART
	v_dot2_f32_f16 v10, v1, v15, v10
	;;#ASMEND
	;;#ASMSTART
	v_dot2_f32_f16 v10, v2, v16, v10
	;;#ASMEND
	;;#ASMSTART
	v_dot2_f32_f16 v10, v3, v17, v10
	;;#ASMEND
	;; [unrolled: 13-line block ×5, first 2 shown]
	;;#ASMSTART
	v_dot2_f32_f16 v11, v92, v14, v11
	;;#ASMEND
	;;#ASMSTART
	v_dot2_f32_f16 v11, v93, v15, v11
	;;#ASMEND
	;; [unrolled: 3-line block ×12, first 2 shown]
	ds_load_b128 v[0:3], v80 offset:208
	ds_load_b128 v[4:7], v79 offset:464
	;; [unrolled: 1-line block ×6, first 2 shown]
	s_wait_dscnt 0x4
	;;#ASMSTART
	v_dot2_f32_f16 v12, v0, v4, v12
	;;#ASMEND
	;;#ASMSTART
	v_dot2_f32_f16 v12, v1, v5, v12
	;;#ASMEND
	;;#ASMSTART
	v_dot2_f32_f16 v12, v2, v6, v12
	;;#ASMEND
	;;#ASMSTART
	v_dot2_f32_f16 v12, v3, v7, v12
	;;#ASMEND
	s_wait_dscnt 0x3
	;;#ASMSTART
	v_dot2_f32_f16 v10, v0, v14, v10
	;;#ASMEND
	;;#ASMSTART
	v_dot2_f32_f16 v10, v1, v15, v10
	;;#ASMEND
	;;#ASMSTART
	v_dot2_f32_f16 v10, v2, v16, v10
	;;#ASMEND
	;;#ASMSTART
	v_dot2_f32_f16 v10, v3, v17, v10
	;;#ASMEND
	;; [unrolled: 13-line block ×5, first 2 shown]
	;;#ASMSTART
	v_dot2_f32_f16 v11, v92, v14, v11
	;;#ASMEND
	;;#ASMSTART
	v_dot2_f32_f16 v11, v93, v15, v11
	;;#ASMEND
	;; [unrolled: 3-line block ×12, first 2 shown]
	ds_load_b128 v[0:3], v80 offset:224
	ds_load_b128 v[4:7], v79 offset:480
	;; [unrolled: 1-line block ×6, first 2 shown]
	s_wait_dscnt 0x4
	;;#ASMSTART
	v_dot2_f32_f16 v12, v0, v4, v12
	;;#ASMEND
	;;#ASMSTART
	v_dot2_f32_f16 v12, v1, v5, v12
	;;#ASMEND
	;;#ASMSTART
	v_dot2_f32_f16 v12, v2, v6, v12
	;;#ASMEND
	;;#ASMSTART
	v_dot2_f32_f16 v12, v3, v7, v12
	;;#ASMEND
	s_wait_dscnt 0x3
	;;#ASMSTART
	v_dot2_f32_f16 v10, v0, v14, v10
	;;#ASMEND
	;;#ASMSTART
	v_dot2_f32_f16 v10, v1, v15, v10
	;;#ASMEND
	;;#ASMSTART
	v_dot2_f32_f16 v10, v2, v16, v10
	;;#ASMEND
	;;#ASMSTART
	v_dot2_f32_f16 v10, v3, v17, v10
	;;#ASMEND
	;; [unrolled: 13-line block ×5, first 2 shown]
	;;#ASMSTART
	v_dot2_f32_f16 v11, v92, v14, v11
	;;#ASMEND
	;;#ASMSTART
	v_dot2_f32_f16 v11, v93, v15, v11
	;;#ASMEND
	;; [unrolled: 3-line block ×12, first 2 shown]
	ds_load_b128 v[0:3], v80 offset:240
	ds_load_b128 v[4:7], v79 offset:496
	;; [unrolled: 1-line block ×6, first 2 shown]
	s_wait_dscnt 0x4
	;;#ASMSTART
	v_dot2_f32_f16 v12, v0, v4, v12
	;;#ASMEND
	;;#ASMSTART
	v_dot2_f32_f16 v12, v1, v5, v12
	;;#ASMEND
	;;#ASMSTART
	v_dot2_f32_f16 v12, v2, v6, v12
	;;#ASMEND
	;;#ASMSTART
	v_dot2_f32_f16 v12, v3, v7, v12
	;;#ASMEND
	s_wait_dscnt 0x3
	;;#ASMSTART
	v_dot2_f32_f16 v10, v0, v14, v10
	;;#ASMEND
	;;#ASMSTART
	v_dot2_f32_f16 v10, v1, v15, v10
	;;#ASMEND
	;;#ASMSTART
	v_dot2_f32_f16 v10, v2, v16, v10
	;;#ASMEND
	;;#ASMSTART
	v_dot2_f32_f16 v10, v3, v17, v10
	;;#ASMEND
	;; [unrolled: 13-line block ×5, first 2 shown]
	;;#ASMSTART
	v_dot2_f32_f16 v11, v92, v14, v11
	;;#ASMEND
	;;#ASMSTART
	v_dot2_f32_f16 v11, v93, v15, v11
	;;#ASMEND
	;; [unrolled: 3-line block ×5, first 2 shown]
	v_cmp_ngt_f32_e64 s24, 0x3f200000, |v12|
	;;#ASMSTART
	v_dot2_f32_f16 v9, v93, v63, v9
	;;#ASMEND
	;;#ASMSTART
	v_dot2_f32_f16 v9, v94, v64, v9
	;;#ASMEND
	;; [unrolled: 3-line block ×7, first 2 shown]
                                        ; implicit-def: $vgpr2
	s_and_saveexec_b32 s25, s24
	s_delay_alu instid0(SALU_CYCLE_1)
	s_xor_b32 s24, exec_lo, s25
	s_cbranch_execz .LBB58_11
; %bb.10:                               ;   in Loop: Header=BB58_9 Depth=1
	v_add_f32_e64 v0, |v12|, |v12|
	s_delay_alu instid0(VALU_DEP_1) | instskip(SKIP_1) | instid1(VALU_DEP_2)
	v_mul_f32_e32 v1, 0x3fb8aa3b, v0
	v_cmp_ngt_f32_e32 vcc_lo, 0xc2ce8ed0, v0
	v_rndne_f32_e32 v2, v1
	v_fma_f32 v3, 0x3fb8aa3b, v0, -v1
	s_delay_alu instid0(VALU_DEP_2) | instskip(NEXT) | instid1(VALU_DEP_2)
	v_sub_f32_e32 v1, v1, v2
	v_fmac_f32_e32 v3, 0x32a5705f, v0
	v_cvt_i32_f32_e32 v2, v2
	s_delay_alu instid0(VALU_DEP_2) | instskip(NEXT) | instid1(VALU_DEP_1)
	v_add_f32_e32 v1, v1, v3
	v_exp_f32_e32 v1, v1
	v_nop
	s_delay_alu instid0(TRANS32_DEP_1) | instskip(NEXT) | instid1(VALU_DEP_1)
	v_ldexp_f32 v1, v1, v2
	v_cndmask_b32_e32 v1, 0, v1, vcc_lo
	v_cmp_nlt_f32_e32 vcc_lo, 0x42b17218, v0
	s_delay_alu instid0(VALU_DEP_2) | instskip(NEXT) | instid1(VALU_DEP_1)
	v_cndmask_b32_e32 v0, 0x7f800000, v1, vcc_lo
	v_add_f32_e32 v0, 1.0, v0
	s_delay_alu instid0(VALU_DEP_1) | instskip(SKIP_1) | instid1(TRANS32_DEP_1)
	v_rcp_f32_e32 v0, v0
	v_nop
	v_fma_f32 v2, v0, -2.0, 1.0
.LBB58_11:                              ;   in Loop: Header=BB58_9 Depth=1
	s_and_not1_saveexec_b32 s24, s24
	s_cbranch_execz .LBB58_13
; %bb.12:                               ;   in Loop: Header=BB58_9 Depth=1
	v_mul_f32_e32 v0, v12, v12
	s_delay_alu instid0(VALU_DEP_1) | instskip(NEXT) | instid1(VALU_DEP_1)
	v_fmaak_f32 v1, s3, v0, 0x3ca908c9
	v_fmaak_f32 v1, v0, v1, 0xbd5c1c4e
	s_delay_alu instid0(VALU_DEP_1) | instskip(NEXT) | instid1(VALU_DEP_1)
	v_fmaak_f32 v1, v0, v1, 0x3e088382
	v_fmaak_f32 v1, v0, v1, 0xbeaaaa99
	s_delay_alu instid0(VALU_DEP_1) | instskip(NEXT) | instid1(VALU_DEP_1)
	v_mul_f32_e64 v1, |v12|, v1
	v_fma_f32 v2, v0, v1, |v12|
.LBB58_13:                              ;   in Loop: Header=BB58_9 Depth=1
	s_or_b32 exec_lo, exec_lo, s24
	v_add_nc_u32_e32 v0, s4, v82
	v_cmp_ngt_f32_e64 s24, 0x3f200000, |v13|
                                        ; implicit-def: $vgpr3
	global_load_u16 v4, v0, s[30:31] scale_offset
	s_wait_xcnt 0x0
	s_and_saveexec_b32 s25, s24
	s_delay_alu instid0(SALU_CYCLE_1)
	s_xor_b32 s24, exec_lo, s25
	s_cbranch_execz .LBB58_15
; %bb.14:                               ;   in Loop: Header=BB58_9 Depth=1
	v_add_f32_e64 v1, |v13|, |v13|
	s_delay_alu instid0(VALU_DEP_1) | instskip(SKIP_1) | instid1(VALU_DEP_2)
	v_mul_f32_e32 v3, 0x3fb8aa3b, v1
	v_cmp_ngt_f32_e32 vcc_lo, 0xc2ce8ed0, v1
	v_rndne_f32_e32 v5, v3
	v_fma_f32 v6, 0x3fb8aa3b, v1, -v3
	s_delay_alu instid0(VALU_DEP_2) | instskip(NEXT) | instid1(VALU_DEP_2)
	v_sub_f32_e32 v3, v3, v5
	v_fmac_f32_e32 v6, 0x32a5705f, v1
	v_cvt_i32_f32_e32 v5, v5
	s_delay_alu instid0(VALU_DEP_2) | instskip(NEXT) | instid1(VALU_DEP_1)
	v_add_f32_e32 v3, v3, v6
	v_exp_f32_e32 v3, v3
	v_nop
	s_delay_alu instid0(TRANS32_DEP_1) | instskip(NEXT) | instid1(VALU_DEP_1)
	v_ldexp_f32 v3, v3, v5
	v_cndmask_b32_e32 v3, 0, v3, vcc_lo
	v_cmp_nlt_f32_e32 vcc_lo, 0x42b17218, v1
	s_delay_alu instid0(VALU_DEP_2) | instskip(NEXT) | instid1(VALU_DEP_1)
	v_cndmask_b32_e32 v1, 0x7f800000, v3, vcc_lo
	v_add_f32_e32 v1, 1.0, v1
	s_delay_alu instid0(VALU_DEP_1) | instskip(SKIP_1) | instid1(TRANS32_DEP_1)
	v_rcp_f32_e32 v1, v1
	v_nop
	v_fma_f32 v3, v1, -2.0, 1.0
.LBB58_15:                              ;   in Loop: Header=BB58_9 Depth=1
	s_and_not1_saveexec_b32 s24, s24
	s_cbranch_execz .LBB58_17
; %bb.16:                               ;   in Loop: Header=BB58_9 Depth=1
	v_mul_f32_e32 v1, v13, v13
	s_delay_alu instid0(VALU_DEP_1) | instskip(NEXT) | instid1(VALU_DEP_1)
	v_fmaak_f32 v3, s3, v1, 0x3ca908c9
	v_fmaak_f32 v3, v1, v3, 0xbd5c1c4e
	s_delay_alu instid0(VALU_DEP_1) | instskip(NEXT) | instid1(VALU_DEP_1)
	v_fmaak_f32 v3, v1, v3, 0x3e088382
	v_fmaak_f32 v3, v1, v3, 0xbeaaaa99
	s_delay_alu instid0(VALU_DEP_1) | instskip(NEXT) | instid1(VALU_DEP_1)
	v_mul_f32_e64 v3, |v13|, v3
	v_fma_f32 v3, v1, v3, |v13|
.LBB58_17:                              ;   in Loop: Header=BB58_9 Depth=1
	s_or_b32 exec_lo, exec_lo, s24
	v_dual_ashrrev_i32 v1, 31, v0 :: v_dual_bitop2_b32 v95, 16, v73 bitop3:0x14
	v_cmp_ngt_f32_e64 s24, 0x3f200000, |v10|
                                        ; implicit-def: $vgpr6
	v_xor_b32_e32 v94, 8, v73
	v_xor_b32_e32 v93, 4, v73
	s_delay_alu instid0(VALU_DEP_4)
	v_lshl_add_u64 v[0:1], v[0:1], 1, s[30:31]
	v_cmp_gt_i32_e32 vcc_lo, 32, v95
	v_xor_b32_e32 v92, 2, v73
	v_xor_b32_e32 v91, 1, v73
	global_load_u16 v5, v[0:1], off offset:64
	s_wait_xcnt 0x0
	v_bfi_b32 v0, 0x7fffffff, v2, v12
	v_bfi_b32 v1, 0x7fffffff, v3, v13
	s_wait_loadcnt 0x1
	s_wait_kmcnt 0x0
	s_delay_alu instid0(VALU_DEP_2) | instskip(SKIP_2) | instid1(VALU_DEP_2)
	v_fma_mix_f32 v65, s35, v0, v4 op_sel_hi:[0,0,1]
	v_cndmask_b32_e32 v0, v73, v95, vcc_lo
	v_cmp_gt_i32_e32 vcc_lo, 32, v94
	v_dual_cndmask_b32 v3, v73, v94 :: v_dual_lshlrev_b32 v0, 2, v0
	v_cmp_gt_i32_e32 vcc_lo, 32, v93
	s_delay_alu instid0(VALU_DEP_2) | instskip(SKIP_1) | instid1(VALU_DEP_2)
	v_dual_cndmask_b32 v3, v73, v93 :: v_dual_lshlrev_b32 v64, 2, v3
	v_cmp_gt_i32_e32 vcc_lo, 32, v92
	v_dual_lshlrev_b32 v63, 2, v3 :: v_dual_cndmask_b32 v3, v73, v92, vcc_lo
	v_cmp_gt_i32_e32 vcc_lo, 32, v91
	s_wait_loadcnt 0x0
	v_fma_mix_f32 v66, s35, v1, v5 op_sel_hi:[0,0,1]
	s_delay_alu instid0(VALU_DEP_1) | instskip(NEXT) | instid1(VALU_DEP_1)
	v_dual_add_f32 v1, 0x40051340, v65 :: v_dual_add_f32 v2, 0x40051340, v66
	v_max3_num_f32 v1, v58, v1, v2
	ds_bpermute_b32 v2, v0, v1
	s_wait_dscnt 0x0
	v_max_num_f32_e32 v2, v2, v2
	s_delay_alu instid0(VALU_DEP_1) | instskip(SKIP_3) | instid1(VALU_DEP_1)
	v_max_num_f32_e32 v1, v1, v2
	ds_bpermute_b32 v2, v64, v1
	s_wait_dscnt 0x0
	v_max_num_f32_e32 v2, v2, v2
	v_max_num_f32_e32 v1, v1, v2
	ds_bpermute_b32 v2, v63, v1
	s_wait_dscnt 0x0
	v_dual_max_num_f32 v2, v2, v2 :: v_dual_lshlrev_b32 v62, 2, v3
	s_delay_alu instid0(VALU_DEP_1) | instskip(SKIP_3) | instid1(VALU_DEP_1)
	v_max_num_f32_e32 v1, v1, v2
	ds_bpermute_b32 v2, v62, v1
	s_wait_dscnt 0x0
	v_dual_cndmask_b32 v3, v73, v91 :: v_dual_max_num_f32 v2, v2, v2
	v_dual_lshlrev_b32 v3, 2, v3 :: v_dual_max_num_f32 v1, v1, v2
	ds_bpermute_b32 v2, v3, v1
	s_and_saveexec_b32 s25, s24
	s_delay_alu instid0(SALU_CYCLE_1)
	s_xor_b32 s24, exec_lo, s25
	s_cbranch_execz .LBB58_19
; %bb.18:                               ;   in Loop: Header=BB58_9 Depth=1
	v_add_f32_e64 v6, |v10|, |v10|
	s_delay_alu instid0(VALU_DEP_1) | instskip(SKIP_1) | instid1(VALU_DEP_2)
	v_mul_f32_e32 v7, 0x3fb8aa3b, v6
	v_cmp_ngt_f32_e32 vcc_lo, 0xc2ce8ed0, v6
	v_rndne_f32_e32 v12, v7
	v_fma_f32 v13, 0x3fb8aa3b, v6, -v7
	s_delay_alu instid0(VALU_DEP_2) | instskip(NEXT) | instid1(VALU_DEP_2)
	v_sub_f32_e32 v7, v7, v12
	v_fmac_f32_e32 v13, 0x32a5705f, v6
	v_cvt_i32_f32_e32 v12, v12
	s_delay_alu instid0(VALU_DEP_2) | instskip(NEXT) | instid1(VALU_DEP_1)
	v_add_f32_e32 v7, v7, v13
	v_exp_f32_e32 v7, v7
	v_nop
	s_delay_alu instid0(TRANS32_DEP_1) | instskip(NEXT) | instid1(VALU_DEP_1)
	v_ldexp_f32 v7, v7, v12
	v_cndmask_b32_e32 v7, 0, v7, vcc_lo
	v_cmp_nlt_f32_e32 vcc_lo, 0x42b17218, v6
	s_delay_alu instid0(VALU_DEP_2) | instskip(NEXT) | instid1(VALU_DEP_1)
	v_cndmask_b32_e32 v6, 0x7f800000, v7, vcc_lo
	v_add_f32_e32 v6, 1.0, v6
	s_delay_alu instid0(VALU_DEP_1) | instskip(SKIP_1) | instid1(TRANS32_DEP_1)
	v_rcp_f32_e32 v6, v6
	v_nop
	v_fma_f32 v6, v6, -2.0, 1.0
.LBB58_19:                              ;   in Loop: Header=BB58_9 Depth=1
	s_and_not1_saveexec_b32 s24, s24
	s_cbranch_execz .LBB58_21
; %bb.20:                               ;   in Loop: Header=BB58_9 Depth=1
	v_mul_f32_e32 v6, v10, v10
	s_delay_alu instid0(VALU_DEP_1) | instskip(NEXT) | instid1(VALU_DEP_1)
	v_fmaak_f32 v7, s3, v6, 0x3ca908c9
	v_fmaak_f32 v7, v6, v7, 0xbd5c1c4e
	s_delay_alu instid0(VALU_DEP_1) | instskip(NEXT) | instid1(VALU_DEP_1)
	v_fmaak_f32 v7, v6, v7, 0x3e088382
	v_fmaak_f32 v7, v6, v7, 0xbeaaaa99
	s_delay_alu instid0(VALU_DEP_1) | instskip(NEXT) | instid1(VALU_DEP_1)
	v_mul_f32_e64 v7, |v10|, v7
	v_fma_f32 v6, v6, v7, |v10|
.LBB58_21:                              ;   in Loop: Header=BB58_9 Depth=1
	s_or_b32 exec_lo, exec_lo, s24
	v_cmp_ngt_f32_e64 s24, 0x3f200000, |v11|
                                        ; implicit-def: $vgpr7
	s_and_saveexec_b32 s25, s24
	s_delay_alu instid0(SALU_CYCLE_1)
	s_xor_b32 s24, exec_lo, s25
	s_cbranch_execz .LBB58_23
; %bb.22:                               ;   in Loop: Header=BB58_9 Depth=1
	v_add_f32_e64 v7, |v11|, |v11|
	s_delay_alu instid0(VALU_DEP_1) | instskip(SKIP_1) | instid1(VALU_DEP_2)
	v_mul_f32_e32 v12, 0x3fb8aa3b, v7
	v_cmp_ngt_f32_e32 vcc_lo, 0xc2ce8ed0, v7
	v_rndne_f32_e32 v13, v12
	v_fma_f32 v14, 0x3fb8aa3b, v7, -v12
	s_delay_alu instid0(VALU_DEP_2) | instskip(NEXT) | instid1(VALU_DEP_2)
	v_sub_f32_e32 v12, v12, v13
	v_fmac_f32_e32 v14, 0x32a5705f, v7
	v_cvt_i32_f32_e32 v13, v13
	s_delay_alu instid0(VALU_DEP_2) | instskip(NEXT) | instid1(VALU_DEP_1)
	v_add_f32_e32 v12, v12, v14
	v_exp_f32_e32 v12, v12
	v_nop
	s_delay_alu instid0(TRANS32_DEP_1) | instskip(NEXT) | instid1(VALU_DEP_1)
	v_ldexp_f32 v12, v12, v13
	v_cndmask_b32_e32 v12, 0, v12, vcc_lo
	v_cmp_nlt_f32_e32 vcc_lo, 0x42b17218, v7
	s_delay_alu instid0(VALU_DEP_2) | instskip(NEXT) | instid1(VALU_DEP_1)
	v_cndmask_b32_e32 v7, 0x7f800000, v12, vcc_lo
	v_add_f32_e32 v7, 1.0, v7
	s_delay_alu instid0(VALU_DEP_1) | instskip(SKIP_1) | instid1(TRANS32_DEP_1)
	v_rcp_f32_e32 v7, v7
	v_nop
	v_fma_f32 v7, v7, -2.0, 1.0
.LBB58_23:                              ;   in Loop: Header=BB58_9 Depth=1
	s_and_not1_saveexec_b32 s24, s24
	s_cbranch_execz .LBB58_25
; %bb.24:                               ;   in Loop: Header=BB58_9 Depth=1
	v_mul_f32_e32 v7, v11, v11
	s_delay_alu instid0(VALU_DEP_1) | instskip(NEXT) | instid1(VALU_DEP_1)
	v_fmaak_f32 v12, s3, v7, 0x3ca908c9
	v_fmaak_f32 v12, v7, v12, 0xbd5c1c4e
	s_delay_alu instid0(VALU_DEP_1) | instskip(NEXT) | instid1(VALU_DEP_1)
	v_fmaak_f32 v12, v7, v12, 0x3e088382
	v_fmaak_f32 v12, v7, v12, 0xbeaaaa99
	s_delay_alu instid0(VALU_DEP_1) | instskip(NEXT) | instid1(VALU_DEP_1)
	v_mul_f32_e64 v12, |v11|, v12
	v_fma_f32 v7, v7, v12, |v11|
.LBB58_25:                              ;   in Loop: Header=BB58_9 Depth=1
	s_or_b32 exec_lo, exec_lo, s24
	v_cvt_f32_f16_e32 v69, v4
	v_cvt_f32_f16_e32 v67, v5
	v_bfi_b32 v4, 0x7fffffff, v6, v10
	v_bfi_b32 v5, 0x7fffffff, v7, v11
	v_cmp_ngt_f32_e64 s24, 0x3f200000, |v8|
	s_delay_alu instid0(VALU_DEP_2) | instskip(NEXT) | instid1(VALU_DEP_1)
	v_dual_fma_f32 v68, s35, v4, v69 :: v_dual_fma_f32 v97, s35, v5, v67
	v_dual_add_f32 v4, 0x40051340, v68 :: v_dual_add_f32 v5, 0x40051340, v97
	s_delay_alu instid0(VALU_DEP_1) | instskip(SKIP_3) | instid1(VALU_DEP_1)
	v_max3_num_f32 v4, v60, v4, v5
	ds_bpermute_b32 v5, v0, v4
	s_wait_dscnt 0x0
	v_max_num_f32_e32 v5, v5, v5
	v_max_num_f32_e32 v4, v4, v5
	ds_bpermute_b32 v5, v64, v4
	s_wait_dscnt 0x0
	v_max_num_f32_e32 v5, v5, v5
	s_delay_alu instid0(VALU_DEP_1) | instskip(SKIP_3) | instid1(VALU_DEP_1)
	v_max_num_f32_e32 v4, v4, v5
	ds_bpermute_b32 v5, v63, v4
	s_wait_dscnt 0x0
	v_max_num_f32_e32 v5, v5, v5
	v_max_num_f32_e32 v4, v4, v5
	ds_bpermute_b32 v5, v62, v4
	s_wait_dscnt 0x0
	v_max_num_f32_e32 v5, v5, v5
	s_delay_alu instid0(VALU_DEP_1) | instskip(SKIP_2) | instid1(SALU_CYCLE_1)
	v_max_num_f32_e32 v96, v4, v5
                                        ; implicit-def: $vgpr4
	ds_bpermute_b32 v100, v3, v96
	s_and_saveexec_b32 s25, s24
	s_xor_b32 s24, exec_lo, s25
	s_cbranch_execz .LBB58_27
; %bb.26:                               ;   in Loop: Header=BB58_9 Depth=1
	v_add_f32_e64 v4, |v8|, |v8|
	s_delay_alu instid0(VALU_DEP_1) | instskip(SKIP_1) | instid1(VALU_DEP_2)
	v_mul_f32_e32 v5, 0x3fb8aa3b, v4
	v_cmp_ngt_f32_e32 vcc_lo, 0xc2ce8ed0, v4
	v_rndne_f32_e32 v6, v5
	v_fma_f32 v7, 0x3fb8aa3b, v4, -v5
	s_delay_alu instid0(VALU_DEP_2) | instskip(NEXT) | instid1(VALU_DEP_2)
	v_sub_f32_e32 v5, v5, v6
	v_fmac_f32_e32 v7, 0x32a5705f, v4
	v_cvt_i32_f32_e32 v6, v6
	s_delay_alu instid0(VALU_DEP_2) | instskip(NEXT) | instid1(VALU_DEP_1)
	v_add_f32_e32 v5, v5, v7
	v_exp_f32_e32 v5, v5
	v_nop
	s_delay_alu instid0(TRANS32_DEP_1) | instskip(NEXT) | instid1(VALU_DEP_1)
	v_ldexp_f32 v5, v5, v6
	v_cndmask_b32_e32 v5, 0, v5, vcc_lo
	v_cmp_nlt_f32_e32 vcc_lo, 0x42b17218, v4
	s_delay_alu instid0(VALU_DEP_2) | instskip(NEXT) | instid1(VALU_DEP_1)
	v_cndmask_b32_e32 v4, 0x7f800000, v5, vcc_lo
	v_add_f32_e32 v4, 1.0, v4
	s_delay_alu instid0(VALU_DEP_1) | instskip(SKIP_1) | instid1(TRANS32_DEP_1)
	v_rcp_f32_e32 v4, v4
	v_nop
	v_fma_f32 v4, v4, -2.0, 1.0
.LBB58_27:                              ;   in Loop: Header=BB58_9 Depth=1
	s_and_not1_saveexec_b32 s24, s24
	s_cbranch_execz .LBB58_29
; %bb.28:                               ;   in Loop: Header=BB58_9 Depth=1
	v_mul_f32_e32 v4, v8, v8
	s_delay_alu instid0(VALU_DEP_1) | instskip(NEXT) | instid1(VALU_DEP_1)
	v_fmaak_f32 v5, s3, v4, 0x3ca908c9
	v_fmaak_f32 v5, v4, v5, 0xbd5c1c4e
	s_delay_alu instid0(VALU_DEP_1) | instskip(NEXT) | instid1(VALU_DEP_1)
	v_fmaak_f32 v5, v4, v5, 0x3e088382
	v_fmaak_f32 v5, v4, v5, 0xbeaaaa99
	s_delay_alu instid0(VALU_DEP_1) | instskip(NEXT) | instid1(VALU_DEP_1)
	v_mul_f32_e64 v5, |v8|, v5
	v_fma_f32 v4, v4, v5, |v8|
.LBB58_29:                              ;   in Loop: Header=BB58_9 Depth=1
	s_or_b32 exec_lo, exec_lo, s24
	v_cmp_ngt_f32_e64 s24, 0x3f200000, |v9|
                                        ; implicit-def: $vgpr5
	s_and_saveexec_b32 s25, s24
	s_delay_alu instid0(SALU_CYCLE_1)
	s_xor_b32 s24, exec_lo, s25
	s_cbranch_execz .LBB58_31
; %bb.30:                               ;   in Loop: Header=BB58_9 Depth=1
	v_add_f32_e64 v5, |v9|, |v9|
	s_delay_alu instid0(VALU_DEP_1) | instskip(SKIP_1) | instid1(VALU_DEP_2)
	v_mul_f32_e32 v6, 0x3fb8aa3b, v5
	v_cmp_ngt_f32_e32 vcc_lo, 0xc2ce8ed0, v5
	v_rndne_f32_e32 v7, v6
	v_fma_f32 v10, 0x3fb8aa3b, v5, -v6
	s_delay_alu instid0(VALU_DEP_2) | instskip(NEXT) | instid1(VALU_DEP_2)
	v_sub_f32_e32 v6, v6, v7
	v_fmac_f32_e32 v10, 0x32a5705f, v5
	v_cvt_i32_f32_e32 v7, v7
	s_delay_alu instid0(VALU_DEP_2) | instskip(NEXT) | instid1(VALU_DEP_1)
	v_add_f32_e32 v6, v6, v10
	v_exp_f32_e32 v6, v6
	v_nop
	s_delay_alu instid0(TRANS32_DEP_1) | instskip(NEXT) | instid1(VALU_DEP_1)
	v_ldexp_f32 v6, v6, v7
	v_cndmask_b32_e32 v6, 0, v6, vcc_lo
	v_cmp_nlt_f32_e32 vcc_lo, 0x42b17218, v5
	s_delay_alu instid0(VALU_DEP_2) | instskip(NEXT) | instid1(VALU_DEP_1)
	v_cndmask_b32_e32 v5, 0x7f800000, v6, vcc_lo
	v_add_f32_e32 v5, 1.0, v5
	s_delay_alu instid0(VALU_DEP_1) | instskip(SKIP_1) | instid1(TRANS32_DEP_1)
	v_rcp_f32_e32 v5, v5
	v_nop
	v_fma_f32 v5, v5, -2.0, 1.0
.LBB58_31:                              ;   in Loop: Header=BB58_9 Depth=1
	s_and_not1_saveexec_b32 s24, s24
	s_cbranch_execz .LBB58_33
; %bb.32:                               ;   in Loop: Header=BB58_9 Depth=1
	v_mul_f32_e32 v5, v9, v9
	s_delay_alu instid0(VALU_DEP_1) | instskip(NEXT) | instid1(VALU_DEP_1)
	v_fmaak_f32 v6, s3, v5, 0x3ca908c9
	v_fmaak_f32 v6, v5, v6, 0xbd5c1c4e
	s_delay_alu instid0(VALU_DEP_1) | instskip(NEXT) | instid1(VALU_DEP_1)
	v_fmaak_f32 v6, v5, v6, 0x3e088382
	v_fmaak_f32 v6, v5, v6, 0xbeaaaa99
	s_delay_alu instid0(VALU_DEP_1) | instskip(NEXT) | instid1(VALU_DEP_1)
	v_mul_f32_e64 v6, |v9|, v6
	v_fma_f32 v5, v5, v6, |v9|
.LBB58_33:                              ;   in Loop: Header=BB58_9 Depth=1
	s_or_b32 exec_lo, exec_lo, s24
	v_bfi_b32 v4, 0x7fffffff, v4, v8
	s_delay_alu instid0(VALU_DEP_2) | instskip(SKIP_1) | instid1(VALU_DEP_2)
	v_bfi_b32 v5, 0x7fffffff, v5, v9
	v_cmp_ngt_f32_e64 s24, 0x3f200000, |v105|
                                        ; implicit-def: $vgpr103
	v_dual_fma_f32 v98, s35, v4, v69 :: v_dual_fma_f32 v99, s35, v5, v67
	s_delay_alu instid0(VALU_DEP_1) | instskip(NEXT) | instid1(VALU_DEP_1)
	v_dual_add_f32 v4, 0x40051340, v98 :: v_dual_add_f32 v5, 0x40051340, v99
	v_max3_num_f32 v4, v59, v4, v5
	ds_bpermute_b32 v5, v0, v4
	s_wait_dscnt 0x0
	v_max_num_f32_e32 v5, v5, v5
	s_delay_alu instid0(VALU_DEP_1) | instskip(SKIP_3) | instid1(VALU_DEP_1)
	v_max_num_f32_e32 v4, v4, v5
	ds_bpermute_b32 v5, v64, v4
	s_wait_dscnt 0x0
	v_max_num_f32_e32 v5, v5, v5
	v_max_num_f32_e32 v4, v4, v5
	ds_bpermute_b32 v5, v63, v4
	s_wait_dscnt 0x0
	v_max_num_f32_e32 v5, v5, v5
	s_delay_alu instid0(VALU_DEP_1) | instskip(SKIP_3) | instid1(VALU_DEP_1)
	v_max_num_f32_e32 v4, v4, v5
	ds_bpermute_b32 v5, v62, v4
	s_wait_dscnt 0x0
	v_max_num_f32_e32 v5, v5, v5
	v_max_num_f32_e32 v101, v4, v5
	ds_bpermute_b32 v102, v3, v101
	s_and_saveexec_b32 s25, s24
	s_delay_alu instid0(SALU_CYCLE_1)
	s_xor_b32 s24, exec_lo, s25
	s_cbranch_execz .LBB58_35
; %bb.34:                               ;   in Loop: Header=BB58_9 Depth=1
	v_add_f32_e64 v4, |v105|, |v105|
	s_delay_alu instid0(VALU_DEP_1) | instskip(SKIP_1) | instid1(VALU_DEP_2)
	v_mul_f32_e32 v5, 0x3fb8aa3b, v4
	v_cmp_ngt_f32_e32 vcc_lo, 0xc2ce8ed0, v4
	v_rndne_f32_e32 v6, v5
	v_fma_f32 v7, 0x3fb8aa3b, v4, -v5
	s_delay_alu instid0(VALU_DEP_2) | instskip(NEXT) | instid1(VALU_DEP_2)
	v_sub_f32_e32 v5, v5, v6
	v_fmac_f32_e32 v7, 0x32a5705f, v4
	v_cvt_i32_f32_e32 v6, v6
	s_delay_alu instid0(VALU_DEP_2) | instskip(NEXT) | instid1(VALU_DEP_1)
	v_add_f32_e32 v5, v5, v7
	v_exp_f32_e32 v5, v5
	v_nop
	s_delay_alu instid0(TRANS32_DEP_1) | instskip(NEXT) | instid1(VALU_DEP_1)
	v_ldexp_f32 v5, v5, v6
	v_cndmask_b32_e32 v5, 0, v5, vcc_lo
	v_cmp_nlt_f32_e32 vcc_lo, 0x42b17218, v4
	s_delay_alu instid0(VALU_DEP_2) | instskip(NEXT) | instid1(VALU_DEP_1)
	v_cndmask_b32_e32 v4, 0x7f800000, v5, vcc_lo
	v_add_f32_e32 v4, 1.0, v4
	s_delay_alu instid0(VALU_DEP_1) | instskip(SKIP_1) | instid1(TRANS32_DEP_1)
	v_rcp_f32_e32 v4, v4
	v_nop
	v_fma_f32 v103, v4, -2.0, 1.0
.LBB58_35:                              ;   in Loop: Header=BB58_9 Depth=1
	s_and_not1_saveexec_b32 s24, s24
	s_cbranch_execz .LBB58_37
; %bb.36:                               ;   in Loop: Header=BB58_9 Depth=1
	v_mul_f32_e32 v4, v105, v105
	s_delay_alu instid0(VALU_DEP_1) | instskip(NEXT) | instid1(VALU_DEP_1)
	v_fmaak_f32 v5, s3, v4, 0x3ca908c9
	v_fmaak_f32 v5, v4, v5, 0xbd5c1c4e
	s_delay_alu instid0(VALU_DEP_1) | instskip(NEXT) | instid1(VALU_DEP_1)
	v_fmaak_f32 v5, v4, v5, 0x3e088382
	v_fmaak_f32 v5, v4, v5, 0xbeaaaa99
	s_delay_alu instid0(VALU_DEP_1) | instskip(NEXT) | instid1(VALU_DEP_1)
	v_mul_f32_e64 v5, |v105|, v5
	v_fma_f32 v103, v4, v5, |v105|
.LBB58_37:                              ;   in Loop: Header=BB58_9 Depth=1
	s_or_b32 exec_lo, exec_lo, s24
	v_cmp_ngt_f32_e64 s24, 0x3f200000, |v106|
                                        ; implicit-def: $vgpr104
	s_and_saveexec_b32 s25, s24
	s_delay_alu instid0(SALU_CYCLE_1)
	s_xor_b32 s24, exec_lo, s25
	s_cbranch_execz .LBB58_39
; %bb.38:                               ;   in Loop: Header=BB58_9 Depth=1
	v_add_f32_e64 v4, |v106|, |v106|
	s_delay_alu instid0(VALU_DEP_1) | instskip(SKIP_1) | instid1(VALU_DEP_2)
	v_mul_f32_e32 v5, 0x3fb8aa3b, v4
	v_cmp_ngt_f32_e32 vcc_lo, 0xc2ce8ed0, v4
	v_rndne_f32_e32 v6, v5
	v_fma_f32 v7, 0x3fb8aa3b, v4, -v5
	s_delay_alu instid0(VALU_DEP_2) | instskip(NEXT) | instid1(VALU_DEP_2)
	v_sub_f32_e32 v5, v5, v6
	v_fmac_f32_e32 v7, 0x32a5705f, v4
	v_cvt_i32_f32_e32 v6, v6
	s_delay_alu instid0(VALU_DEP_2) | instskip(NEXT) | instid1(VALU_DEP_1)
	v_add_f32_e32 v5, v5, v7
	v_exp_f32_e32 v5, v5
	v_nop
	s_delay_alu instid0(TRANS32_DEP_1) | instskip(NEXT) | instid1(VALU_DEP_1)
	v_ldexp_f32 v5, v5, v6
	v_cndmask_b32_e32 v5, 0, v5, vcc_lo
	v_cmp_nlt_f32_e32 vcc_lo, 0x42b17218, v4
	s_delay_alu instid0(VALU_DEP_2) | instskip(NEXT) | instid1(VALU_DEP_1)
	v_cndmask_b32_e32 v4, 0x7f800000, v5, vcc_lo
	v_add_f32_e32 v4, 1.0, v4
	s_delay_alu instid0(VALU_DEP_1) | instskip(SKIP_1) | instid1(TRANS32_DEP_1)
	v_rcp_f32_e32 v4, v4
	v_nop
	v_fma_f32 v104, v4, -2.0, 1.0
.LBB58_39:                              ;   in Loop: Header=BB58_9 Depth=1
	s_and_not1_saveexec_b32 s24, s24
	s_cbranch_execz .LBB58_41
; %bb.40:                               ;   in Loop: Header=BB58_9 Depth=1
	v_mul_f32_e32 v4, v106, v106
	s_delay_alu instid0(VALU_DEP_1) | instskip(NEXT) | instid1(VALU_DEP_1)
	v_fmaak_f32 v5, s3, v4, 0x3ca908c9
	v_fmaak_f32 v5, v4, v5, 0xbd5c1c4e
	s_delay_alu instid0(VALU_DEP_1) | instskip(NEXT) | instid1(VALU_DEP_1)
	v_fmaak_f32 v5, v4, v5, 0x3e088382
	v_fmaak_f32 v5, v4, v5, 0xbeaaaa99
	s_delay_alu instid0(VALU_DEP_1) | instskip(NEXT) | instid1(VALU_DEP_1)
	v_mul_f32_e64 v5, |v106|, v5
	v_fma_f32 v104, v4, v5, |v106|
.LBB58_41:                              ;   in Loop: Header=BB58_9 Depth=1
	s_or_b32 exec_lo, exec_lo, s24
	s_mul_u64 s[24:25], s[4:5], s[10:11]
	v_bfi_b32 v103, 0x7fffffff, v103, v105
	s_lshl_b64 s[24:25], s[24:25], 2
	v_lshlrev_b32_e32 v42, 2, v33
	s_add_nc_u64 s[24:25], s[8:9], s[24:25]
	s_wait_dscnt 0x0
	v_add_nc_u64_e32 v[4:5], s[24:25], v[50:51]
	v_add_nc_u64_e32 v[6:7], s[24:25], v[52:53]
	;; [unrolled: 1-line block ×4, first 2 shown]
	v_fmac_f32_e32 v69, s35, v103
	s_barrier_signal -1
	s_barrier_wait -1
	v_add_nc_u64_e32 v[108:109], v[4:5], v[42:43]
	v_add_nc_u64_e32 v[110:111], v[6:7], v[42:43]
	;; [unrolled: 1-line block ×4, first 2 shown]
	v_bfi_b32 v104, 0x7fffffff, v104, v106
	v_max_num_f32_e32 v2, v2, v2
	s_clause 0x3
	global_load_b128 v[4:7], v[108:109], off
	global_load_b128 v[8:11], v[110:111], off
	;; [unrolled: 1-line block ×4, first 2 shown]
	v_dual_max_num_f32 v102, v102, v102 :: v_dual_max_num_f32 v101, v101, v101
	v_fmac_f32_e32 v67, s35, v104
	v_add_f32_e32 v103, 0x40051340, v69
	v_add_nc_u32_e32 v105, v83, v72
	s_or_b32 s24, s4, 32
	s_delay_alu instid0(VALU_DEP_3) | instskip(SKIP_1) | instid1(SALU_CYCLE_1)
	v_add_f32_e32 v104, 0x40051340, v67
	s_ashr_i32 s25, s24, 31
	s_mul_u64 s[24:25], s[24:25], s[10:11]
	s_delay_alu instid0(VALU_DEP_1) | instskip(SKIP_1) | instid1(SALU_CYCLE_1)
	v_max3_num_f32 v103, v61, v103, v104
	s_lshl_b64 s[24:25], s[24:25], 2
	s_add_nc_u64 s[24:25], s[8:9], s[24:25]
	ds_bpermute_b32 v104, v0, v103
	v_dual_max_num_f32 v0, v1, v1 :: v_dual_max_num_f32 v1, v100, v100
	v_max_num_f32_e32 v100, v96, v96
	s_delay_alu instid0(VALU_DEP_2) | instskip(SKIP_1) | instid1(VALU_DEP_3)
	v_max_num_f32_e32 v0, v0, v2
	v_max_num_f32_e32 v2, v101, v102
	v_dual_max_num_f32 v1, v100, v1 :: v_dual_add_nc_u32 v96, 0x800, v72
	s_delay_alu instid0(VALU_DEP_3) | instskip(NEXT) | instid1(VALU_DEP_3)
	v_dual_sub_f32 v58, v58, v0 :: v_dual_sub_f32 v65, v65, v0
	v_dual_sub_f32 v100, v59, v2 :: v_dual_sub_f32 v98, v98, v2
	;; [unrolled: 1-line block ×3, first 2 shown]
	s_delay_alu instid0(VALU_DEP_4) | instskip(SKIP_4) | instid1(VALU_DEP_2)
	v_sub_f32_e32 v60, v60, v1
	v_dual_sub_f32 v68, v68, v1 :: v_dual_sub_f32 v97, v97, v1
	s_wait_dscnt 0x0
	v_dual_max_num_f32 v59, v104, v104 :: v_dual_mul_f32 v104, 0x3fb8aa3b, v58
	v_dual_mul_f32 v101, 0x3fb8aa3b, v65 :: v_dual_mul_f32 v102, 0x3fb8aa3b, v66
	v_dual_mul_f32 v106, 0x3fb8aa3b, v68 :: v_dual_max_num_f32 v59, v103, v59
	v_mul_f32_e32 v103, 0x3fb8aa3b, v97
	s_wait_xcnt 0x2
	s_delay_alu instid0(VALU_DEP_3)
	v_fma_f32 v111, 0x3fb8aa3b, v65, -v101
	v_dual_mul_f32 v107, 0x3fb8aa3b, v60 :: v_dual_mul_f32 v108, 0x3fb8aa3b, v98
	ds_bpermute_b32 v64, v64, v59
	v_rndne_f32_e32 v118, v106
	v_fmac_f32_e32 v111, 0x32a5705f, v65
	s_wait_xcnt 0x1
	v_rndne_f32_e32 v112, v101
	v_fma_f32 v117, 0x3fb8aa3b, v68, -v106
	v_fma_f32 v113, 0x3fb8aa3b, v66, -v102
	s_wait_xcnt 0x0
	v_rndne_f32_e32 v114, v102
	v_sub_f32_e32 v106, v106, v118
	v_rndne_f32_e32 v122, v107
	v_sub_f32_e32 v101, v101, v112
	v_rndne_f32_e32 v116, v104
	v_fma_f32 v121, 0x3fb8aa3b, v60, -v107
	v_fmac_f32_e32 v113, 0x32a5705f, v66
	v_fma_f32 v115, 0x3fb8aa3b, v58, -v104
	v_cvt_i32_f32_e32 v112, v112
	v_sub_f32_e32 v104, v104, v116
	v_cmp_ngt_f32_e32 vcc_lo, 0xc2ce8ed0, v65
	v_fma_f32 v123, 0x3fb8aa3b, v98, -v108
	v_rndne_f32_e32 v124, v108
	s_wait_dscnt 0x0
	v_dual_fmac_f32 v115, 0x32a5705f, v58 :: v_dual_max_num_f32 v64, v64, v64
	v_dual_mul_f32 v109, 0x3fb8aa3b, v99 :: v_dual_mul_f32 v110, 0x3fb8aa3b, v100
	s_delay_alu instid0(VALU_DEP_3) | instskip(NEXT) | instid1(VALU_DEP_3)
	v_sub_f32_e32 v108, v108, v124
	v_dual_fmac_f32 v121, 0x32a5705f, v60 :: v_dual_add_f32 v104, v104, v115
	s_delay_alu instid0(VALU_DEP_4)
	v_dual_max_num_f32 v59, v59, v64 :: v_dual_sub_f32 v64, v102, v114
	v_dual_sub_f32 v107, v107, v122 :: v_dual_add_f32 v101, v101, v111
	v_fmac_f32_e32 v117, 0x32a5705f, v68
	ds_bpermute_b32 v63, v63, v59
	v_add_f32_e32 v64, v64, v113
	v_cvt_i32_f32_e32 v102, v114
	v_exp_f32_e32 v101, v101
	v_dual_fmac_f32 v123, 0x32a5705f, v98 :: v_dual_add_f32 v106, v106, v117
	s_delay_alu instid0(VALU_DEP_3) | instskip(SKIP_3) | instid1(TRANS32_DEP_2)
	v_exp_f32_e32 v64, v64
	v_fma_f32 v119, 0x3fb8aa3b, v97, -v103
	v_rndne_f32_e32 v120, v103
	v_fma_f32 v125, 0x3fb8aa3b, v99, -v109
	v_ldexp_f32 v101, v101, v112
	v_rndne_f32_e32 v126, v109
	v_fma_f32 v127, 0x3fb8aa3b, v100, -v110
	v_ldexp_f32 v64, v64, v102
	v_rndne_f32_e32 v128, v110
	v_cndmask_b32_e32 v101, 0, v101, vcc_lo
	v_cmp_ngt_f32_e32 vcc_lo, 0xc2ce8ed0, v66
	v_exp_f32_e32 v104, v104
	v_exp_f32_e32 v106, v106
	v_cvt_i32_f32_e32 v114, v116
	s_wait_dscnt 0x0
	v_dual_max_num_f32 v63, v63, v63 :: v_dual_cndmask_b32 v64, 0, v64
	v_cvt_i32_f32_e32 v116, v118
	v_dual_fmac_f32 v119, 0x32a5705f, v97 :: v_dual_sub_f32 v110, v110, v128
	s_delay_alu instid0(VALU_DEP_3)
	v_max_num_f32_e32 v59, v59, v63
	v_dual_sub_f32 v103, v103, v120 :: v_dual_sub_f32 v109, v109, v126
	v_ldexp_f32 v102, v104, v114
	v_ldexp_f32 v104, v106, v116
	ds_bpermute_b32 v62, v62, v59
	v_fmac_f32_e32 v125, 0x32a5705f, v99
	v_cmp_ngt_f32_e32 vcc_lo, 0xc2ce8ed0, v58
	v_add_f32_e32 v63, v103, v119
	v_dual_add_f32 v103, v107, v121 :: v_dual_add_f32 v107, v108, v123
	v_cvt_i32_f32_e32 v118, v120
	v_cvt_i32_f32_e32 v120, v122
	;; [unrolled: 1-line block ×4, first 2 shown]
	v_exp_f32_e32 v107, v107
	v_cvt_i32_f32_e32 v126, v128
	v_exp_f32_e32 v103, v103
	s_delay_alu instid0(TRANS32_DEP_2) | instskip(NEXT) | instid1(TRANS32_DEP_1)
	v_ldexp_f32 v106, v107, v122
	v_ldexp_f32 v103, v103, v120
	s_wait_dscnt 0x0
	v_dual_max_num_f32 v62, v62, v62 :: v_dual_fmac_f32 v127, 0x32a5705f, v100
	s_delay_alu instid0(VALU_DEP_1) | instskip(NEXT) | instid1(VALU_DEP_1)
	v_dual_add_f32 v108, v109, v125 :: v_dual_add_f32 v109, v110, v127
	v_exp_f32_e32 v108, v108
	s_delay_alu instid0(VALU_DEP_1) | instskip(NEXT) | instid1(TRANS32_DEP_2)
	v_exp_f32_e32 v109, v109
	v_ldexp_f32 v107, v108, v124
	s_delay_alu instid0(TRANS32_DEP_1)
	v_ldexp_f32 v108, v109, v126
	v_max_num_f32_e32 v109, v59, v62
	v_cndmask_b32_e32 v59, 0, v102, vcc_lo
	v_exp_f32_e32 v63, v63
	v_cmp_ngt_f32_e32 vcc_lo, 0xc2ce8ed0, v68
	v_cndmask_b32_e32 v102, 0, v104, vcc_lo
	s_delay_alu instid0(TRANS32_DEP_1) | instskip(SKIP_1) | instid1(VALU_DEP_2)
	v_ldexp_f32 v63, v63, v118
	v_cmp_ngt_f32_e32 vcc_lo, 0xc2ce8ed0, v97
	v_cndmask_b32_e32 v104, 0, v63, vcc_lo
	v_cmp_ngt_f32_e32 vcc_lo, 0xc2ce8ed0, v60
	ds_bpermute_b32 v3, v3, v109
	v_cndmask_b32_e32 v103, 0, v103, vcc_lo
	v_cmp_ngt_f32_e32 vcc_lo, 0xc2ce8ed0, v98
	v_cndmask_b32_e32 v106, 0, v106, vcc_lo
	v_cmp_ngt_f32_e32 vcc_lo, 0xc2ce8ed0, v99
	;; [unrolled: 2-line block ×3, first 2 shown]
	s_wait_dscnt 0x0
	v_dual_max_num_f32 v3, v3, v3 :: v_dual_cndmask_b32 v108, 0, v108
	v_cmp_nlt_f32_e32 vcc_lo, 0x42b17218, v65
	s_delay_alu instid0(VALU_DEP_2) | instskip(SKIP_1) | instid1(VALU_DEP_2)
	v_dual_max_num_f32 v3, v109, v3 :: v_dual_cndmask_b32 v62, 0x7f800000, v101
	v_cmp_nlt_f32_e32 vcc_lo, 0x42b17218, v66
	v_sub_f32_e32 v69, v69, v3
	v_dual_sub_f32 v61, v61, v3 :: v_dual_cndmask_b32 v64, 0x7f800000, v64
	v_cmp_nlt_f32_e32 vcc_lo, 0x42b17218, v58
	v_cndmask_b32_e32 v58, 0x7f800000, v59, vcc_lo
	v_cmp_nlt_f32_e32 vcc_lo, 0x42b17218, v68
	v_dual_cndmask_b32 v63, 0x7f800000, v102 :: v_dual_sub_f32 v102, v67, v3
	v_cmp_nlt_f32_e32 vcc_lo, 0x42b17218, v97
	v_mul_f32_e32 v67, 0x3fb8aa3b, v69
	v_cndmask_b32_e32 v65, 0x7f800000, v104, vcc_lo
	s_delay_alu instid0(VALU_DEP_4) | instskip(SKIP_1) | instid1(VALU_DEP_2)
	v_mul_f32_e32 v104, 0x3fb8aa3b, v102
	v_cmp_nlt_f32_e32 vcc_lo, 0x42b17218, v60
	v_fma_f32 v110, 0x3fb8aa3b, v102, -v104
	v_rndne_f32_e32 v111, v104
	s_delay_alu instid0(VALU_DEP_2) | instskip(NEXT) | instid1(VALU_DEP_2)
	v_fmac_f32_e32 v110, 0x32a5705f, v102
	v_sub_f32_e32 v104, v104, v111
	v_cndmask_b32_e32 v59, 0x7f800000, v103, vcc_lo
	v_cmp_nlt_f32_e32 vcc_lo, 0x42b17218, v98
	v_mul_f32_e32 v103, 0x3fb8aa3b, v61
	v_cvt_pk_f16_f32 v98, v62, v63
	v_cndmask_b32_e32 v66, 0x7f800000, v106, vcc_lo
	v_cmp_nlt_f32_e32 vcc_lo, 0x42b17218, v100
	v_fma_f32 v106, 0x3fb8aa3b, v69, -v67
	v_rndne_f32_e32 v109, v103
	v_cvt_pk_f16_f32 v100, v64, v65
	v_cndmask_b32_e32 v60, 0x7f800000, v108, vcc_lo
	v_cmp_nlt_f32_e32 vcc_lo, 0x42b17218, v99
	v_fma_f32 v108, 0x3fb8aa3b, v61, -v103
	v_sub_f32_e32 v103, v103, v109
	v_cvt_f16_f32_e32 v97, v58
	v_cvt_f16_f32_e32 v101, v60
	v_cndmask_b32_e32 v68, 0x7f800000, v107, vcc_lo
	v_rndne_f32_e32 v107, v67
	v_cmp_ngt_f32_e32 vcc_lo, 0xc2ce8ed0, v61
	v_fmac_f32_e32 v106, 0x32a5705f, v69
	v_and_b32_e32 v101, 0xffff, v101
	v_and_b32_e32 v97, 0xffff, v97
	v_dual_sub_f32 v67, v67, v107 :: v_dual_fmac_f32 v108, 0x32a5705f, v61
	v_cvt_i32_f32_e32 v107, v107
	s_delay_alu instid0(VALU_DEP_4) | instskip(NEXT) | instid1(VALU_DEP_4)
	v_mul_u32_u24_e32 v123, 0x10001, v101
	v_mul_u32_u24_e32 v97, 0x10001, v97
	s_delay_alu instid0(VALU_DEP_4)
	v_add_f32_e32 v67, v67, v106
	v_add_f32_e32 v103, v103, v108
	v_cvt_i32_f32_e32 v106, v109
	v_cvt_i32_f32_e32 v108, v111
	v_pk_mul_f16 v90, v90, v97
	v_exp_f32_e32 v67, v67
	v_exp_f32_e32 v103, v103
	v_pk_mul_f16 v89, v89, v97
	v_pk_mul_f16 v88, v88, v97
	;; [unrolled: 1-line block ×5, first 2 shown]
	v_ldexp_f32 v67, v67, v107
	v_ldexp_f32 v103, v103, v106
	s_delay_alu instid0(VALU_DEP_1) | instskip(SKIP_1) | instid1(VALU_DEP_4)
	v_cndmask_b32_e32 v103, 0, v103, vcc_lo
	v_cmp_ngt_f32_e32 vcc_lo, 0xc2ce8ed0, v69
	v_dual_cndmask_b32 v67, 0, v67 :: v_dual_add_f32 v104, v104, v110
	v_cvt_f16_f32_e32 v99, v59
	v_cmp_ngt_f32_e32 vcc_lo, 0xc2ce8ed0, v102
	s_delay_alu instid0(VALU_DEP_3) | instskip(NEXT) | instid1(VALU_DEP_2)
	v_exp_f32_e32 v104, v104
	v_and_b32_e32 v99, 0xffff, v99
	s_delay_alu instid0(VALU_DEP_1) | instskip(NEXT) | instid1(TRANS32_DEP_1)
	v_mul_u32_u24_e32 v122, 0x10001, v99
	v_ldexp_f32 v99, v104, v108
	s_delay_alu instid0(VALU_DEP_2) | instskip(NEXT) | instid1(VALU_DEP_2)
	v_pk_mul_f16 v87, v87, v122
	v_cndmask_b32_e32 v99, 0, v99, vcc_lo
	v_cmp_nlt_f32_e32 vcc_lo, 0x42b17218, v61
	v_pk_mul_f16 v31, v31, v122
	v_pk_mul_f16 v30, v30, v122
	v_cndmask_b32_e32 v61, 0x7f800000, v103, vcc_lo
	v_cmp_nlt_f32_e32 vcc_lo, 0x42b17218, v69
	v_cndmask_b32_e32 v67, 0x7f800000, v67, vcc_lo
	v_cmp_nlt_f32_e32 vcc_lo, 0x42b17218, v102
	v_cndmask_b32_e32 v69, 0x7f800000, v99, vcc_lo
	s_delay_alu instid0(VALU_DEP_3) | instskip(NEXT) | instid1(VALU_DEP_2)
	v_cvt_pk_f16_f32 v99, v66, v67
	v_cvt_pk_f16_f32 v101, v68, v69
	ds_store_2addr_b64 v105, v[98:99], v[100:101] offset1:32
	s_wait_loadcnt 0x3
	ds_store_b128 v81, v[4:7]
	s_wait_loadcnt 0x2
	ds_store_b128 v84, v[8:11]
	;; [unrolled: 2-line block ×4, first 2 shown]
	s_wait_dscnt 0x0
	s_barrier_signal -1
	s_barrier_wait -1
	ds_load_b128 v[4:7], v83
	ds_load_b128 v[8:11], v83 offset:16
	s_wait_dscnt 0x1
	v_lshrrev_b32_e32 v124, 16, v4
	s_wait_dscnt 0x0
	v_lshrrev_b32_e32 v128, 16, v8
	v_cvt_f16_f32_e32 v102, v61
	v_lshrrev_b32_e32 v125, 16, v5
	v_and_b32_e32 v4, 0xffff, v4
	v_and_b32_e32 v5, 0xffff, v5
	v_mul_u32_u24_e32 v124, 0x10001, v124
	v_and_b32_e32 v102, 0xffff, v102
	v_lshrrev_b32_e32 v126, 16, v6
	v_mul_u32_u24_e32 v4, 0x10001, v4
	v_mul_u32_u24_e32 v5, 0x10001, v5
	v_dual_lshrrev_b32 v127, 16, v7 :: v_dual_lshrrev_b32 v129, 16, v9
	v_mul_u32_u24_e32 v12, 0x10001, v102
	v_and_b32_e32 v6, 0xffff, v6
	v_and_b32_e32 v7, 0xffff, v7
	v_mul_u32_u24_e32 v125, 0x10001, v125
	v_and_b32_e32 v8, 0xffff, v8
	v_pk_mul_f16 v25, v25, v12
	v_pk_mul_f16 v21, v21, v12
	v_pk_mul_f16 v22, v22, v12
	v_pk_mul_f16 v23, v23, v12
	ds_load_2addr_b64 v[12:15], v72 offset1:32
	ds_load_b128 v[16:19], v83 offset:32
	ds_load_b128 v[98:101], v83 offset:48
	ds_load_2addr_b64 v[102:105], v72 offset0:64 offset1:96
	ds_load_2addr_b64 v[106:109], v72 offset0:128 offset1:160
	ds_load_2addr_b64 v[110:113], v72 offset0:192 offset1:224
	ds_load_2addr_b64 v[114:117], v96 offset1:32
	ds_load_2addr_b64 v[118:121], v96 offset0:64 offset1:96
	v_and_b32_e32 v9, 0xffff, v9
	v_mul_u32_u24_e32 v6, 0x10001, v6
	v_mul_u32_u24_e32 v126, 0x10001, v126
	;; [unrolled: 1-line block ×4, first 2 shown]
	v_dual_lshrrev_b32 v130, 16, v10 :: v_dual_lshrrev_b32 v131, 16, v11
	v_and_b32_e32 v10, 0xffff, v10
	v_and_b32_e32 v11, 0xffff, v11
	v_mul_u32_u24_e32 v8, 0x10001, v8
	v_mul_u32_u24_e32 v128, 0x10001, v128
	;; [unrolled: 1-line block ×3, first 2 shown]
	s_wait_dscnt 0x7
	v_pk_mul_f16 v136, v12, v4
	v_pk_mul_f16 v137, v12, v124
	;; [unrolled: 1-line block ×3, first 2 shown]
	v_pk_fma_f16 v12, v12, v125, v25
	v_pk_fma_f16 v25, v13, v4, v90
	;; [unrolled: 1-line block ×16, first 2 shown]
	v_mul_u32_u24_e32 v129, 0x10001, v129
	s_wait_dscnt 0x4
	v_pk_fma_f16 v12, v102, v127, v12
	v_pk_fma_f16 v25, v103, v6, v25
	v_pk_fma_f16 v28, v103, v126, v87
	v_pk_fma_f16 v26, v103, v7, v26
	v_pk_fma_f16 v21, v104, v6, v21
	v_pk_fma_f16 v29, v104, v126, v31
	v_pk_fma_f16 v27, v104, v7, v27
	v_pk_fma_f16 v4, v105, v6, v4
	v_pk_fma_f16 v5, v105, v7, v5
	v_pk_fma_f16 v6, v102, v6, v23
	v_pk_fma_f16 v23, v102, v126, v24
	v_pk_fma_f16 v7, v102, v7, v20
	v_dual_lshrrev_b32 v132, 16, v16 :: v_dual_lshrrev_b32 v133, 16, v17
	v_and_b32_e32 v16, 0xffff, v16
	v_and_b32_e32 v17, 0xffff, v17
	v_mul_u32_u24_e32 v10, 0x10001, v10
	v_mul_u32_u24_e32 v130, 0x10001, v130
	;; [unrolled: 1-line block ×4, first 2 shown]
	s_wait_dscnt 0x3
	v_pk_fma_f16 v12, v106, v129, v12
	v_pk_fma_f16 v20, v107, v8, v25
	;; [unrolled: 1-line block ×10, first 2 shown]
	v_dual_lshrrev_b32 v134, 16, v18 :: v_dual_lshrrev_b32 v135, 16, v19
	v_and_b32_e32 v18, 0xffff, v18
	v_and_b32_e32 v19, 0xffff, v19
	v_mul_u32_u24_e32 v16, 0x10001, v16
	v_mul_u32_u24_e32 v132, 0x10001, v132
	;; [unrolled: 1-line block ×3, first 2 shown]
	v_pk_fma_f16 v27, v108, v9, v27
	v_pk_fma_f16 v5, v109, v9, v5
	s_wait_dscnt 0x2
	v_pk_fma_f16 v9, v110, v131, v12
	v_pk_fma_f16 v12, v111, v10, v20
	;; [unrolled: 1-line block ×9, first 2 shown]
	v_mul_u32_u24_e32 v18, 0x10001, v18
	v_mul_u32_u24_e32 v134, 0x10001, v134
	;; [unrolled: 1-line block ×3, first 2 shown]
	v_pk_fma_f16 v13, v103, v127, v13
	v_pk_fma_f16 v23, v111, v11, v25
	;; [unrolled: 1-line block ×4, first 2 shown]
	s_wait_dscnt 0x1
	v_pk_fma_f16 v11, v115, v132, v20
	v_pk_fma_f16 v20, v116, v16, v21
	;; [unrolled: 1-line block ×15, first 2 shown]
	s_wait_dscnt 0x0
	v_pk_fma_f16 v16, v118, v18, v4
	v_pk_fma_f16 v17, v118, v134, v6
	;; [unrolled: 1-line block ×3, first 2 shown]
	ds_load_2addr_b64 v[4:7], v96 offset0:128 offset1:160
	v_mul_u32_u24_e32 v133, 0x10001, v133
	v_pk_fma_f16 v14, v108, v129, v14
	v_pk_fma_f16 v22, v109, v128, v22
	;; [unrolled: 1-line block ×4, first 2 shown]
	v_mul_u32_u24_e32 v135, 0x10001, v135
	v_pk_fma_f16 v14, v112, v131, v14
	v_pk_fma_f16 v22, v113, v130, v22
	;; [unrolled: 1-line block ×8, first 2 shown]
	v_and_b32_e32 v24, 0xffff, v98
	v_dual_lshrrev_b32 v26, 16, v98 :: v_dual_lshrrev_b32 v28, 16, v99
	v_and_b32_e32 v27, 0xffff, v99
	v_pk_fma_f16 v14, v116, v133, v14
	v_pk_fma_f16 v22, v117, v132, v22
	;; [unrolled: 1-line block ×7, first 2 shown]
	v_mul_u32_u24_e32 v24, 0x10001, v24
	v_mul_u32_u24_e32 v26, 0x10001, v26
	v_mul_u32_u24_e32 v27, 0x10001, v27
	v_mul_u32_u24_e32 v28, 0x10001, v28
	v_pk_fma_f16 v21, v120, v134, v21
	v_pk_fma_f16 v23, v120, v19, v23
	;; [unrolled: 1-line block ×6, first 2 shown]
	s_wait_dscnt 0x0
	v_pk_fma_f16 v16, v4, v24, v16
	v_pk_fma_f16 v17, v4, v26, v17
	;; [unrolled: 1-line block ×8, first 2 shown]
	v_and_b32_e32 v4, 0xffff, v100
	v_dual_lshrrev_b32 v5, 16, v100 :: v_dual_lshrrev_b32 v13, 16, v101
	ds_load_2addr_b64 v[8:11], v96 offset0:192 offset1:224
	v_pk_fma_f16 v20, v6, v24, v20
	v_pk_fma_f16 v21, v6, v26, v21
	;; [unrolled: 1-line block ×8, first 2 shown]
	v_mul_u32_u24_e32 v19, 0x10001, v4
	v_mul_u32_u24_e32 v27, 0x10001, v5
	ds_load_b128 v[4:7], v83 offset:64
	v_and_b32_e32 v12, 0xffff, v101
	v_add_nc_u32_e32 v88, 0x1000, v72
	v_mul_u32_u24_e32 v97, 0x10001, v13
	v_add_nc_u64_e32 v[132:133], s[24:25], v[50:51]
	v_add_nc_u64_e32 v[134:135], s[24:25], v[52:53]
	v_mul_u32_u24_e32 v28, 0x10001, v12
	ds_load_2addr_b64 v[12:15], v88 offset1:32
	v_add_nc_u64_e32 v[136:137], s[24:25], v[54:55]
	s_wait_dscnt 0x2
	v_pk_fma_f16 v98, v8, v19, v16
	v_pk_fma_f16 v99, v8, v27, v17
	;; [unrolled: 1-line block ×13, first 2 shown]
	ds_load_b128 v[16:19], v83 offset:80
	s_wait_dscnt 0x2
	v_and_b32_e32 v9, 0xffff, v4
	v_lshrrev_b32_e32 v4, 16, v4
	v_and_b32_e32 v10, 0xffff, v5
	v_lshrrev_b32_e32 v5, 16, v5
	v_pk_fma_f16 v22, v11, v27, v22
	v_pk_fma_f16 v24, v11, v28, v24
	v_mul_u32_u24_e32 v27, 0x10001, v9
	v_mul_u32_u24_e32 v4, 0x10001, v4
	;; [unrolled: 1-line block ×4, first 2 shown]
	v_pk_fma_f16 v26, v11, v97, v26
	s_wait_dscnt 0x1
	v_pk_fma_f16 v97, v12, v27, v98
	v_pk_fma_f16 v98, v12, v4, v99
	;; [unrolled: 1-line block ×4, first 2 shown]
	ds_load_2addr_b64 v[8:11], v88 offset0:64 offset1:96
	v_pk_fma_f16 v29, v13, v27, v29
	v_pk_fma_f16 v30, v13, v4, v30
	;; [unrolled: 1-line block ×6, first 2 shown]
	v_and_b32_e32 v4, 0xffff, v6
	v_lshrrev_b32_e32 v6, 16, v6
	v_and_b32_e32 v87, 0xffff, v7
	v_lshrrev_b32_e32 v7, 16, v7
	v_pk_fma_f16 v20, v14, v27, v20
	v_pk_fma_f16 v23, v14, v28, v23
	;; [unrolled: 1-line block ×5, first 2 shown]
	v_mul_u32_u24_e32 v28, 0x10001, v4
	v_mul_u32_u24_e32 v89, 0x10001, v6
	;; [unrolled: 1-line block ×3, first 2 shown]
	v_pk_fma_f16 v15, v15, v5, v26
	ds_load_2addr_b64 v[4:7], v88 offset0:128 offset1:160
	v_mul_u32_u24_e32 v87, 0x10001, v87
	s_wait_dscnt 0x1
	v_pk_fma_f16 v26, v8, v28, v97
	v_pk_fma_f16 v97, v8, v89, v98
	v_pk_fma_f16 v13, v9, v90, v13
	v_pk_fma_f16 v20, v10, v28, v20
	v_pk_fma_f16 v25, v8, v87, v25
	v_pk_fma_f16 v8, v8, v90, v12
	v_pk_fma_f16 v12, v9, v28, v29
	v_pk_fma_f16 v29, v9, v89, v30
	v_pk_fma_f16 v30, v9, v87, v31
	v_pk_fma_f16 v21, v10, v89, v21
	v_pk_fma_f16 v23, v10, v87, v23
	v_pk_fma_f16 v14, v10, v90, v14
	v_and_b32_e32 v9, 0xffff, v16
	v_lshrrev_b32_e32 v10, 16, v16
	v_and_b32_e32 v16, 0xffff, v17
	v_lshrrev_b32_e32 v17, 16, v17
	v_pk_fma_f16 v27, v11, v28, v27
	v_pk_fma_f16 v22, v11, v89, v22
	;; [unrolled: 1-line block ×3, first 2 shown]
	v_mul_u32_u24_e32 v28, 0x10001, v9
	v_mul_u32_u24_e32 v17, 0x10001, v17
	;; [unrolled: 1-line block ×4, first 2 shown]
	v_pk_fma_f16 v15, v11, v90, v15
	s_wait_dscnt 0x0
	v_pk_fma_f16 v26, v4, v28, v26
	v_pk_fma_f16 v90, v4, v17, v8
	ds_load_2addr_b64 v[8:11], v88 offset0:192 offset1:224
	v_pk_fma_f16 v87, v4, v31, v97
	v_pk_fma_f16 v25, v4, v16, v25
	;; [unrolled: 1-line block ×6, first 2 shown]
	v_and_b32_e32 v4, 0xffff, v18
	v_lshrrev_b32_e32 v5, 16, v18
	v_pk_fma_f16 v20, v6, v28, v20
	v_pk_fma_f16 v21, v6, v31, v21
	v_pk_fma_f16 v23, v6, v16, v23
	v_pk_fma_f16 v98, v6, v17, v14
	v_pk_fma_f16 v27, v7, v28, v27
	v_pk_fma_f16 v22, v7, v31, v22
	v_pk_fma_f16 v24, v7, v16, v24
	v_pk_fma_f16 v28, v7, v17, v15
	v_and_b32_e32 v13, 0xffff, v19
	v_lshrrev_b32_e32 v14, 16, v19
	v_mul_u32_u24_e32 v16, 0x10001, v4
	v_mul_u32_u24_e32 v17, 0x10001, v5
	ds_load_b128 v[4:7], v83 offset:96
	v_mul_u32_u24_e32 v31, 0x10001, v13
	v_mul_u32_u24_e32 v99, 0x10001, v14
	v_add_nc_u32_e32 v89, 0x1800, v72
	s_wait_dscnt 0x1
	v_pk_fma_f16 v26, v8, v16, v26
	v_pk_fma_f16 v87, v8, v17, v87
	;; [unrolled: 1-line block ×5, first 2 shown]
	ds_load_2addr_b64 v[12:15], v89 offset1:32
	v_pk_fma_f16 v29, v9, v17, v29
	v_pk_fma_f16 v30, v9, v31, v30
	;; [unrolled: 1-line block ×9, first 2 shown]
	ds_load_b128 v[16:19], v83 offset:112
	s_wait_dscnt 0x2
	v_and_b32_e32 v9, 0xffff, v4
	v_lshrrev_b32_e32 v4, 16, v4
	v_and_b32_e32 v10, 0xffff, v5
	v_lshrrev_b32_e32 v5, 16, v5
	v_pk_fma_f16 v24, v11, v31, v24
	v_mul_u32_u24_e32 v31, 0x10001, v9
	v_mul_u32_u24_e32 v4, 0x10001, v4
	;; [unrolled: 1-line block ×4, first 2 shown]
	v_pk_fma_f16 v28, v11, v99, v28
	s_wait_dscnt 0x1
	v_pk_fma_f16 v26, v12, v31, v26
	v_pk_fma_f16 v87, v12, v4, v87
	;; [unrolled: 1-line block ×4, first 2 shown]
	ds_load_2addr_b64 v[8:11], v89 offset0:64 offset1:96
	v_pk_fma_f16 v90, v13, v31, v90
	v_pk_fma_f16 v29, v13, v4, v29
	;; [unrolled: 1-line block ×6, first 2 shown]
	v_and_b32_e32 v4, 0xffff, v6
	v_lshrrev_b32_e32 v6, 16, v6
	v_and_b32_e32 v31, 0xffff, v7
	v_lshrrev_b32_e32 v7, 16, v7
	v_pk_fma_f16 v30, v13, v100, v30
	v_pk_fma_f16 v13, v13, v5, v97
	;; [unrolled: 1-line block ×5, first 2 shown]
	v_mul_u32_u24_e32 v97, 0x10001, v4
	v_mul_u32_u24_e32 v98, 0x10001, v6
	;; [unrolled: 1-line block ×3, first 2 shown]
	v_pk_fma_f16 v15, v15, v5, v28
	ds_load_2addr_b64 v[4:7], v89 offset0:128 offset1:160
	v_mul_u32_u24_e32 v31, 0x10001, v31
	s_wait_dscnt 0x1
	v_pk_fma_f16 v26, v8, v97, v26
	v_pk_fma_f16 v28, v8, v98, v87
	;; [unrolled: 1-line block ×12, first 2 shown]
	v_and_b32_e32 v9, 0xffff, v16
	v_lshrrev_b32_e32 v10, 16, v16
	v_and_b32_e32 v16, 0xffff, v17
	v_lshrrev_b32_e32 v17, 16, v17
	v_pk_fma_f16 v27, v11, v97, v27
	v_pk_fma_f16 v22, v11, v98, v22
	;; [unrolled: 1-line block ×3, first 2 shown]
	v_mul_u32_u24_e32 v31, 0x10001, v9
	v_mul_u32_u24_e32 v17, 0x10001, v17
	;; [unrolled: 1-line block ×4, first 2 shown]
	v_pk_fma_f16 v15, v11, v99, v15
	s_wait_dscnt 0x0
	v_pk_fma_f16 v26, v4, v31, v26
	v_pk_fma_f16 v97, v4, v17, v8
	ds_load_2addr_b64 v[8:11], v89 offset0:192 offset1:224
	v_pk_fma_f16 v28, v4, v87, v28
	v_pk_fma_f16 v25, v4, v16, v25
	;; [unrolled: 1-line block ×6, first 2 shown]
	v_and_b32_e32 v4, 0xffff, v18
	v_lshrrev_b32_e32 v5, 16, v18
	v_pk_fma_f16 v20, v6, v31, v20
	v_pk_fma_f16 v21, v6, v87, v21
	;; [unrolled: 1-line block ×8, first 2 shown]
	v_and_b32_e32 v13, 0xffff, v19
	v_lshrrev_b32_e32 v14, 16, v19
	v_mul_u32_u24_e32 v16, 0x10001, v4
	v_mul_u32_u24_e32 v17, 0x10001, v5
	ds_load_b128 v[4:7], v83 offset:128
	v_mul_u32_u24_e32 v87, 0x10001, v13
	v_mul_u32_u24_e32 v100, 0x10001, v14
	v_add_nc_u32_e32 v90, 0x2000, v72
	s_wait_dscnt 0x1
	v_pk_fma_f16 v26, v8, v16, v26
	v_pk_fma_f16 v28, v8, v17, v28
	;; [unrolled: 1-line block ×5, first 2 shown]
	ds_load_2addr_b64 v[12:15], v90 offset1:32
	v_pk_fma_f16 v29, v9, v17, v29
	v_pk_fma_f16 v30, v9, v87, v30
	;; [unrolled: 1-line block ×9, first 2 shown]
	ds_load_b128 v[16:19], v83 offset:144
	s_wait_dscnt 0x2
	v_and_b32_e32 v9, 0xffff, v4
	v_lshrrev_b32_e32 v4, 16, v4
	v_and_b32_e32 v10, 0xffff, v5
	v_lshrrev_b32_e32 v5, 16, v5
	v_pk_fma_f16 v24, v11, v87, v24
	v_mul_u32_u24_e32 v87, 0x10001, v9
	v_mul_u32_u24_e32 v4, 0x10001, v4
	;; [unrolled: 1-line block ×4, first 2 shown]
	v_pk_fma_f16 v31, v11, v100, v31
	s_wait_dscnt 0x1
	v_pk_fma_f16 v26, v12, v87, v26
	v_pk_fma_f16 v28, v12, v4, v28
	v_pk_fma_f16 v25, v12, v101, v25
	v_pk_fma_f16 v12, v12, v5, v8
	ds_load_2addr_b64 v[8:11], v90 offset0:64 offset1:96
	v_pk_fma_f16 v97, v13, v87, v97
	v_pk_fma_f16 v29, v13, v4, v29
	;; [unrolled: 1-line block ×6, first 2 shown]
	v_and_b32_e32 v4, 0xffff, v6
	v_lshrrev_b32_e32 v6, 16, v6
	v_and_b32_e32 v87, 0xffff, v7
	v_lshrrev_b32_e32 v7, 16, v7
	v_pk_fma_f16 v30, v13, v101, v30
	v_pk_fma_f16 v13, v13, v5, v98
	;; [unrolled: 1-line block ×5, first 2 shown]
	v_mul_u32_u24_e32 v98, 0x10001, v4
	v_mul_u32_u24_e32 v99, 0x10001, v6
	v_mul_u32_u24_e32 v100, 0x10001, v7
	v_pk_fma_f16 v15, v15, v5, v31
	ds_load_2addr_b64 v[4:7], v90 offset0:128 offset1:160
	v_mul_u32_u24_e32 v87, 0x10001, v87
	s_wait_dscnt 0x1
	v_pk_fma_f16 v26, v8, v98, v26
	v_pk_fma_f16 v28, v8, v99, v28
	;; [unrolled: 1-line block ×12, first 2 shown]
	v_and_b32_e32 v9, 0xffff, v16
	v_lshrrev_b32_e32 v10, 16, v16
	v_and_b32_e32 v16, 0xffff, v17
	v_lshrrev_b32_e32 v17, 16, v17
	v_pk_fma_f16 v24, v11, v87, v24
	v_mul_u32_u24_e32 v31, 0x10001, v9
	v_mul_u32_u24_e32 v87, 0x10001, v10
	v_mul_u32_u24_e32 v16, 0x10001, v16
	v_mul_u32_u24_e32 v17, 0x10001, v17
	v_pk_fma_f16 v27, v11, v98, v27
	v_pk_fma_f16 v22, v11, v99, v22
	;; [unrolled: 1-line block ×3, first 2 shown]
	s_wait_dscnt 0x0
	v_pk_fma_f16 v98, v5, v31, v12
	v_pk_fma_f16 v29, v5, v87, v29
	;; [unrolled: 1-line block ×4, first 2 shown]
	v_and_b32_e32 v12, 0xffff, v18
	v_lshrrev_b32_e32 v13, 16, v18
	v_pk_fma_f16 v26, v4, v31, v26
	v_pk_fma_f16 v28, v4, v87, v28
	v_pk_fma_f16 v25, v4, v16, v25
	v_pk_fma_f16 v4, v4, v17, v8
	ds_load_2addr_b64 v[8:11], v90 offset0:192 offset1:224
	v_pk_fma_f16 v20, v6, v31, v20
	v_pk_fma_f16 v21, v6, v87, v21
	;; [unrolled: 1-line block ×8, first 2 shown]
	v_lshrrev_b32_e32 v16, 16, v19
	v_mul_u32_u24_e32 v87, 0x10001, v12
	v_mul_u32_u24_e32 v99, 0x10001, v13
	ds_load_b128 v[12:15], v83 offset:160
	v_and_b32_e32 v7, 0xffff, v19
	v_add_nc_u32_e32 v97, 0x2800, v72
	v_mul_u32_u24_e32 v101, 0x10001, v16
	v_add_nc_u64_e32 v[138:139], s[24:25], v[56:57]
	v_add_nc_u64_e32 v[144:145], v[132:133], v[42:43]
	v_mul_u32_u24_e32 v100, 0x10001, v7
	ds_load_2addr_b64 v[16:19], v97 offset1:32
	s_wait_dscnt 0x2
	v_pk_fma_f16 v26, v8, v87, v26
	v_pk_fma_f16 v28, v8, v99, v28
	;; [unrolled: 1-line block ×12, first 2 shown]
	ds_load_b128 v[4:7], v83 offset:176
	s_wait_dscnt 0x2
	v_and_b32_e32 v20, 0xffff, v12
	v_and_b32_e32 v21, 0xffff, v13
	v_pk_fma_f16 v27, v11, v87, v27
	v_pk_fma_f16 v87, v11, v99, v22
	v_dual_lshrrev_b32 v12, 16, v12 :: v_dual_lshrrev_b32 v13, 16, v13
	v_pk_fma_f16 v24, v11, v100, v24
	v_mul_u32_u24_e32 v99, 0x10001, v20
	v_mul_u32_u24_e32 v100, 0x10001, v21
	ds_load_2addr_b64 v[20:23], v97 offset0:64 offset1:96
	v_mul_u32_u24_e32 v12, 0x10001, v12
	v_mul_u32_u24_e32 v13, 0x10001, v13
	v_pk_fma_f16 v11, v11, v101, v31
	s_wait_dscnt 0x2
	v_pk_fma_f16 v26, v16, v99, v26
	v_pk_fma_f16 v25, v16, v100, v25
	;; [unrolled: 1-line block ×12, first 2 shown]
	v_and_b32_e32 v9, 0xffff, v14
	v_lshrrev_b32_e32 v10, 16, v14
	v_pk_fma_f16 v27, v19, v99, v27
	v_pk_fma_f16 v12, v19, v12, v87
	v_and_b32_e32 v14, 0xffff, v15
	v_lshrrev_b32_e32 v15, 16, v15
	v_mul_u32_u24_e32 v87, 0x10001, v9
	v_mul_u32_u24_e32 v99, 0x10001, v10
	v_add_nc_u64_e32 v[146:147], v[134:135], v[42:43]
	v_pk_fma_f16 v24, v19, v100, v24
	v_mul_u32_u24_e32 v14, 0x10001, v14
	v_mul_u32_u24_e32 v15, 0x10001, v15
	v_pk_fma_f16 v13, v19, v13, v11
	s_wait_dscnt 0x0
	v_pk_fma_f16 v152, v20, v87, v26
	v_pk_fma_f16 v156, v21, v87, v16
	;; [unrolled: 1-line block ×5, first 2 shown]
	v_add_nc_u32_e32 v98, 0x3000, v72
	v_add_nc_u32_e32 v87, 0x3800, v72
	v_add_nc_u64_e32 v[148:149], v[136:137], v[42:43]
	v_add_nc_u64_e32 v[150:151], v[138:139], v[42:43]
	v_pk_fma_f16 v153, v20, v99, v28
	v_pk_fma_f16 v154, v20, v14, v25
	;; [unrolled: 1-line block ×3, first 2 shown]
	ds_load_2addr_b64 v[8:11], v97 offset0:128 offset1:160
	v_pk_fma_f16 v157, v21, v99, v29
	v_pk_fma_f16 v158, v21, v14, v30
	;; [unrolled: 1-line block ×8, first 2 shown]
	ds_load_2addr_b64 v[24:27], v97 offset0:192 offset1:224
	ds_load_2addr_b64 v[12:15], v98 offset1:32
	ds_load_b128 v[16:19], v83 offset:192
	ds_load_b128 v[20:23], v83 offset:208
	ds_load_2addr_b64 v[28:31], v98 offset0:64 offset1:96
	ds_load_2addr_b64 v[100:103], v98 offset0:128 offset1:160
	;; [unrolled: 1-line block ×3, first 2 shown]
	ds_load_2addr_b64 v[108:111], v87 offset1:32
	ds_load_2addr_b64 v[112:115], v87 offset0:64 offset1:96
	ds_load_2addr_b64 v[116:119], v87 offset0:128 offset1:160
	ds_load_b128 v[120:123], v83 offset:224
	ds_load_b128 v[124:127], v83 offset:240
	ds_load_2addr_b64 v[128:131], v87 offset0:192 offset1:224
	s_wait_dscnt 0x0
	s_barrier_signal -1
	s_barrier_wait -1
	s_clause 0x3
	global_load_b128 v[132:135], v[144:145], off
	global_load_b128 v[136:139], v[146:147], off
	;; [unrolled: 1-line block ×3, first 2 shown]
	; meta instruction
	; meta instruction
	;; [unrolled: 1-line block ×3, first 2 shown]
	global_load_b128 v[144:147], v[150:151], off
	v_and_b32_e32 v42, 0xffff, v4
	s_wait_xcnt 0x0
	v_dual_lshrrev_b32 v148, 16, v4 :: v_dual_lshrrev_b32 v150, 16, v5
	v_and_b32_e32 v149, 0xffff, v5
	v_pk_add_f32 v[4:5], v[62:63], v[64:65]
	v_mul_u32_u24_e32 v42, 0x10001, v42
	s_delay_alu instid0(VALU_DEP_4)
	v_mul_u32_u24_e32 v64, 0x10001, v148
	v_mul_u32_u24_e32 v148, 0x10001, v150
	;; [unrolled: 1-line block ×3, first 2 shown]
	v_pk_add_f32 v[62:63], v[66:67], v[68:69]
	v_pk_fma_f16 v66, v8, v42, v152
	v_pk_fma_f16 v67, v8, v64, v153
	;; [unrolled: 1-line block ×6, first 2 shown]
	v_and_b32_e32 v99, 0xffff, v6
	v_lshrrev_b32_e32 v6, 16, v6
	v_and_b32_e32 v154, 0xffff, v7
	v_lshrrev_b32_e32 v7, 16, v7
	v_pk_fma_f16 v8, v8, v148, v155
	v_pk_fma_f16 v69, v9, v42, v156
	;; [unrolled: 1-line block ×8, first 2 shown]
	v_mul_u32_u24_e32 v99, 0x10001, v99
	v_mul_u32_u24_e32 v6, 0x10001, v6
	;; [unrolled: 1-line block ×4, first 2 shown]
	v_pk_fma_f16 v65, v11, v65, v165
	v_pk_fma_f16 v11, v11, v148, v166
	;; [unrolled: 1-line block ×16, first 2 shown]
	v_and_b32_e32 v42, 0xffff, v16
	v_lshrrev_b32_e32 v16, 16, v16
	v_and_b32_e32 v64, 0xffff, v17
	v_lshrrev_b32_e32 v17, 16, v17
	v_pk_fma_f16 v65, v27, v154, v65
	v_mul_u32_u24_e32 v42, 0x10001, v42
	v_mul_u32_u24_e32 v16, 0x10001, v16
	;; [unrolled: 1-line block ×4, first 2 shown]
	v_pk_fma_f16 v7, v27, v7, v11
	v_pk_fma_f16 v11, v12, v42, v66
	;; [unrolled: 1-line block ×15, first 2 shown]
	v_and_b32_e32 v16, 0xffff, v18
	v_lshrrev_b32_e32 v18, 16, v18
	v_and_b32_e32 v26, 0xffff, v19
	v_lshrrev_b32_e32 v19, 16, v19
	v_pk_fma_f16 v7, v15, v17, v7
	v_pk_fma_f16 v42, v15, v64, v65
	v_mul_u32_u24_e32 v18, 0x10001, v18
	v_mul_u32_u24_e32 v16, 0x10001, v16
	;; [unrolled: 1-line block ×4, first 2 shown]
	v_pk_fma_f32 v[36:37], v[36:37], v[58:59], v[4:5]
	v_pk_fma_f16 v15, v28, v18, v27
	v_pk_fma_f16 v24, v29, v18, v24
	;; [unrolled: 1-line block ×8, first 2 shown]
	v_and_b32_e32 v18, 0xffff, v20
	v_lshrrev_b32_e32 v19, 16, v20
	v_pk_fma_f16 v11, v28, v16, v11
	v_pk_fma_f16 v12, v29, v16, v12
	;; [unrolled: 1-line block ×4, first 2 shown]
	v_and_b32_e32 v20, 0xffff, v21
	v_lshrrev_b32_e32 v21, 16, v21
	v_mul_u32_u24_e32 v18, 0x10001, v18
	v_mul_u32_u24_e32 v19, 0x10001, v19
	v_pk_fma_f16 v17, v28, v26, v66
	v_pk_fma_f16 v27, v29, v26, v67
	;; [unrolled: 1-line block ×11, first 2 shown]
	v_and_b32_e32 v18, 0xffff, v22
	v_lshrrev_b32_e32 v19, 16, v22
	v_pk_fma_f16 v16, v31, v26, v42
	v_mul_u32_u24_e32 v20, 0x10001, v20
	v_mul_u32_u24_e32 v21, 0x10001, v21
	v_and_b32_e32 v22, 0xffff, v23
	v_lshrrev_b32_e32 v23, 16, v23
	v_mul_u32_u24_e32 v18, 0x10001, v18
	v_mul_u32_u24_e32 v19, 0x10001, v19
	v_pk_fma_f16 v11, v100, v20, v17
	v_pk_fma_f16 v8, v100, v21, v8
	;; [unrolled: 1-line block ×7, first 2 shown]
	v_mul_u32_u24_e32 v20, 0x10001, v22
	v_pk_fma_f16 v7, v103, v21, v7
	v_pk_fma_f16 v4, v104, v18, v4
	;; [unrolled: 1-line block ×9, first 2 shown]
	v_and_b32_e32 v18, 0xffff, v120
	v_lshrrev_b32_e32 v19, 16, v120
	v_mul_u32_u24_e32 v22, 0x10001, v23
	v_pk_fma_f16 v23, v106, v20, v25
	v_lshrrev_b32_e32 v25, 16, v121
	v_mul_u32_u24_e32 v18, 0x10001, v18
	v_mul_u32_u24_e32 v19, 0x10001, v19
	v_and_b32_e32 v24, 0xffff, v121
	v_pk_fma_f16 v11, v104, v20, v11
	v_pk_fma_f16 v17, v105, v20, v17
	;; [unrolled: 1-line block ×10, first 2 shown]
	v_and_b32_e32 v18, 0xffff, v122
	v_lshrrev_b32_e32 v19, 16, v122
	v_pk_fma_f16 v16, v107, v20, v16
	v_mul_u32_u24_e32 v20, 0x10001, v24
	v_mul_u32_u24_e32 v24, 0x10001, v25
	v_lshrrev_b32_e32 v25, 16, v123
	v_mul_u32_u24_e32 v18, 0x10001, v18
	v_mul_u32_u24_e32 v19, 0x10001, v19
	v_pk_fma_f16 v8, v104, v22, v8
	v_pk_fma_f16 v9, v105, v22, v9
	;; [unrolled: 1-line block ×5, first 2 shown]
	v_and_b32_e32 v23, 0xffff, v123
	v_pk_fma_f16 v4, v112, v18, v4
	v_pk_fma_f16 v5, v112, v19, v5
	v_pk_fma_f16 v12, v113, v18, v12
	v_pk_fma_f16 v15, v113, v19, v15
	v_pk_fma_f16 v13, v114, v18, v13
	v_pk_fma_f16 v21, v114, v19, v21
	v_pk_fma_f16 v14, v115, v18, v14
	v_pk_fma_f16 v6, v115, v19, v6
	v_and_b32_e32 v18, 0xffff, v124
	v_lshrrev_b32_e32 v19, 16, v124
	v_pk_fma_f16 v11, v108, v20, v11
	v_pk_fma_f16 v8, v108, v24, v8
	;; [unrolled: 1-line block ×6, first 2 shown]
	v_mul_u32_u24_e32 v20, 0x10001, v23
	v_mul_u32_u24_e32 v23, 0x10001, v25
	v_pk_fma_f16 v7, v111, v24, v7
	v_and_b32_e32 v24, 0xffff, v125
	v_lshrrev_b32_e32 v25, 16, v125
	v_mul_u32_u24_e32 v18, 0x10001, v18
	v_mul_u32_u24_e32 v19, 0x10001, v19
	v_pk_fma_f16 v11, v112, v20, v11
	v_pk_fma_f16 v17, v113, v20, v17
	;; [unrolled: 1-line block ×5, first 2 shown]
	v_mul_u32_u24_e32 v20, 0x10001, v24
	v_mul_u32_u24_e32 v24, 0x10001, v25
	v_pk_fma_f16 v25, v116, v18, v4
	v_pk_fma_f16 v26, v116, v19, v5
	;; [unrolled: 1-line block ×6, first 2 shown]
	v_and_b32_e32 v4, 0xffff, v126
	v_lshrrev_b32_e32 v5, 16, v126
	v_and_b32_e32 v6, 0xffff, v127
	v_pk_fma_f16 v8, v112, v23, v8
	v_pk_fma_f16 v9, v113, v23, v9
	;; [unrolled: 1-line block ×10, first 2 shown]
	v_lshrrev_b32_e32 v10, 16, v127
	v_mul_u32_u24_e32 v19, 0x10001, v4
	v_mul_u32_u24_e32 v20, 0x10001, v5
	;; [unrolled: 1-line block ×3, first 2 shown]
	s_wait_loadcnt 0x3
	ds_store_b128 v81, v[132:135]
	s_wait_loadcnt 0x2
	ds_store_b128 v84, v[136:139]
	;; [unrolled: 2-line block ×4, first 2 shown]
	s_wait_dscnt 0x0
	s_barrier_signal -1
	s_barrier_wait -1
	ds_load_b128 v[4:7], v83 offset:256
	v_pk_fma_f16 v8, v116, v24, v8
	v_pk_fma_f16 v9, v117, v24, v9
	v_mul_u32_u24_e32 v29, 0x10001, v10
	v_pk_fma_f16 v23, v119, v24, v23
	v_pk_fma_f16 v24, v128, v19, v25
	;; [unrolled: 1-line block ×6, first 2 shown]
	ds_load_2addr_b64 v[8:11], v72 offset1:32
	v_pk_fma_f32 v[34:35], v[34:35], v[60:61], v[62:63]
	v_pk_fma_f16 v31, v129, v19, v12
	v_pk_fma_f16 v42, v129, v20, v15
	;; [unrolled: 1-line block ×7, first 2 shown]
	ds_load_b128 v[12:15], v83 offset:272
	s_wait_dscnt 0x2
	v_and_b32_e32 v16, 0xffff, v4
	v_lshrrev_b32_e32 v4, 16, v4
	v_and_b32_e32 v17, 0xffff, v5
	v_lshrrev_b32_e32 v5, 16, v5
	v_pk_fma_f16 v61, v130, v20, v21
	v_mul_u32_u24_e32 v66, 0x10001, v16
	v_mul_u32_u24_e32 v4, 0x10001, v4
	v_mul_u32_u24_e32 v67, 0x10001, v17
	v_pk_fma_f16 v63, v130, v29, v27
	v_pk_fma_f16 v65, v131, v20, v18
	;; [unrolled: 1-line block ×3, first 2 shown]
	v_mul_u32_u24_e32 v5, 0x10001, v5
	ds_load_b128 v[16:19], v83 offset:288
	ds_load_b128 v[20:23], v83 offset:304
	s_wait_dscnt 0x3
	v_pk_fma_f16 v68, v8, v66, v24
	v_pk_fma_f16 v69, v8, v4, v25
	;; [unrolled: 1-line block ×3, first 2 shown]
	ds_load_2addr_b64 v[24:27], v72 offset0:64 offset1:96
	v_pk_fma_f16 v8, v8, v5, v30
	v_pk_fma_f16 v30, v9, v66, v31
	;; [unrolled: 1-line block ×10, first 2 shown]
	v_and_b32_e32 v4, 0xffff, v6
	v_lshrrev_b32_e32 v6, 16, v6
	v_and_b32_e32 v63, 0xffff, v7
	v_lshrrev_b32_e32 v7, 16, v7
	v_pk_fma_f16 v61, v11, v66, v64
	v_pk_fma_f16 v28, v11, v67, v28
	v_mul_u32_u24_e32 v64, 0x10001, v4
	v_mul_u32_u24_e32 v65, 0x10001, v6
	;; [unrolled: 1-line block ×3, first 2 shown]
	v_pk_fma_f16 v11, v11, v5, v29
	ds_load_2addr_b64 v[4:7], v72 offset0:128 offset1:160
	v_mul_u32_u24_e32 v63, 0x10001, v63
	s_wait_dscnt 0x1
	v_pk_fma_f16 v29, v24, v64, v68
	v_pk_fma_f16 v67, v24, v65, v69
	;; [unrolled: 1-line block ×12, first 2 shown]
	v_and_b32_e32 v9, 0xffff, v12
	v_lshrrev_b32_e32 v10, 16, v12
	v_and_b32_e32 v12, 0xffff, v13
	v_lshrrev_b32_e32 v13, 16, v13
	v_pk_fma_f16 v60, v27, v64, v61
	v_pk_fma_f16 v61, v27, v65, v62
	;; [unrolled: 1-line block ×3, first 2 shown]
	v_mul_u32_u24_e32 v62, 0x10001, v9
	v_mul_u32_u24_e32 v63, 0x10001, v10
	;; [unrolled: 1-line block ×4, first 2 shown]
	v_pk_fma_f16 v27, v27, v66, v11
	s_wait_dscnt 0x0
	v_pk_fma_f16 v29, v4, v62, v29
	v_pk_fma_f16 v64, v4, v63, v67
	;; [unrolled: 1-line block ×4, first 2 shown]
	ds_load_2addr_b64 v[8:11], v72 offset0:192 offset1:224
	v_pk_fma_f16 v24, v5, v62, v24
	v_pk_fma_f16 v30, v5, v63, v30
	;; [unrolled: 1-line block ×8, first 2 shown]
	v_and_b32_e32 v5, 0xffff, v14
	v_lshrrev_b32_e32 v6, 16, v14
	v_and_b32_e32 v14, 0xffff, v15
	v_lshrrev_b32_e32 v15, 16, v15
	v_pk_fma_f16 v60, v7, v62, v60
	v_pk_fma_f16 v12, v7, v12, v28
	v_mul_u32_u24_e32 v28, 0x10001, v5
	v_mul_u32_u24_e32 v62, 0x10001, v6
	;; [unrolled: 1-line block ×4, first 2 shown]
	v_pk_fma_f16 v61, v7, v63, v61
	v_pk_fma_f16 v13, v7, v13, v27
	s_wait_dscnt 0x0
	v_pk_fma_f16 v27, v8, v28, v29
	v_pk_fma_f16 v29, v8, v62, v64
	;; [unrolled: 1-line block ×4, first 2 shown]
	ds_load_2addr_b64 v[4:7], v96 offset1:32
	v_pk_fma_f16 v24, v9, v28, v24
	v_pk_fma_f16 v30, v9, v62, v30
	v_pk_fma_f16 v31, v9, v14, v31
	v_pk_fma_f16 v25, v9, v15, v25
	v_pk_fma_f16 v42, v10, v28, v42
	v_pk_fma_f16 v58, v10, v62, v58
	v_pk_fma_f16 v59, v10, v14, v59
	v_pk_fma_f16 v26, v10, v15, v26
	v_and_b32_e32 v9, 0xffff, v16
	v_lshrrev_b32_e32 v10, 16, v16
	v_and_b32_e32 v16, 0xffff, v17
	v_lshrrev_b32_e32 v17, 16, v17
	v_pk_fma_f16 v28, v11, v28, v60
	v_pk_fma_f16 v60, v11, v62, v61
	v_pk_fma_f16 v12, v11, v14, v12
	v_mul_u32_u24_e32 v14, 0x10001, v9
	v_mul_u32_u24_e32 v61, 0x10001, v10
	v_mul_u32_u24_e32 v16, 0x10001, v16
	v_mul_u32_u24_e32 v17, 0x10001, v17
	v_pk_fma_f16 v13, v11, v15, v13
	s_wait_dscnt 0x0
	v_pk_fma_f16 v15, v4, v14, v27
	v_pk_fma_f16 v27, v4, v61, v29
	v_pk_fma_f16 v29, v4, v16, v63
	v_pk_fma_f16 v4, v4, v17, v8
	ds_load_2addr_b64 v[8:11], v96 offset0:64 offset1:96
	v_pk_fma_f16 v24, v5, v14, v24
	v_pk_fma_f16 v30, v5, v61, v30
	v_pk_fma_f16 v31, v5, v16, v31
	v_pk_fma_f16 v25, v5, v17, v25
	v_pk_fma_f16 v42, v6, v14, v42
	v_pk_fma_f16 v58, v6, v61, v58
	v_pk_fma_f16 v59, v6, v16, v59
	v_pk_fma_f16 v26, v6, v17, v26
	v_and_b32_e32 v5, 0xffff, v18
	v_lshrrev_b32_e32 v6, 16, v18
	v_and_b32_e32 v18, 0xffff, v19
	v_lshrrev_b32_e32 v19, 16, v19
	v_pk_fma_f16 v14, v7, v14, v28
	v_pk_fma_f16 v28, v7, v61, v60
	v_pk_fma_f16 v12, v7, v16, v12
	v_mul_u32_u24_e32 v16, 0x10001, v5
	v_mul_u32_u24_e32 v60, 0x10001, v6
	v_mul_u32_u24_e32 v18, 0x10001, v18
	v_mul_u32_u24_e32 v19, 0x10001, v19
	v_pk_fma_f16 v13, v7, v17, v13
	s_wait_dscnt 0x0
	v_pk_fma_f16 v15, v8, v16, v15
	v_pk_fma_f16 v17, v8, v60, v27
	v_pk_fma_f16 v27, v8, v18, v29
	v_pk_fma_f16 v8, v8, v19, v4
	ds_load_2addr_b64 v[4:7], v96 offset0:128 offset1:160
	;; [unrolled: 26-line block ×3, first 2 shown]
	v_pk_fma_f16 v24, v5, v18, v24
	v_pk_fma_f16 v29, v5, v28, v29
	;; [unrolled: 1-line block ×9, first 2 shown]
	v_and_b32_e32 v5, 0xffff, v22
	v_lshrrev_b32_e32 v6, 16, v22
	v_pk_fma_f16 v20, v7, v20, v12
	v_and_b32_e32 v22, 0xffff, v23
	v_lshrrev_b32_e32 v23, 16, v23
	ds_load_b128 v[12:15], v83 offset:320
	v_pk_fma_f16 v16, v7, v28, v16
	v_mul_u32_u24_e32 v28, 0x10001, v5
	v_mul_u32_u24_e32 v60, 0x10001, v6
	v_mul_u32_u24_e32 v22, 0x10001, v22
	v_mul_u32_u24_e32 v23, 0x10001, v23
	v_pk_fma_f16 v21, v7, v21, v19
	s_wait_dscnt 0x1
	v_pk_fma_f16 v59, v8, v28, v59
	v_pk_fma_f16 v61, v8, v60, v17
	;; [unrolled: 1-line block ×4, first 2 shown]
	ds_load_2addr_b64 v[4:7], v88 offset1:32
	v_pk_fma_f16 v24, v9, v28, v24
	v_pk_fma_f16 v29, v9, v60, v29
	;; [unrolled: 1-line block ×10, first 2 shown]
	ds_load_b128 v[16:19], v83 offset:336
	s_wait_dscnt 0x2
	v_and_b32_e32 v9, 0xffff, v12
	v_lshrrev_b32_e32 v10, 16, v12
	v_and_b32_e32 v12, 0xffff, v13
	v_lshrrev_b32_e32 v13, 16, v13
	v_pk_fma_f16 v20, v11, v22, v20
	v_mul_u32_u24_e32 v22, 0x10001, v9
	v_mul_u32_u24_e32 v62, 0x10001, v10
	;; [unrolled: 1-line block ×4, first 2 shown]
	v_pk_fma_f16 v21, v11, v23, v21
	s_wait_dscnt 0x1
	v_pk_fma_f16 v23, v4, v22, v59
	v_pk_fma_f16 v59, v4, v62, v61
	;; [unrolled: 1-line block ×4, first 2 shown]
	ds_load_2addr_b64 v[8:11], v88 offset0:64 offset1:96
	v_pk_fma_f16 v24, v5, v22, v24
	v_pk_fma_f16 v29, v5, v62, v29
	;; [unrolled: 1-line block ×8, first 2 shown]
	v_and_b32_e32 v5, 0xffff, v14
	v_lshrrev_b32_e32 v6, 16, v14
	v_and_b32_e32 v14, 0xffff, v15
	v_lshrrev_b32_e32 v15, 16, v15
	v_pk_fma_f16 v22, v7, v22, v28
	v_pk_fma_f16 v28, v7, v62, v60
	;; [unrolled: 1-line block ×3, first 2 shown]
	v_mul_u32_u24_e32 v20, 0x10001, v5
	v_mul_u32_u24_e32 v60, 0x10001, v6
	;; [unrolled: 1-line block ×4, first 2 shown]
	v_pk_fma_f16 v13, v7, v13, v21
	s_wait_dscnt 0x0
	v_pk_fma_f16 v21, v8, v20, v23
	v_pk_fma_f16 v23, v8, v60, v59
	;; [unrolled: 1-line block ×4, first 2 shown]
	ds_load_2addr_b64 v[4:7], v88 offset0:128 offset1:160
	v_pk_fma_f16 v24, v9, v20, v24
	v_pk_fma_f16 v29, v9, v60, v29
	;; [unrolled: 1-line block ×8, first 2 shown]
	v_and_b32_e32 v9, 0xffff, v16
	v_lshrrev_b32_e32 v10, 16, v16
	v_and_b32_e32 v16, 0xffff, v17
	v_lshrrev_b32_e32 v17, 16, v17
	v_pk_fma_f16 v20, v11, v20, v22
	v_pk_fma_f16 v22, v11, v60, v28
	;; [unrolled: 1-line block ×3, first 2 shown]
	v_mul_u32_u24_e32 v14, 0x10001, v9
	v_mul_u32_u24_e32 v28, 0x10001, v10
	;; [unrolled: 1-line block ×4, first 2 shown]
	v_pk_fma_f16 v59, v11, v15, v13
	s_wait_dscnt 0x0
	v_pk_fma_f16 v21, v4, v14, v21
	v_pk_fma_f16 v23, v4, v28, v23
	;; [unrolled: 1-line block ×4, first 2 shown]
	ds_load_2addr_b64 v[8:11], v88 offset0:192 offset1:224
	v_pk_fma_f16 v24, v5, v14, v24
	v_pk_fma_f16 v29, v5, v28, v29
	;; [unrolled: 1-line block ×10, first 2 shown]
	v_and_b32_e32 v5, 0xffff, v18
	v_dual_lshrrev_b32 v6, 16, v18 :: v_dual_lshrrev_b32 v18, 16, v19
	v_pk_fma_f16 v28, v7, v16, v12
	v_and_b32_e32 v16, 0xffff, v19
	ds_load_b128 v[12:15], v83 offset:352
	v_mul_u32_u24_e32 v19, 0x10001, v5
	v_mul_u32_u24_e32 v60, 0x10001, v6
	v_mul_u32_u24_e32 v62, 0x10001, v18
	v_mul_u32_u24_e32 v61, 0x10001, v16
	v_pk_fma_f16 v59, v7, v17, v59
	s_wait_dscnt 0x1
	v_pk_fma_f16 v21, v8, v19, v21
	v_pk_fma_f16 v23, v8, v60, v23
	;; [unrolled: 1-line block ×5, first 2 shown]
	ds_load_2addr_b64 v[4:7], v89 offset1:32
	v_pk_fma_f16 v29, v9, v60, v29
	v_pk_fma_f16 v30, v9, v61, v30
	;; [unrolled: 1-line block ×8, first 2 shown]
	ds_load_b128 v[16:19], v83 offset:368
	s_wait_dscnt 0x2
	v_and_b32_e32 v9, 0xffff, v12
	v_lshrrev_b32_e32 v10, 16, v12
	v_and_b32_e32 v12, 0xffff, v13
	v_lshrrev_b32_e32 v13, 16, v13
	v_pk_fma_f16 v22, v11, v60, v22
	v_pk_fma_f16 v28, v11, v61, v28
	v_mul_u32_u24_e32 v60, 0x10001, v9
	v_mul_u32_u24_e32 v61, 0x10001, v10
	;; [unrolled: 1-line block ×4, first 2 shown]
	v_pk_fma_f16 v59, v11, v62, v59
	s_wait_dscnt 0x1
	v_pk_fma_f16 v21, v4, v60, v21
	v_pk_fma_f16 v23, v4, v61, v23
	;; [unrolled: 1-line block ×4, first 2 shown]
	ds_load_2addr_b64 v[8:11], v89 offset0:64 offset1:96
	v_pk_fma_f16 v24, v5, v60, v24
	v_pk_fma_f16 v29, v5, v61, v29
	;; [unrolled: 1-line block ×8, first 2 shown]
	v_and_b32_e32 v5, 0xffff, v14
	v_lshrrev_b32_e32 v6, 16, v14
	v_and_b32_e32 v14, 0xffff, v15
	v_lshrrev_b32_e32 v15, 16, v15
	v_pk_fma_f16 v20, v7, v60, v20
	v_pk_fma_f16 v12, v7, v12, v28
	v_mul_u32_u24_e32 v28, 0x10001, v5
	v_mul_u32_u24_e32 v60, 0x10001, v6
	;; [unrolled: 1-line block ×4, first 2 shown]
	v_pk_fma_f16 v22, v7, v61, v22
	v_pk_fma_f16 v13, v7, v13, v59
	s_wait_dscnt 0x0
	v_pk_fma_f16 v21, v8, v28, v21
	v_pk_fma_f16 v23, v8, v60, v23
	;; [unrolled: 1-line block ×4, first 2 shown]
	ds_load_2addr_b64 v[4:7], v89 offset0:128 offset1:160
	v_pk_fma_f16 v24, v9, v28, v24
	v_pk_fma_f16 v29, v9, v60, v29
	;; [unrolled: 1-line block ×8, first 2 shown]
	v_and_b32_e32 v9, 0xffff, v16
	v_lshrrev_b32_e32 v10, 16, v16
	v_and_b32_e32 v16, 0xffff, v17
	v_lshrrev_b32_e32 v17, 16, v17
	v_pk_fma_f16 v20, v11, v28, v20
	v_pk_fma_f16 v12, v11, v14, v12
	v_mul_u32_u24_e32 v14, 0x10001, v9
	v_mul_u32_u24_e32 v28, 0x10001, v10
	v_mul_u32_u24_e32 v16, 0x10001, v16
	v_mul_u32_u24_e32 v17, 0x10001, v17
	v_pk_fma_f16 v22, v11, v60, v22
	v_pk_fma_f16 v59, v11, v15, v13
	s_wait_dscnt 0x0
	v_pk_fma_f16 v21, v4, v14, v21
	v_pk_fma_f16 v23, v4, v28, v23
	;; [unrolled: 1-line block ×4, first 2 shown]
	ds_load_2addr_b64 v[8:11], v89 offset0:192 offset1:224
	v_pk_fma_f16 v24, v5, v14, v24
	v_pk_fma_f16 v29, v5, v28, v29
	;; [unrolled: 1-line block ×10, first 2 shown]
	v_and_b32_e32 v5, 0xffff, v18
	v_dual_lshrrev_b32 v6, 16, v18 :: v_dual_lshrrev_b32 v18, 16, v19
	v_pk_fma_f16 v28, v7, v16, v12
	v_and_b32_e32 v16, 0xffff, v19
	ds_load_b128 v[12:15], v83 offset:384
	v_mul_u32_u24_e32 v19, 0x10001, v5
	v_mul_u32_u24_e32 v60, 0x10001, v6
	;; [unrolled: 1-line block ×4, first 2 shown]
	v_pk_fma_f16 v59, v7, v17, v59
	s_wait_dscnt 0x1
	v_pk_fma_f16 v21, v8, v19, v21
	v_pk_fma_f16 v23, v8, v60, v23
	;; [unrolled: 1-line block ×5, first 2 shown]
	ds_load_2addr_b64 v[4:7], v90 offset1:32
	v_pk_fma_f16 v29, v9, v60, v29
	v_pk_fma_f16 v30, v9, v61, v30
	;; [unrolled: 1-line block ×8, first 2 shown]
	ds_load_b128 v[16:19], v83 offset:400
	s_wait_dscnt 0x2
	v_and_b32_e32 v9, 0xffff, v12
	v_lshrrev_b32_e32 v10, 16, v12
	v_and_b32_e32 v12, 0xffff, v13
	v_lshrrev_b32_e32 v13, 16, v13
	v_pk_fma_f16 v22, v11, v60, v22
	v_pk_fma_f16 v28, v11, v61, v28
	v_mul_u32_u24_e32 v60, 0x10001, v9
	v_mul_u32_u24_e32 v61, 0x10001, v10
	;; [unrolled: 1-line block ×4, first 2 shown]
	v_pk_fma_f16 v59, v11, v62, v59
	s_wait_dscnt 0x1
	v_pk_fma_f16 v21, v4, v60, v21
	v_pk_fma_f16 v23, v4, v61, v23
	;; [unrolled: 1-line block ×4, first 2 shown]
	ds_load_2addr_b64 v[8:11], v90 offset0:64 offset1:96
	v_pk_fma_f16 v24, v5, v60, v24
	v_pk_fma_f16 v29, v5, v61, v29
	;; [unrolled: 1-line block ×8, first 2 shown]
	v_and_b32_e32 v5, 0xffff, v14
	v_lshrrev_b32_e32 v6, 16, v14
	v_and_b32_e32 v14, 0xffff, v15
	v_lshrrev_b32_e32 v15, 16, v15
	v_pk_fma_f16 v20, v7, v60, v20
	v_pk_fma_f16 v12, v7, v12, v28
	v_mul_u32_u24_e32 v28, 0x10001, v5
	v_mul_u32_u24_e32 v60, 0x10001, v6
	;; [unrolled: 1-line block ×4, first 2 shown]
	v_pk_fma_f16 v22, v7, v61, v22
	v_pk_fma_f16 v13, v7, v13, v59
	s_wait_dscnt 0x0
	v_pk_fma_f16 v21, v8, v28, v21
	v_pk_fma_f16 v23, v8, v60, v23
	;; [unrolled: 1-line block ×4, first 2 shown]
	ds_load_2addr_b64 v[4:7], v90 offset0:128 offset1:160
	v_pk_fma_f16 v24, v9, v28, v24
	v_pk_fma_f16 v29, v9, v60, v29
	;; [unrolled: 1-line block ×8, first 2 shown]
	v_and_b32_e32 v9, 0xffff, v16
	v_lshrrev_b32_e32 v10, 16, v16
	v_and_b32_e32 v16, 0xffff, v17
	v_lshrrev_b32_e32 v17, 16, v17
	v_pk_fma_f16 v20, v11, v28, v20
	v_pk_fma_f16 v12, v11, v14, v12
	v_mul_u32_u24_e32 v14, 0x10001, v9
	v_mul_u32_u24_e32 v28, 0x10001, v10
	;; [unrolled: 1-line block ×4, first 2 shown]
	v_pk_fma_f16 v22, v11, v60, v22
	v_pk_fma_f16 v59, v11, v15, v13
	s_wait_dscnt 0x0
	v_pk_fma_f16 v21, v4, v14, v21
	v_pk_fma_f16 v23, v4, v28, v23
	;; [unrolled: 1-line block ×4, first 2 shown]
	ds_load_2addr_b64 v[8:11], v90 offset0:192 offset1:224
	v_pk_fma_f16 v24, v5, v14, v24
	v_pk_fma_f16 v29, v5, v28, v29
	;; [unrolled: 1-line block ×10, first 2 shown]
	v_and_b32_e32 v5, 0xffff, v18
	v_dual_lshrrev_b32 v6, 16, v18 :: v_dual_lshrrev_b32 v18, 16, v19
	v_pk_fma_f16 v28, v7, v16, v12
	v_and_b32_e32 v16, 0xffff, v19
	ds_load_b128 v[12:15], v83 offset:416
	v_mul_u32_u24_e32 v19, 0x10001, v5
	v_mul_u32_u24_e32 v60, 0x10001, v6
	;; [unrolled: 1-line block ×4, first 2 shown]
	v_pk_fma_f16 v59, v7, v17, v59
	s_wait_dscnt 0x1
	v_pk_fma_f16 v21, v8, v19, v21
	v_pk_fma_f16 v23, v8, v60, v23
	;; [unrolled: 1-line block ×5, first 2 shown]
	ds_load_2addr_b64 v[4:7], v97 offset1:32
	v_pk_fma_f16 v29, v9, v60, v29
	v_pk_fma_f16 v30, v9, v61, v30
	;; [unrolled: 1-line block ×8, first 2 shown]
	ds_load_b128 v[16:19], v83 offset:432
	s_wait_dscnt 0x2
	v_and_b32_e32 v9, 0xffff, v12
	v_lshrrev_b32_e32 v10, 16, v12
	v_and_b32_e32 v12, 0xffff, v13
	v_lshrrev_b32_e32 v13, 16, v13
	v_pk_fma_f16 v22, v11, v60, v22
	v_pk_fma_f16 v28, v11, v61, v28
	v_mul_u32_u24_e32 v60, 0x10001, v9
	v_mul_u32_u24_e32 v61, 0x10001, v10
	;; [unrolled: 1-line block ×4, first 2 shown]
	v_pk_fma_f16 v59, v11, v62, v59
	s_wait_dscnt 0x1
	v_pk_fma_f16 v21, v4, v60, v21
	v_pk_fma_f16 v23, v4, v61, v23
	;; [unrolled: 1-line block ×4, first 2 shown]
	ds_load_2addr_b64 v[8:11], v97 offset0:64 offset1:96
	v_pk_fma_f16 v24, v5, v60, v24
	v_pk_fma_f16 v29, v5, v61, v29
	;; [unrolled: 1-line block ×8, first 2 shown]
	v_and_b32_e32 v5, 0xffff, v14
	v_lshrrev_b32_e32 v6, 16, v14
	v_and_b32_e32 v14, 0xffff, v15
	v_lshrrev_b32_e32 v15, 16, v15
	v_pk_fma_f16 v20, v7, v60, v20
	v_pk_fma_f16 v12, v7, v12, v28
	v_mul_u32_u24_e32 v28, 0x10001, v5
	v_mul_u32_u24_e32 v60, 0x10001, v6
	;; [unrolled: 1-line block ×4, first 2 shown]
	v_pk_fma_f16 v22, v7, v61, v22
	v_pk_fma_f16 v13, v7, v13, v59
	s_wait_dscnt 0x0
	v_pk_fma_f16 v21, v8, v28, v21
	v_pk_fma_f16 v23, v8, v60, v23
	;; [unrolled: 1-line block ×4, first 2 shown]
	ds_load_2addr_b64 v[4:7], v97 offset0:128 offset1:160
	v_pk_fma_f16 v24, v9, v28, v24
	v_pk_fma_f16 v29, v9, v60, v29
	;; [unrolled: 1-line block ×8, first 2 shown]
	v_and_b32_e32 v9, 0xffff, v16
	v_lshrrev_b32_e32 v10, 16, v16
	v_and_b32_e32 v16, 0xffff, v17
	v_lshrrev_b32_e32 v17, 16, v17
	v_pk_fma_f16 v20, v11, v28, v20
	v_pk_fma_f16 v12, v11, v14, v12
	v_mul_u32_u24_e32 v14, 0x10001, v9
	v_mul_u32_u24_e32 v28, 0x10001, v10
	v_mul_u32_u24_e32 v16, 0x10001, v16
	v_mul_u32_u24_e32 v17, 0x10001, v17
	v_pk_fma_f16 v22, v11, v60, v22
	v_pk_fma_f16 v59, v11, v15, v13
	s_wait_dscnt 0x0
	v_pk_fma_f16 v21, v4, v14, v21
	v_pk_fma_f16 v23, v4, v28, v23
	;; [unrolled: 1-line block ×4, first 2 shown]
	ds_load_2addr_b64 v[8:11], v97 offset0:192 offset1:224
	v_pk_fma_f16 v24, v5, v14, v24
	v_pk_fma_f16 v29, v5, v28, v29
	;; [unrolled: 1-line block ×10, first 2 shown]
	v_and_b32_e32 v5, 0xffff, v18
	v_dual_lshrrev_b32 v6, 16, v18 :: v_dual_lshrrev_b32 v18, 16, v19
	v_pk_fma_f16 v28, v7, v16, v12
	v_and_b32_e32 v16, 0xffff, v19
	ds_load_b128 v[12:15], v83 offset:448
	v_mul_u32_u24_e32 v19, 0x10001, v5
	v_mul_u32_u24_e32 v60, 0x10001, v6
	;; [unrolled: 1-line block ×4, first 2 shown]
	v_pk_fma_f16 v59, v7, v17, v59
	s_wait_dscnt 0x1
	v_pk_fma_f16 v21, v8, v19, v21
	v_pk_fma_f16 v23, v8, v60, v23
	v_pk_fma_f16 v24, v9, v19, v24
	v_pk_fma_f16 v27, v8, v61, v27
	v_pk_fma_f16 v8, v8, v62, v4
	ds_load_2addr_b64 v[4:7], v98 offset1:32
	v_pk_fma_f16 v29, v9, v60, v29
	v_pk_fma_f16 v30, v9, v61, v30
	;; [unrolled: 1-line block ×8, first 2 shown]
	ds_load_b128 v[16:19], v83 offset:464
	s_wait_dscnt 0x2
	v_and_b32_e32 v9, 0xffff, v12
	v_lshrrev_b32_e32 v10, 16, v12
	v_and_b32_e32 v12, 0xffff, v13
	v_lshrrev_b32_e32 v13, 16, v13
	v_pk_fma_f16 v22, v11, v60, v22
	v_pk_fma_f16 v28, v11, v61, v28
	v_mul_u32_u24_e32 v60, 0x10001, v9
	v_mul_u32_u24_e32 v61, 0x10001, v10
	;; [unrolled: 1-line block ×4, first 2 shown]
	v_pk_fma_f16 v59, v11, v62, v59
	s_wait_dscnt 0x1
	v_pk_fma_f16 v21, v4, v60, v21
	v_pk_fma_f16 v23, v4, v61, v23
	;; [unrolled: 1-line block ×4, first 2 shown]
	ds_load_2addr_b64 v[8:11], v98 offset0:64 offset1:96
	v_pk_fma_f16 v24, v5, v60, v24
	v_pk_fma_f16 v29, v5, v61, v29
	;; [unrolled: 1-line block ×8, first 2 shown]
	v_and_b32_e32 v5, 0xffff, v14
	v_lshrrev_b32_e32 v6, 16, v14
	v_and_b32_e32 v14, 0xffff, v15
	v_lshrrev_b32_e32 v15, 16, v15
	v_pk_fma_f16 v20, v7, v60, v20
	v_pk_fma_f16 v12, v7, v12, v28
	v_mul_u32_u24_e32 v28, 0x10001, v5
	v_mul_u32_u24_e32 v60, 0x10001, v6
	;; [unrolled: 1-line block ×4, first 2 shown]
	v_pk_fma_f16 v22, v7, v61, v22
	v_pk_fma_f16 v13, v7, v13, v59
	s_wait_dscnt 0x0
	v_pk_fma_f16 v21, v8, v28, v21
	v_pk_fma_f16 v23, v8, v60, v23
	;; [unrolled: 1-line block ×4, first 2 shown]
	ds_load_2addr_b64 v[4:7], v98 offset0:128 offset1:160
	v_pk_fma_f16 v24, v9, v28, v24
	v_pk_fma_f16 v29, v9, v60, v29
	;; [unrolled: 1-line block ×8, first 2 shown]
	v_and_b32_e32 v9, 0xffff, v16
	v_lshrrev_b32_e32 v10, 16, v16
	v_and_b32_e32 v16, 0xffff, v17
	v_lshrrev_b32_e32 v17, 16, v17
	v_pk_fma_f16 v20, v11, v28, v20
	v_pk_fma_f16 v12, v11, v14, v12
	v_mul_u32_u24_e32 v14, 0x10001, v9
	v_mul_u32_u24_e32 v28, 0x10001, v10
	;; [unrolled: 1-line block ×4, first 2 shown]
	v_pk_fma_f16 v22, v11, v60, v22
	v_pk_fma_f16 v59, v11, v15, v13
	s_wait_dscnt 0x0
	v_pk_fma_f16 v21, v4, v14, v21
	v_pk_fma_f16 v23, v4, v28, v23
	;; [unrolled: 1-line block ×4, first 2 shown]
	ds_load_2addr_b64 v[8:11], v98 offset0:192 offset1:224
	v_pk_fma_f16 v24, v5, v14, v24
	v_pk_fma_f16 v29, v5, v28, v29
	;; [unrolled: 1-line block ×10, first 2 shown]
	v_and_b32_e32 v5, 0xffff, v18
	v_dual_lshrrev_b32 v6, 16, v18 :: v_dual_lshrrev_b32 v18, 16, v19
	v_pk_fma_f16 v28, v7, v16, v12
	v_and_b32_e32 v16, 0xffff, v19
	ds_load_b128 v[12:15], v83 offset:480
	v_mul_u32_u24_e32 v19, 0x10001, v5
	v_mul_u32_u24_e32 v60, 0x10001, v6
	;; [unrolled: 1-line block ×4, first 2 shown]
	v_pk_fma_f16 v59, v7, v17, v59
	s_wait_dscnt 0x1
	v_pk_fma_f16 v21, v8, v19, v21
	v_pk_fma_f16 v23, v8, v60, v23
	;; [unrolled: 1-line block ×5, first 2 shown]
	ds_load_2addr_b64 v[4:7], v87 offset1:32
	v_pk_fma_f16 v29, v9, v60, v29
	v_pk_fma_f16 v30, v9, v61, v30
	;; [unrolled: 1-line block ×8, first 2 shown]
	ds_load_b128 v[16:19], v83 offset:496
	s_wait_dscnt 0x2
	v_and_b32_e32 v9, 0xffff, v12
	v_lshrrev_b32_e32 v10, 16, v12
	v_and_b32_e32 v12, 0xffff, v13
	v_lshrrev_b32_e32 v13, 16, v13
	v_pk_fma_f16 v22, v11, v60, v22
	v_pk_fma_f16 v28, v11, v61, v28
	v_mul_u32_u24_e32 v60, 0x10001, v9
	v_mul_u32_u24_e32 v61, 0x10001, v10
	;; [unrolled: 1-line block ×4, first 2 shown]
	v_pk_fma_f16 v59, v11, v62, v59
	s_wait_dscnt 0x1
	v_pk_fma_f16 v21, v4, v60, v21
	v_pk_fma_f16 v23, v4, v61, v23
	;; [unrolled: 1-line block ×4, first 2 shown]
	ds_load_2addr_b64 v[8:11], v87 offset0:64 offset1:96
	v_pk_fma_f16 v24, v5, v60, v24
	v_pk_fma_f16 v29, v5, v61, v29
	;; [unrolled: 1-line block ×8, first 2 shown]
	v_and_b32_e32 v5, 0xffff, v14
	v_lshrrev_b32_e32 v6, 16, v14
	v_and_b32_e32 v14, 0xffff, v15
	v_lshrrev_b32_e32 v15, 16, v15
	v_pk_fma_f16 v20, v7, v60, v20
	v_pk_fma_f16 v12, v7, v12, v28
	v_mul_u32_u24_e32 v28, 0x10001, v5
	v_mul_u32_u24_e32 v60, 0x10001, v6
	;; [unrolled: 1-line block ×4, first 2 shown]
	v_pk_fma_f16 v22, v7, v61, v22
	v_pk_fma_f16 v13, v7, v13, v59
	s_wait_dscnt 0x0
	v_pk_fma_f16 v21, v8, v28, v21
	v_pk_fma_f16 v23, v8, v60, v23
	;; [unrolled: 1-line block ×4, first 2 shown]
	ds_load_2addr_b64 v[4:7], v87 offset0:128 offset1:160
	v_pk_fma_f16 v24, v9, v28, v24
	v_pk_fma_f16 v29, v9, v60, v29
	v_pk_fma_f16 v30, v9, v14, v30
	v_pk_fma_f16 v9, v9, v15, v25
	v_pk_fma_f16 v25, v10, v28, v31
	v_pk_fma_f16 v31, v10, v60, v42
	v_pk_fma_f16 v42, v10, v14, v58
	v_pk_fma_f16 v26, v10, v15, v26
	v_pk_fma_f16 v20, v11, v28, v20
	v_and_b32_e32 v10, 0xffff, v16
	v_lshrrev_b32_e32 v16, 16, v16
	v_and_b32_e32 v28, 0xffff, v17
	v_lshrrev_b32_e32 v17, 16, v17
	v_pk_fma_f16 v12, v11, v14, v12
	v_mul_u32_u24_e32 v14, 0x10001, v10
	v_mul_u32_u24_e32 v16, 0x10001, v16
	;; [unrolled: 1-line block ×4, first 2 shown]
	v_pk_fma_f16 v22, v11, v60, v22
	v_pk_fma_f16 v13, v11, v15, v13
	s_wait_dscnt 0x0
	v_pk_fma_f16 v15, v4, v14, v21
	v_pk_fma_f16 v21, v4, v16, v23
	v_pk_fma_f16 v23, v4, v28, v27
	v_pk_fma_f16 v4, v4, v17, v8
	v_pk_fma_f16 v27, v5, v14, v24
	v_pk_fma_f16 v58, v5, v16, v29
	v_pk_fma_f16 v30, v5, v28, v30
	v_pk_fma_f16 v5, v5, v17, v9
	ds_load_2addr_b64 v[8:11], v87 offset0:192 offset1:224
	s_wait_dscnt 0x0
	s_barrier_signal -1
	s_barrier_wait -1
	s_load_b32 s5, s[20:21], 0x4
	v_pk_fma_f16 v59, v6, v14, v25
	v_pk_fma_f16 v31, v6, v16, v31
	;; [unrolled: 1-line block ×3, first 2 shown]
	v_and_b32_e32 v20, 0xffff, v18
	v_pk_fma_f16 v16, v7, v16, v22
	v_dual_lshrrev_b32 v18, 16, v18 :: v_dual_lshrrev_b32 v22, 16, v19
	v_and_b32_e32 v19, 0xffff, v19
	v_pk_fma_f16 v42, v6, v28, v42
	v_pk_fma_f16 v6, v6, v17, v26
	;; [unrolled: 1-line block ×3, first 2 shown]
	v_mul_u32_u24_e32 v28, 0x10001, v20
	v_mul_u32_u24_e32 v18, 0x10001, v18
	;; [unrolled: 1-line block ×4, first 2 shown]
	v_pk_fma_f16 v7, v7, v17, v13
	v_pk_fma_f16 v29, v8, v28, v15
	;; [unrolled: 1-line block ×4, first 2 shown]
	s_wait_kmcnt 0x0
	s_lshl_b32 s5, s5, 6
	v_pk_fma_f16 v25, v8, v60, v4
	v_pk_fma_f16 v90, v9, v28, v27
	;; [unrolled: 1-line block ×13, first 2 shown]
	s_add_co_i32 s4, s5, s4
	s_delay_alu instid0(SALU_CYCLE_1)
	s_cmp_ge_i32 s4, s28
	s_cbranch_scc1 .LBB58_43
; %bb.42:                               ;   in Loop: Header=BB58_9 Depth=1
	v_dual_mov_b32 v58, v0 :: v_dual_mov_b32 v60, v1
	v_dual_mov_b32 v59, v2 :: v_dual_mov_b32 v61, v3
	s_branch .LBB58_9
.LBB58_43:
	v_mov_b32_e32 v4, v73
.LBB58_44:
	v_cmp_lt_i32_e32 vcc_lo, v95, v74
	s_cmp_lg_u64 s[12:13], 0
	s_cselect_b32 s3, -1, 0
	s_cmp_eq_u32 s29, 0
	v_cndmask_b32_e32 v5, v4, v95, vcc_lo
	v_cmp_lt_i32_e32 vcc_lo, v94, v74
	s_cselect_b32 s4, -1, 0
	s_delay_alu instid0(SALU_CYCLE_1) | instskip(NEXT) | instid1(VALU_DEP_2)
	s_and_b32 s3, s4, s3
	v_lshlrev_b32_e32 v5, 2, v5
	ds_bpermute_b32 v6, v5, v36
	ds_bpermute_b32 v7, v5, v37
	;; [unrolled: 1-line block ×4, first 2 shown]
	v_cndmask_b32_e32 v5, v4, v94, vcc_lo
	v_cmp_lt_i32_e32 vcc_lo, v93, v74
	s_delay_alu instid0(VALU_DEP_2)
	v_lshlrev_b32_e32 v5, 2, v5
	s_wait_dscnt 0x2
	v_pk_add_f32 v[6:7], v[36:37], v[6:7]
	s_wait_dscnt 0x0
	v_pk_add_f32 v[8:9], v[34:35], v[8:9]
	ds_bpermute_b32 v10, v5, v6
	ds_bpermute_b32 v11, v5, v7
	;; [unrolled: 1-line block ×4, first 2 shown]
	v_cndmask_b32_e32 v5, v4, v93, vcc_lo
	v_cmp_lt_i32_e32 vcc_lo, v92, v74
	s_delay_alu instid0(VALU_DEP_2)
	v_lshlrev_b32_e32 v5, 2, v5
	s_wait_dscnt 0x2
	v_pk_add_f32 v[6:7], v[6:7], v[10:11]
	s_wait_dscnt 0x0
	v_pk_add_f32 v[8:9], v[8:9], v[12:13]
	ds_bpermute_b32 v10, v5, v6
	ds_bpermute_b32 v11, v5, v7
	;; [unrolled: 1-line block ×4, first 2 shown]
	v_cndmask_b32_e32 v5, v4, v92, vcc_lo
	v_cmp_lt_i32_e32 vcc_lo, v91, v74
	s_delay_alu instid0(VALU_DEP_2) | instskip(SKIP_1) | instid1(VALU_DEP_1)
	v_dual_cndmask_b32 v4, v4, v91 :: v_dual_lshlrev_b32 v5, 2, v5
	s_and_b32 vcc_lo, exec_lo, s3
	v_lshlrev_b32_e32 v14, 2, v4
	s_wait_dscnt 0x2
	v_pk_add_f32 v[6:7], v[6:7], v[10:11]
	s_wait_dscnt 0x0
	v_pk_add_f32 v[8:9], v[8:9], v[12:13]
	ds_bpermute_b32 v10, v5, v6
	ds_bpermute_b32 v11, v5, v7
	;; [unrolled: 1-line block ×4, first 2 shown]
	s_wait_dscnt 0x2
	v_pk_add_f32 v[4:5], v[6:7], v[10:11]
	s_wait_dscnt 0x0
	v_pk_add_f32 v[8:9], v[8:9], v[12:13]
	ds_bpermute_b32 v6, v14, v4
	ds_bpermute_b32 v7, v14, v5
	;; [unrolled: 1-line block ×4, first 2 shown]
	s_wait_dscnt 0x2
	v_pk_add_f32 v[6:7], v[4:5], v[6:7]
	s_wait_dscnt 0x0
	v_pk_add_f32 v[4:5], v[8:9], v[10:11]
	v_add_nc_u32_e32 v8, s33, v32
	s_cbranch_vccz .LBB58_46
; %bb.45:
	s_delay_alu instid0(VALU_DEP_1) | instskip(SKIP_1) | instid1(VALU_DEP_2)
	v_dual_ashrrev_i32 v9, 31, v8 :: v_dual_max_num_f32 v15, v1, v1
	v_dual_max_num_f32 v16, v2, v2 :: v_dual_max_num_f32 v17, v3, v3
	v_lshl_add_u64 v[10:11], v[8:9], 2, s[12:13]
	v_max_num_f32_e32 v9, v0, v0
	global_load_b128 v[10:13], v[10:11], off
	s_wait_loadcnt 0x0
	v_dual_max_num_f32 v14, v10, v10 :: v_dual_max_num_f32 v18, v11, v11
	v_dual_max_num_f32 v19, v12, v12 :: v_dual_max_num_f32 v32, v13, v13
	s_delay_alu instid0(VALU_DEP_2) | instskip(NEXT) | instid1(VALU_DEP_2)
	v_max_num_f32_e32 v14, v9, v14
	v_dual_max_num_f32 v15, v15, v18 :: v_dual_max_num_f32 v16, v16, v19
	s_delay_alu instid0(VALU_DEP_2) | instskip(NEXT) | instid1(VALU_DEP_2)
	v_dual_max_num_f32 v17, v17, v32 :: v_dual_sub_f32 v0, v0, v14
	v_dual_sub_f32 v9, v10, v14 :: v_dual_sub_f32 v1, v1, v15
	s_delay_alu instid0(VALU_DEP_3) | instskip(NEXT) | instid1(VALU_DEP_3)
	v_dual_sub_f32 v10, v11, v15 :: v_dual_sub_f32 v11, v2, v16
	v_dual_sub_f32 v12, v12, v16 :: v_dual_sub_f32 v18, v3, v17
	s_delay_alu instid0(VALU_DEP_4) | instskip(NEXT) | instid1(VALU_DEP_3)
	v_dual_sub_f32 v13, v13, v17 :: v_dual_mul_f32 v2, 0x3fb8aa3b, v0
	v_dual_mul_f32 v3, 0x3fb8aa3b, v9 :: v_dual_mul_f32 v32, 0x3fb8aa3b, v10
	s_delay_alu instid0(VALU_DEP_4) | instskip(NEXT) | instid1(VALU_DEP_4)
	v_dual_mul_f32 v19, 0x3fb8aa3b, v1 :: v_dual_mul_f32 v34, 0x3fb8aa3b, v11
	v_dual_mul_f32 v35, 0x3fb8aa3b, v12 :: v_dual_mul_f32 v36, 0x3fb8aa3b, v18
	s_delay_alu instid0(VALU_DEP_4)
	v_fma_f32 v38, 0x3fb8aa3b, v0, -v2
	v_rndne_f32_e32 v39, v2
	v_mul_f32_e32 v37, 0x3fb8aa3b, v13
	v_fma_f32 v40, 0x3fb8aa3b, v9, -v3
	v_rndne_f32_e32 v41, v3
	v_fma_f32 v42, 0x3fb8aa3b, v1, -v19
	v_rndne_f32_e32 v43, v19
	v_rndne_f32_e32 v51, v36
	s_delay_alu instid0(VALU_DEP_4)
	v_dual_fmac_f32 v38, 0x32a5705f, v0 :: v_dual_sub_f32 v3, v3, v41
	v_sub_f32_e32 v2, v2, v39
	v_fma_f32 v48, 0x3fb8aa3b, v12, -v35
	v_fma_f32 v50, 0x3fb8aa3b, v18, -v36
	v_dual_fmac_f32 v40, 0x32a5705f, v9 :: v_dual_sub_f32 v19, v19, v43
	v_fmac_f32_e32 v42, 0x32a5705f, v1
	v_dual_sub_f32 v36, v36, v51 :: v_dual_add_f32 v2, v2, v38
	v_fma_f32 v44, 0x3fb8aa3b, v10, -v32
	v_rndne_f32_e32 v45, v32
	v_add_f32_e32 v3, v3, v40
	v_dual_fmac_f32 v48, 0x32a5705f, v12 :: v_dual_add_f32 v19, v19, v42
	v_exp_f32_e32 v2, v2
	v_cvt_i32_f32_e32 v39, v39
	v_fma_f32 v46, 0x3fb8aa3b, v11, -v34
	v_rndne_f32_e32 v47, v34
	v_rndne_f32_e32 v49, v35
	;; [unrolled: 1-line block ×3, first 2 shown]
	v_fmac_f32_e32 v44, 0x32a5705f, v10
	s_delay_alu instid0(VALU_DEP_4)
	v_dual_sub_f32 v32, v32, v45 :: v_dual_sub_f32 v34, v34, v47
	v_exp_f32_e32 v3, v3
	v_exp_f32_e32 v19, v19
	v_cvt_i32_f32_e32 v41, v41
	v_cvt_i32_f32_e32 v43, v43
	v_ldexp_f32 v2, v2, v39
	v_cmp_ngt_f32_e32 vcc_lo, 0xc2ce8ed0, v0
	v_fma_f32 v52, 0x3fb8aa3b, v13, -v37
	v_dual_fmac_f32 v46, 0x32a5705f, v11 :: v_dual_sub_f32 v37, v37, v53
	v_dual_sub_f32 v35, v35, v49 :: v_dual_add_f32 v32, v32, v44
	v_ldexp_f32 v3, v3, v41
	v_ldexp_f32 v19, v19, v43
	v_cndmask_b32_e32 v2, 0, v2, vcc_lo
	v_cmp_ngt_f32_e32 vcc_lo, 0xc2ce8ed0, v9
	v_add_f32_e32 v34, v34, v46
	v_exp_f32_e32 v32, v32
	v_cvt_i32_f32_e32 v45, v45
	v_dual_fmac_f32 v52, 0x32a5705f, v13 :: v_dual_cndmask_b32 v3, 0, v3
	v_cmp_ngt_f32_e32 vcc_lo, 0xc2ce8ed0, v1
	v_dual_fmac_f32 v50, 0x32a5705f, v18 :: v_dual_add_f32 v35, v35, v48
	v_exp_f32_e32 v34, v34
	v_cvt_i32_f32_e32 v47, v47
	v_ldexp_f32 v32, v32, v45
	v_cndmask_b32_e32 v19, 0, v19, vcc_lo
	v_cmp_ngt_f32_e32 vcc_lo, 0xc2ce8ed0, v10
	v_dual_add_f32 v36, v36, v50 :: v_dual_add_f32 v37, v37, v52
	v_exp_f32_e32 v35, v35
	v_cvt_i32_f32_e32 v49, v49
	v_ldexp_f32 v34, v34, v47
	v_cndmask_b32_e32 v32, 0, v32, vcc_lo
	v_cmp_ngt_f32_e32 vcc_lo, 0xc2ce8ed0, v11
	v_exp_f32_e32 v36, v36
	v_cvt_i32_f32_e32 v51, v51
	v_ldexp_f32 v35, v35, v49
	v_exp_f32_e32 v37, v37
	v_cndmask_b32_e32 v34, 0, v34, vcc_lo
	v_cmp_ngt_f32_e32 vcc_lo, 0xc2ce8ed0, v12
	v_cvt_i32_f32_e32 v53, v53
	v_ldexp_f32 v36, v36, v51
	v_cndmask_b32_e32 v35, 0, v35, vcc_lo
	v_cmp_ngt_f32_e32 vcc_lo, 0xc2ce8ed0, v18
	s_delay_alu instid0(VALU_DEP_4) | instskip(NEXT) | instid1(VALU_DEP_4)
	v_ldexp_f32 v37, v37, v53
	v_cndmask_b32_e32 v36, 0, v36, vcc_lo
	v_cmp_ngt_f32_e32 vcc_lo, 0xc2ce8ed0, v13
	s_delay_alu instid0(VALU_DEP_3) | instskip(SKIP_3) | instid1(VALU_DEP_2)
	v_cndmask_b32_e32 v37, 0, v37, vcc_lo
	v_cmp_nlt_f32_e32 vcc_lo, 0x42b17218, v0
	v_cndmask_b32_e32 v0, 0x7f800000, v2, vcc_lo
	v_cmp_nlt_f32_e32 vcc_lo, 0x42b17218, v9
	v_cvt_f16_f32_e32 v9, v0
	v_cndmask_b32_e32 v2, 0x7f800000, v3, vcc_lo
	v_cmp_nlt_f32_e32 vcc_lo, 0x42b17218, v1
	s_delay_alu instid0(VALU_DEP_3) | instskip(SKIP_4) | instid1(VALU_DEP_2)
	v_and_b32_e32 v9, 0xffff, v9
	v_cndmask_b32_e32 v1, 0x7f800000, v19, vcc_lo
	v_cmp_nlt_f32_e32 vcc_lo, 0x42b17218, v10
	v_cndmask_b32_e32 v3, 0x7f800000, v32, vcc_lo
	v_cmp_nlt_f32_e32 vcc_lo, 0x42b17218, v11
	v_pk_fma_f32 v[6:7], v[6:7], v[0:1], v[2:3]
	v_cndmask_b32_e32 v10, 0x7f800000, v34, vcc_lo
	v_cmp_nlt_f32_e32 vcc_lo, 0x42b17218, v12
	v_mul_u32_u24_e32 v3, 0x10001, v9
	s_delay_alu instid0(VALU_DEP_3)
	v_cvt_f16_f32_e32 v19, v10
	v_cndmask_b32_e32 v12, 0x7f800000, v35, vcc_lo
	v_cmp_nlt_f32_e32 vcc_lo, 0x42b17218, v18
	v_cvt_f16_f32_e32 v18, v1
	v_pk_mul_f16 v29, v29, v3
	v_and_b32_e32 v1, 0xffff, v19
	v_pk_mul_f16 v90, v90, v3
	v_cndmask_b32_e32 v11, 0x7f800000, v36, vcc_lo
	v_and_b32_e32 v0, 0xffff, v18
	v_cmp_nlt_f32_e32 vcc_lo, 0x42b17218, v13
	v_mul_u32_u24_e32 v1, 0x10001, v1
	v_pk_mul_f16 v89, v89, v3
	v_cvt_f16_f32_e32 v32, v11
	v_mul_u32_u24_e32 v0, 0x10001, v0
	v_cndmask_b32_e32 v13, 0x7f800000, v37, vcc_lo
	v_pk_mul_f16 v88, v88, v3
	v_pk_mul_f16 v20, v20, v1
	v_and_b32_e32 v2, 0xffff, v32
	v_pk_mul_f16 v24, v24, v0
	v_pk_mul_f16 v87, v87, v0
	;; [unrolled: 1-line block ×4, first 2 shown]
	v_mul_u32_u24_e32 v2, 0x10001, v2
	v_pk_mul_f16 v26, v26, v1
	v_pk_mul_f16 v27, v27, v1
	;; [unrolled: 1-line block ×3, first 2 shown]
	v_pk_fma_f32 v[4:5], v[4:5], v[10:11], v[12:13]
	v_pk_mul_f16 v25, v25, v2
	v_pk_mul_f16 v21, v21, v2
	;; [unrolled: 1-line block ×4, first 2 shown]
	v_mov_b64_e32 v[0:1], v[14:15]
	v_mov_b64_e32 v[2:3], v[16:17]
.LBB58_46:
	s_mov_b32 s3, exec_lo
	v_cmpx_gt_i32_e64 s22, v70
	s_cbranch_execz .LBB58_63
; %bb.47:
	s_load_b32 s0, s[0:1], 0xd4
	v_mov_b32_e32 v10, 1.0
	s_wait_kmcnt 0x0
	s_cmp_lg_u32 s0, 1
	s_cselect_b32 s1, -1, 0
	s_cmp_eq_u32 s0, 1
	s_cselect_b32 s3, -1, 0
	s_and_b32 vcc_lo, exec_lo, s1
	s_cbranch_vccnz .LBB58_49
; %bb.48:
	v_div_scale_f32 v9, null, v6, v6, 1.0
	s_delay_alu instid0(VALU_DEP_1) | instskip(SKIP_1) | instid1(TRANS32_DEP_1)
	v_rcp_f32_e32 v10, v9
	v_nop
	v_fma_f32 v11, -v9, v10, 1.0
	s_delay_alu instid0(VALU_DEP_1) | instskip(SKIP_1) | instid1(VALU_DEP_1)
	v_fmac_f32_e32 v10, v11, v10
	v_div_scale_f32 v11, vcc_lo, 1.0, v6, 1.0
	v_mul_f32_e32 v12, v11, v10
	s_delay_alu instid0(VALU_DEP_1) | instskip(NEXT) | instid1(VALU_DEP_1)
	v_fma_f32 v13, -v9, v12, v11
	v_fmac_f32_e32 v12, v13, v10
	s_delay_alu instid0(VALU_DEP_1) | instskip(NEXT) | instid1(VALU_DEP_1)
	v_fma_f32 v9, -v9, v12, v11
	v_div_fmas_f32 v9, v9, v10, v12
	s_delay_alu instid0(VALU_DEP_1)
	v_div_fixup_f32 v10, v9, v6, 1.0
.LBB58_49:
	v_mad_u32 v9, s2, s22, v70
	v_dual_mov_b32 v19, 0 :: v_dual_lshrrev_b32 v11, 16, v90
	v_lshrrev_b32_e32 v17, 16, v89
	v_cvt_f32_f16_e32 v12, v29
	v_cvt_f32_f16_e32 v14, v90
	v_cvt_f32_f16_e32 v16, v89
	v_cvt_f32_f16_e32 v15, v11
	v_cvt_f32_f16_e32 v34, v88
	v_cvt_f32_f16_e32 v17, v17
	v_cmp_eq_u32_e32 vcc_lo, 0, v71
	v_mad_u32 v8, v9, s23, v8
	v_pk_mul_f32 v[14:15], v[10:11], v[14:15] op_sel_hi:[0,1]
	s_delay_alu instid0(VALU_DEP_4) | instskip(SKIP_1) | instid1(VALU_DEP_3)
	v_pk_mul_f32 v[16:17], v[10:11], v[16:17] op_sel_hi:[0,1]
	s_and_b32 s1, vcc_lo, s1
	v_mad_u32 v9, s0, v8, s29
	v_dual_lshrrev_b32 v8, 16, v29 :: v_dual_lshrrev_b32 v29, 16, v88
	s_delay_alu instid0(VALU_DEP_1) | instskip(NEXT) | instid1(VALU_DEP_2)
	v_cvt_f32_f16_e32 v13, v8
	v_cvt_f32_f16_e32 v35, v29
	s_delay_alu instid0(VALU_DEP_2) | instskip(SKIP_1) | instid1(VALU_DEP_1)
	v_pk_mul_f32 v[12:13], v[10:11], v[12:13] op_sel_hi:[0,1]
	v_lshl_add_u32 v18, v9, 8, v33
	v_lshl_add_u64 v[36:37], v[18:19], 2, s[16:17]
	v_add_nc_u32_e32 v18, 0x80, v18
	s_delay_alu instid0(VALU_DEP_1)
	v_lshl_add_u64 v[38:39], v[18:19], 2, s[16:17]
	v_pk_mul_f32 v[18:19], v[10:11], v[34:35] op_sel_hi:[0,1]
	s_clause 0x1
	global_store_b128 v[36:37], v[12:15], off
	global_store_b128 v[38:39], v[16:19], off
	s_wait_xcnt 0x0
	s_and_saveexec_b32 s2, s1
	s_cbranch_execz .LBB58_51
; %bb.50:
	v_dual_mov_b32 v10, v0 :: v_dual_mov_b32 v11, v6
	global_store_b64 v9, v[10:11], s[18:19] scale_offset
.LBB58_51:
	s_wait_xcnt 0x0
	s_or_b32 exec_lo, exec_lo, s2
	v_cndmask_b32_e64 v8, 0, 1, s3
	v_mov_b32_e32 v0, 1.0
	s_and_not1_b32 vcc_lo, exec_lo, s3
	s_cbranch_vccnz .LBB58_53
; %bb.52:
	v_div_scale_f32 v0, null, v7, v7, 1.0
	s_delay_alu instid0(VALU_DEP_1) | instskip(SKIP_1) | instid1(TRANS32_DEP_1)
	v_rcp_f32_e32 v6, v0
	v_nop
	v_fma_f32 v10, -v0, v6, 1.0
	s_delay_alu instid0(VALU_DEP_1) | instskip(SKIP_1) | instid1(VALU_DEP_1)
	v_fmac_f32_e32 v6, v10, v6
	v_div_scale_f32 v10, vcc_lo, 1.0, v7, 1.0
	v_mul_f32_e32 v11, v10, v6
	s_delay_alu instid0(VALU_DEP_1) | instskip(NEXT) | instid1(VALU_DEP_1)
	v_fma_f32 v12, -v0, v11, v10
	v_fmac_f32_e32 v11, v12, v6
	s_delay_alu instid0(VALU_DEP_1) | instskip(NEXT) | instid1(VALU_DEP_1)
	v_fma_f32 v0, -v0, v11, v10
	v_div_fmas_f32 v0, v0, v6, v11
	s_delay_alu instid0(VALU_DEP_1)
	v_div_fixup_f32 v0, v0, v7, 1.0
.LBB58_53:
	v_dual_add_nc_u32 v9, s0, v9 :: v_dual_mov_b32 v15, 0
	v_dual_lshrrev_b32 v6, 16, v24 :: v_dual_lshrrev_b32 v12, 16, v87
	v_cvt_f32_f16_e32 v10, v24
	s_delay_alu instid0(VALU_DEP_3) | instskip(SKIP_1) | instid1(VALU_DEP_4)
	v_lshl_add_u32 v14, v9, 8, v33
	v_dual_lshrrev_b32 v16, 16, v31 :: v_dual_lshrrev_b32 v24, 16, v30
	v_cvt_f32_f16_e32 v11, v6
	v_cvt_f32_f16_e32 v13, v12
	;; [unrolled: 1-line block ×3, first 2 shown]
	v_lshl_add_u64 v[18:19], v[14:15], 2, s[16:17]
	v_add_nc_u32_e32 v14, 0x80, v14
	v_cvt_f32_f16_e32 v17, v16
	v_cvt_f32_f16_e32 v16, v31
	;; [unrolled: 1-line block ×4, first 2 shown]
	v_pk_mul_f32 v[10:11], v[0:1], v[10:11] op_sel_hi:[0,1]
	v_pk_mul_f32 v[12:13], v[0:1], v[12:13] op_sel_hi:[0,1]
	v_lshl_add_u64 v[34:35], v[14:15], 2, s[16:17]
	v_pk_mul_f32 v[14:15], v[0:1], v[16:17] op_sel_hi:[0,1]
	v_pk_mul_f32 v[16:17], v[0:1], v[30:31] op_sel_hi:[0,1]
	s_clause 0x1
	global_store_b128 v[18:19], v[10:13], off
	global_store_b128 v[34:35], v[14:17], off
	s_wait_xcnt 0x0
	s_and_saveexec_b32 s2, s1
	s_cbranch_execz .LBB58_55
; %bb.54:
	v_mov_b32_e32 v6, v1
	global_store_b64 v9, v[6:7], s[18:19] scale_offset
.LBB58_55:
	s_wait_xcnt 0x0
	s_or_b32 exec_lo, exec_lo, s2
	v_cmp_ne_u32_e32 vcc_lo, 1, v8
	v_mov_b32_e32 v0, 1.0
	s_cbranch_vccnz .LBB58_57
; %bb.56:
	v_div_scale_f32 v0, null, v4, v4, 1.0
	s_delay_alu instid0(VALU_DEP_1) | instskip(SKIP_1) | instid1(TRANS32_DEP_1)
	v_rcp_f32_e32 v1, v0
	v_nop
	v_fma_f32 v6, -v0, v1, 1.0
	s_delay_alu instid0(VALU_DEP_1) | instskip(SKIP_1) | instid1(VALU_DEP_1)
	v_fmac_f32_e32 v1, v6, v1
	v_div_scale_f32 v6, vcc_lo, 1.0, v4, 1.0
	v_mul_f32_e32 v7, v6, v1
	s_delay_alu instid0(VALU_DEP_1) | instskip(NEXT) | instid1(VALU_DEP_1)
	v_fma_f32 v10, -v0, v7, v6
	v_fmac_f32_e32 v7, v10, v1
	s_delay_alu instid0(VALU_DEP_1) | instskip(NEXT) | instid1(VALU_DEP_1)
	v_fma_f32 v0, -v0, v7, v6
	v_div_fmas_f32 v0, v0, v1, v7
	s_delay_alu instid0(VALU_DEP_1)
	v_div_fixup_f32 v0, v0, v4, 1.0
.LBB58_57:
	v_dual_add_nc_u32 v1, s0, v9 :: v_dual_mov_b32 v7, 0
	v_dual_lshrrev_b32 v9, 16, v20 :: v_dual_lshrrev_b32 v12, 16, v26
	v_dual_lshrrev_b32 v14, 16, v27 :: v_dual_lshrrev_b32 v16, 16, v28
	s_delay_alu instid0(VALU_DEP_3) | instskip(SKIP_1) | instid1(VALU_DEP_4)
	v_lshl_add_u32 v6, v1, 8, v33
	v_cvt_f32_f16_e32 v10, v20
	v_cvt_f32_f16_e32 v11, v9
	;; [unrolled: 1-line block ×4, first 2 shown]
	v_lshl_add_u64 v[18:19], v[6:7], 2, s[16:17]
	v_add_nc_u32_e32 v6, 0x80, v6
	v_cvt_f32_f16_e32 v15, v14
	v_cvt_f32_f16_e32 v14, v27
	;; [unrolled: 1-line block ×4, first 2 shown]
	v_pk_mul_f32 v[10:11], v[0:1], v[10:11] op_sel_hi:[0,1]
	v_pk_mul_f32 v[12:13], v[0:1], v[12:13] op_sel_hi:[0,1]
	v_lshl_add_u64 v[6:7], v[6:7], 2, s[16:17]
	v_pk_mul_f32 v[14:15], v[0:1], v[14:15] op_sel_hi:[0,1]
	v_pk_mul_f32 v[16:17], v[0:1], v[16:17] op_sel_hi:[0,1]
	s_clause 0x1
	global_store_b128 v[18:19], v[10:13], off
	global_store_b128 v[6:7], v[14:17], off
	s_wait_xcnt 0x0
	s_and_saveexec_b32 s2, s1
	s_cbranch_execz .LBB58_59
; %bb.58:
	v_dual_mov_b32 v6, v2 :: v_dual_mov_b32 v7, v4
	global_store_b64 v1, v[6:7], s[18:19] scale_offset
.LBB58_59:
	s_wait_xcnt 0x0
	s_or_b32 exec_lo, exec_lo, s2
	v_cmp_ne_u32_e32 vcc_lo, 1, v8
	v_mov_b32_e32 v0, 1.0
	s_cbranch_vccnz .LBB58_61
; %bb.60:
	v_div_scale_f32 v0, null, v5, v5, 1.0
	s_delay_alu instid0(VALU_DEP_1) | instskip(SKIP_1) | instid1(TRANS32_DEP_1)
	v_rcp_f32_e32 v2, v0
	v_nop
	v_fma_f32 v4, -v0, v2, 1.0
	s_delay_alu instid0(VALU_DEP_1) | instskip(SKIP_1) | instid1(VALU_DEP_1)
	v_fmac_f32_e32 v2, v4, v2
	v_div_scale_f32 v4, vcc_lo, 1.0, v5, 1.0
	v_mul_f32_e32 v6, v4, v2
	s_delay_alu instid0(VALU_DEP_1) | instskip(NEXT) | instid1(VALU_DEP_1)
	v_fma_f32 v7, -v0, v6, v4
	v_fmac_f32_e32 v6, v7, v2
	s_delay_alu instid0(VALU_DEP_1) | instskip(NEXT) | instid1(VALU_DEP_1)
	v_fma_f32 v0, -v0, v6, v4
	v_div_fmas_f32 v0, v0, v2, v6
	s_delay_alu instid0(VALU_DEP_1)
	v_div_fixup_f32 v0, v0, v5, 1.0
.LBB58_61:
	v_dual_add_nc_u32 v1, s0, v1 :: v_dual_mov_b32 v11, 0
	v_dual_lshrrev_b32 v2, 16, v25 :: v_dual_lshrrev_b32 v12, 16, v22
	v_dual_lshrrev_b32 v4, 16, v21 :: v_dual_lshrrev_b32 v16, 16, v23
	s_delay_alu instid0(VALU_DEP_3) | instskip(SKIP_1) | instid1(VALU_DEP_4)
	v_lshl_add_u32 v10, v1, 8, v33
	v_cvt_f32_f16_e32 v6, v25
	v_cvt_f32_f16_e32 v7, v2
	s_delay_alu instid0(VALU_DEP_4)
	v_cvt_f32_f16_e32 v9, v4
	v_cvt_f32_f16_e32 v8, v21
	v_lshl_add_u64 v[14:15], v[10:11], 2, s[16:17]
	v_add_nc_u32_e32 v10, 0x80, v10
	v_cvt_f32_f16_e32 v13, v12
	v_cvt_f32_f16_e32 v12, v22
	v_cvt_f32_f16_e32 v17, v16
	v_cvt_f32_f16_e32 v16, v23
	v_pk_mul_f32 v[6:7], v[0:1], v[6:7] op_sel_hi:[0,1]
	v_pk_mul_f32 v[8:9], v[0:1], v[8:9] op_sel_hi:[0,1]
	v_lshl_add_u64 v[18:19], v[10:11], 2, s[16:17]
	v_pk_mul_f32 v[10:11], v[0:1], v[12:13] op_sel_hi:[0,1]
	v_pk_mul_f32 v[12:13], v[0:1], v[16:17] op_sel_hi:[0,1]
	s_clause 0x1
	global_store_b128 v[14:15], v[6:9], off
	global_store_b128 v[18:19], v[10:13], off
	s_wait_xcnt 0x0
	s_and_b32 exec_lo, exec_lo, s1
	s_cbranch_execz .LBB58_63
; %bb.62:
	v_mov_b32_e32 v4, v3
	global_store_b64 v1, v[4:5], s[18:19] scale_offset
.LBB58_63:
	s_sendmsg sendmsg(MSG_DEALLOC_VGPRS)
	s_endpgm
	.section	.rodata,"a",@progbits
	.p2align	6, 0x0
	.amdhsa_kernel _ZL15flash_attn_tileILi256ELi256ELi4ELi8ELb1EEvPKcS1_S1_S1_S1_PKiPfP15HIP_vector_typeIfLj2EEffffjfiS5_IjLj3EEiiiiiiiiiiiliiliiiiil
		.amdhsa_group_segment_fixed_size 37888
		.amdhsa_private_segment_fixed_size 0
		.amdhsa_kernarg_size 464
		.amdhsa_user_sgpr_count 2
		.amdhsa_user_sgpr_dispatch_ptr 0
		.amdhsa_user_sgpr_queue_ptr 0
		.amdhsa_user_sgpr_kernarg_segment_ptr 1
		.amdhsa_user_sgpr_dispatch_id 0
		.amdhsa_user_sgpr_kernarg_preload_length 0
		.amdhsa_user_sgpr_kernarg_preload_offset 0
		.amdhsa_user_sgpr_private_segment_size 0
		.amdhsa_wavefront_size32 1
		.amdhsa_uses_dynamic_stack 0
		.amdhsa_enable_private_segment 0
		.amdhsa_system_sgpr_workgroup_id_x 1
		.amdhsa_system_sgpr_workgroup_id_y 1
		.amdhsa_system_sgpr_workgroup_id_z 1
		.amdhsa_system_sgpr_workgroup_info 0
		.amdhsa_system_vgpr_workitem_id 1
		.amdhsa_next_free_vgpr 167
		.amdhsa_next_free_sgpr 41
		.amdhsa_named_barrier_count 0
		.amdhsa_reserve_vcc 1
		.amdhsa_float_round_mode_32 0
		.amdhsa_float_round_mode_16_64 0
		.amdhsa_float_denorm_mode_32 3
		.amdhsa_float_denorm_mode_16_64 3
		.amdhsa_fp16_overflow 0
		.amdhsa_memory_ordered 1
		.amdhsa_forward_progress 1
		.amdhsa_inst_pref_size 201
		.amdhsa_round_robin_scheduling 0
		.amdhsa_exception_fp_ieee_invalid_op 0
		.amdhsa_exception_fp_denorm_src 0
		.amdhsa_exception_fp_ieee_div_zero 0
		.amdhsa_exception_fp_ieee_overflow 0
		.amdhsa_exception_fp_ieee_underflow 0
		.amdhsa_exception_fp_ieee_inexact 0
		.amdhsa_exception_int_div_zero 0
	.end_amdhsa_kernel
	.section	.text._ZL15flash_attn_tileILi256ELi256ELi4ELi8ELb1EEvPKcS1_S1_S1_S1_PKiPfP15HIP_vector_typeIfLj2EEffffjfiS5_IjLj3EEiiiiiiiiiiiliiliiiiil,"axG",@progbits,_ZL15flash_attn_tileILi256ELi256ELi4ELi8ELb1EEvPKcS1_S1_S1_S1_PKiPfP15HIP_vector_typeIfLj2EEffffjfiS5_IjLj3EEiiiiiiiiiiiliiliiiiil,comdat
.Lfunc_end58:
	.size	_ZL15flash_attn_tileILi256ELi256ELi4ELi8ELb1EEvPKcS1_S1_S1_S1_PKiPfP15HIP_vector_typeIfLj2EEffffjfiS5_IjLj3EEiiiiiiiiiiiliiliiiiil, .Lfunc_end58-_ZL15flash_attn_tileILi256ELi256ELi4ELi8ELb1EEvPKcS1_S1_S1_S1_PKiPfP15HIP_vector_typeIfLj2EEffffjfiS5_IjLj3EEiiiiiiiiiiiliiliiiiil
                                        ; -- End function
	.set _ZL15flash_attn_tileILi256ELi256ELi4ELi8ELb1EEvPKcS1_S1_S1_S1_PKiPfP15HIP_vector_typeIfLj2EEffffjfiS5_IjLj3EEiiiiiiiiiiiliiliiiiil.num_vgpr, 167
	.set _ZL15flash_attn_tileILi256ELi256ELi4ELi8ELb1EEvPKcS1_S1_S1_S1_PKiPfP15HIP_vector_typeIfLj2EEffffjfiS5_IjLj3EEiiiiiiiiiiiliiliiiiil.num_agpr, 0
	.set _ZL15flash_attn_tileILi256ELi256ELi4ELi8ELb1EEvPKcS1_S1_S1_S1_PKiPfP15HIP_vector_typeIfLj2EEffffjfiS5_IjLj3EEiiiiiiiiiiiliiliiiiil.numbered_sgpr, 41
	.set _ZL15flash_attn_tileILi256ELi256ELi4ELi8ELb1EEvPKcS1_S1_S1_S1_PKiPfP15HIP_vector_typeIfLj2EEffffjfiS5_IjLj3EEiiiiiiiiiiiliiliiiiil.num_named_barrier, 0
	.set _ZL15flash_attn_tileILi256ELi256ELi4ELi8ELb1EEvPKcS1_S1_S1_S1_PKiPfP15HIP_vector_typeIfLj2EEffffjfiS5_IjLj3EEiiiiiiiiiiiliiliiiiil.private_seg_size, 0
	.set _ZL15flash_attn_tileILi256ELi256ELi4ELi8ELb1EEvPKcS1_S1_S1_S1_PKiPfP15HIP_vector_typeIfLj2EEffffjfiS5_IjLj3EEiiiiiiiiiiiliiliiiiil.uses_vcc, 1
	.set _ZL15flash_attn_tileILi256ELi256ELi4ELi8ELb1EEvPKcS1_S1_S1_S1_PKiPfP15HIP_vector_typeIfLj2EEffffjfiS5_IjLj3EEiiiiiiiiiiiliiliiiiil.uses_flat_scratch, 0
	.set _ZL15flash_attn_tileILi256ELi256ELi4ELi8ELb1EEvPKcS1_S1_S1_S1_PKiPfP15HIP_vector_typeIfLj2EEffffjfiS5_IjLj3EEiiiiiiiiiiiliiliiiiil.has_dyn_sized_stack, 0
	.set _ZL15flash_attn_tileILi256ELi256ELi4ELi8ELb1EEvPKcS1_S1_S1_S1_PKiPfP15HIP_vector_typeIfLj2EEffffjfiS5_IjLj3EEiiiiiiiiiiiliiliiiiil.has_recursion, 0
	.set _ZL15flash_attn_tileILi256ELi256ELi4ELi8ELb1EEvPKcS1_S1_S1_S1_PKiPfP15HIP_vector_typeIfLj2EEffffjfiS5_IjLj3EEiiiiiiiiiiiliiliiiiil.has_indirect_call, 0
	.section	.AMDGPU.csdata,"",@progbits
; Kernel info:
; codeLenInByte = 25608
; TotalNumSgprs: 43
; NumVgprs: 167
; ScratchSize: 0
; MemoryBound: 0
; FloatMode: 240
; IeeeMode: 1
; LDSByteSize: 37888 bytes/workgroup (compile time only)
; SGPRBlocks: 0
; VGPRBlocks: 10
; NumSGPRsForWavesPerEU: 43
; NumVGPRsForWavesPerEU: 167
; NamedBarCnt: 0
; Occupancy: 5
; WaveLimiterHint : 1
; COMPUTE_PGM_RSRC2:SCRATCH_EN: 0
; COMPUTE_PGM_RSRC2:USER_SGPR: 2
; COMPUTE_PGM_RSRC2:TRAP_HANDLER: 0
; COMPUTE_PGM_RSRC2:TGID_X_EN: 1
; COMPUTE_PGM_RSRC2:TGID_Y_EN: 1
; COMPUTE_PGM_RSRC2:TGID_Z_EN: 1
; COMPUTE_PGM_RSRC2:TIDIG_COMP_CNT: 1
	.section	.text._ZL15flash_attn_tileILi256ELi256ELi2ELi8ELb1EEvPKcS1_S1_S1_S1_PKiPfP15HIP_vector_typeIfLj2EEffffjfiS5_IjLj3EEiiiiiiiiiiiliiliiiiil,"axG",@progbits,_ZL15flash_attn_tileILi256ELi256ELi2ELi8ELb1EEvPKcS1_S1_S1_S1_PKiPfP15HIP_vector_typeIfLj2EEffffjfiS5_IjLj3EEiiiiiiiiiiiliiliiiiil,comdat
	.globl	_ZL15flash_attn_tileILi256ELi256ELi2ELi8ELb1EEvPKcS1_S1_S1_S1_PKiPfP15HIP_vector_typeIfLj2EEffffjfiS5_IjLj3EEiiiiiiiiiiiliiliiiiil ; -- Begin function _ZL15flash_attn_tileILi256ELi256ELi2ELi8ELb1EEvPKcS1_S1_S1_S1_PKiPfP15HIP_vector_typeIfLj2EEffffjfiS5_IjLj3EEiiiiiiiiiiiliiliiiiil
	.p2align	8
	.type	_ZL15flash_attn_tileILi256ELi256ELi2ELi8ELb1EEvPKcS1_S1_S1_S1_PKiPfP15HIP_vector_typeIfLj2EEffffjfiS5_IjLj3EEiiiiiiiiiiiliiliiiiil,@function
_ZL15flash_attn_tileILi256ELi256ELi2ELi8ELb1EEvPKcS1_S1_S1_S1_PKiPfP15HIP_vector_typeIfLj2EEffffjfiS5_IjLj3EEiiiiiiiiiiiliiliiiiil: ; @_ZL15flash_attn_tileILi256ELi256ELi2ELi8ELb1EEvPKcS1_S1_S1_S1_PKiPfP15HIP_vector_typeIfLj2EEffffjfiS5_IjLj3EEiiiiiiiiiiiliiliiiiil
; %bb.0:
	s_clause 0x1
	s_load_b128 s[20:23], s[0:1], 0x5c
	s_load_b64 s[28:29], s[0:1], 0x80
	s_bfe_u32 s5, ttmp6, 0x40014
	s_lshr_b32 s4, ttmp7, 16
	s_add_co_i32 s5, s5, 1
	s_bfe_u32 s6, ttmp6, 0x40008
	s_mul_i32 s5, s4, s5
	s_getreg_b32 s27, hwreg(HW_REG_IB_STS2, 6, 4)
	s_add_co_i32 s6, s6, s5
	s_load_b64 s[36:37], s[0:1], 0xb8
	s_mov_b32 s35, 0
	s_mov_b64 s[30:31], 0
	s_wait_kmcnt 0x0
	s_ashr_i32 s2, s23, 31
	s_delay_alu instid0(SALU_CYCLE_1) | instskip(NEXT) | instid1(SALU_CYCLE_1)
	s_lshr_b32 s2, s2, 29
	s_add_co_i32 s2, s23, s2
	s_delay_alu instid0(SALU_CYCLE_1) | instskip(NEXT) | instid1(SALU_CYCLE_1)
	s_ashr_i32 s2, s2, 3
	s_cvt_f32_u32 s3, s2
	s_sub_co_i32 s7, 0, s2
	s_delay_alu instid0(SALU_CYCLE_2) | instskip(SKIP_1) | instid1(TRANS32_DEP_1)
	v_rcp_iflag_f32_e32 v1, s3
	v_nop
	v_readfirstlane_b32 s3, v1
	s_mul_f32 s3, s3, 0x4f7ffffe
	s_delay_alu instid0(SALU_CYCLE_3) | instskip(NEXT) | instid1(SALU_CYCLE_3)
	s_cvt_u32_f32 s3, s3
	s_mul_i32 s7, s7, s3
	s_delay_alu instid0(SALU_CYCLE_1) | instskip(NEXT) | instid1(SALU_CYCLE_1)
	s_mul_hi_u32 s7, s3, s7
	s_add_co_i32 s3, s3, s7
	s_cmp_eq_u32 s27, 0
	s_cselect_b32 s4, s4, s6
	s_delay_alu instid0(SALU_CYCLE_1) | instskip(NEXT) | instid1(SALU_CYCLE_1)
	s_mul_hi_u32 s3, s4, s3
	s_mul_i32 s5, s3, s2
	s_add_co_i32 s6, s3, 1
	s_sub_co_i32 s5, s4, s5
	s_delay_alu instid0(SALU_CYCLE_1)
	s_sub_co_i32 s7, s5, s2
	s_cmp_ge_u32 s5, s2
	s_cselect_b32 s3, s6, s3
	s_cselect_b32 s5, s7, s5
	s_add_co_i32 s6, s3, 1
	s_cmp_ge_u32 s5, s2
	s_cselect_b32 s2, s6, s3
	s_abs_i32 s3, s29
	s_lshl_b32 s4, s4, 3
	s_cvt_f32_u32 s5, s3
	s_sub_co_i32 s6, 0, s3
	s_mul_i32 s7, s2, s23
	s_abs_i32 s8, s23
	v_rcp_iflag_f32_e32 v1, s5
	s_sub_co_i32 s33, s4, s7
	v_nop
	s_delay_alu instid0(TRANS32_DEP_1) | instskip(SKIP_1) | instid1(SALU_CYCLE_3)
	v_readfirstlane_b32 s5, v1
	s_mul_f32 s5, s5, 0x4f7ffffe
	s_cvt_u32_f32 s5, s5
	s_delay_alu instid0(SALU_CYCLE_3) | instskip(NEXT) | instid1(SALU_CYCLE_1)
	s_mul_i32 s6, s6, s5
	s_mul_hi_u32 s6, s5, s6
	s_delay_alu instid0(SALU_CYCLE_1) | instskip(NEXT) | instid1(SALU_CYCLE_1)
	s_add_co_i32 s5, s5, s6
	s_mul_hi_u32 s4, s8, s5
	s_xor_b32 s5, s23, s29
	s_mul_i32 s6, s4, s3
	s_ashr_i32 s24, s5, 31
	s_sub_co_i32 s5, s8, s6
	s_add_co_i32 s6, s4, 1
	s_sub_co_i32 s7, s5, s3
	s_cmp_ge_u32 s5, s3
	s_cselect_b32 s4, s6, s4
	s_cselect_b32 s5, s7, s5
	s_add_co_i32 s6, s4, 1
	s_cmp_ge_u32 s5, s3
	s_cselect_b32 s3, s6, s4
	s_load_b512 s[4:19], s[0:1], 0x0
	s_xor_b32 s3, s3, s24
	s_delay_alu instid0(SALU_CYCLE_1) | instskip(NEXT) | instid1(SALU_CYCLE_1)
	s_sub_co_i32 s3, s3, s24
	s_abs_i32 s38, s3
	s_delay_alu instid0(SALU_CYCLE_1) | instskip(NEXT) | instid1(SALU_CYCLE_3)
	s_cvt_f32_u32 s24, s38
	v_rcp_iflag_f32_e32 v1, s24
	v_nop
	s_delay_alu instid0(TRANS32_DEP_1)
	v_readfirstlane_b32 s34, v1
	s_wait_kmcnt 0x0
	s_cmp_eq_u64 s[10:11], 0
	s_cbranch_scc1 .LBB59_2
; %bb.1:
	s_abs_i32 s26, s36
	s_abs_i32 s29, s2
	s_cvt_f32_u32 s24, s26
	s_sub_co_i32 s25, 0, s26
	s_delay_alu instid0(SALU_CYCLE_2) | instskip(SKIP_1) | instid1(TRANS32_DEP_1)
	v_rcp_iflag_f32_e32 v1, s24
	v_nop
	v_readfirstlane_b32 s24, v1
	s_mul_f32 s24, s24, 0x4f7ffffe
	s_delay_alu instid0(SALU_CYCLE_3) | instskip(NEXT) | instid1(SALU_CYCLE_3)
	s_cvt_u32_f32 s24, s24
	s_mul_i32 s25, s25, s24
	s_delay_alu instid0(SALU_CYCLE_1) | instskip(NEXT) | instid1(SALU_CYCLE_1)
	s_mul_hi_u32 s25, s24, s25
	s_add_co_i32 s24, s24, s25
	s_delay_alu instid0(SALU_CYCLE_1) | instskip(SKIP_2) | instid1(SALU_CYCLE_1)
	s_mul_hi_u32 s30, s29, s24
	s_load_b64 s[24:25], s[0:1], 0xc8
	s_mul_i32 s30, s30, s26
	s_sub_co_i32 s29, s29, s30
	s_ashr_i32 s30, s2, 31
	s_sub_co_i32 s31, s29, s26
	s_cmp_ge_u32 s29, s26
	s_cselect_b32 s29, s31, s29
	s_delay_alu instid0(SALU_CYCLE_1) | instskip(SKIP_2) | instid1(SALU_CYCLE_1)
	s_sub_co_i32 s31, s29, s26
	s_cmp_ge_u32 s29, s26
	s_cselect_b32 s26, s31, s29
	s_xor_b32 s26, s26, s30
	s_delay_alu instid0(SALU_CYCLE_1) | instskip(NEXT) | instid1(SALU_CYCLE_1)
	s_sub_co_i32 s30, s26, s30
	s_ashr_i32 s31, s30, 31
	s_wait_kmcnt 0x0
	s_mul_u64 s[24:25], s[24:25], s[30:31]
	s_delay_alu instid0(SALU_CYCLE_1)
	s_add_nc_u64 s[30:31], s[10:11], s[24:25]
.LBB59_2:
	s_bfe_u32 s10, ttmp6, 0x4000c
	v_dual_lshrrev_b32 v1, 10, v0 :: v_dual_mov_b32 v3, 0
	s_add_co_i32 s10, s10, 1
	s_and_b32 s11, ttmp6, 15
	s_mul_i32 s10, ttmp9, s10
	s_delay_alu instid0(VALU_DEP_1)
	v_bfe_u32 v1, v1, 2, 8
	s_add_co_i32 s11, s11, s10
	s_cmp_eq_u32 s27, 0
	s_load_b96 s[24:26], s[0:1], 0x70
	s_cselect_b32 s10, ttmp9, s11
	v_mov_b32_e32 v77, v3
	v_lshl_add_u32 v100, s10, 1, v1
	s_delay_alu instid0(VALU_DEP_1) | instskip(NEXT) | instid1(VALU_DEP_1)
	v_mul_hi_u32 v1, s20, v100
	v_add_nc_u32_e32 v1, v100, v1
	s_wait_kmcnt 0x0
	s_mul_i32 s20, s33, s25
	s_ashr_i32 s41, s25, 31
	s_mov_b32 s40, s25
	s_ashr_i32 s25, s24, 31
	v_lshrrev_b32_e32 v1, s21, v1
	s_lshr_b64 s[24:25], s[24:25], 2
	s_ashr_i32 s21, s20, 31
	s_delay_alu instid0(VALU_DEP_1) | instskip(NEXT) | instid1(VALU_DEP_1)
	v_mul_lo_u32 v1, v1, s22
	v_sub_nc_u32_e32 v2, v100, v1
	v_bfe_u32 v1, v0, 10, 10
	s_delay_alu instid0(VALU_DEP_1) | instskip(NEXT) | instid1(VALU_DEP_3)
	v_lshlrev_b32_e32 v24, 1, v1
	v_mul_u64_e32 v[4:5], s[24:25], v[2:3]
	s_lshr_b64 s[24:25], s[40:41], 2
	s_delay_alu instid0(VALU_DEP_2) | instskip(SKIP_1) | instid1(VALU_DEP_2)
	v_and_b32_e32 v76, 6, v24
	v_bitop3_b32 v8, v24, 7, 1 bitop3:0xc8
	v_mul_u64_e32 v[6:7], s[24:25], v[76:77]
	v_and_b32_e32 v77, 0x3ff, v0
	v_dual_mov_b32 v9, v3 :: v_dual_mov_b32 v11, v3
	v_lshlrev_b32_e32 v0, 10, v1
	s_delay_alu instid0(VALU_DEP_3) | instskip(NEXT) | instid1(VALU_DEP_3)
	v_lshlrev_b32_e32 v10, 4, v77
	v_mul_u64_e32 v[8:9], s[24:25], v[8:9]
	s_mul_i32 s24, s2, s26
	v_lshlrev_b32_e32 v102, 3, v77
	s_ashr_i32 s25, s24, 31
	s_cmp_eq_u64 s[14:15], 0
	s_add_nc_u64 s[4:5], s[4:5], s[24:25]
	s_delay_alu instid0(SALU_CYCLE_1) | instskip(SKIP_3) | instid1(VALU_DEP_1)
	s_add_nc_u64 s[4:5], s[4:5], s[20:21]
	v_add_nc_u32_e32 v3, 0x4200, v102
	v_lshl_add_u64 v[4:5], v[4:5], 2, s[4:5]
	s_load_b32 s4, s[0:1], 0x40
	v_add_nc_u64_e32 v[10:11], v[4:5], v[10:11]
	s_delay_alu instid0(VALU_DEP_1)
	v_lshl_add_u64 v[20:21], v[6:7], 2, v[10:11]
	v_lshl_add_u64 v[22:23], v[8:9], 2, v[10:11]
	s_clause 0x3
	global_load_b128 v[4:7], v[20:21], off
	global_load_b128 v[8:11], v[20:21], off offset:512
	global_load_b128 v[12:15], v[22:23], off
	global_load_b128 v[16:19], v[22:23], off offset:512
	s_wait_xcnt 0x2
	v_or_b32_e32 v20, 1, v24
	s_wait_loadcnt 0x3
	s_wait_kmcnt 0x0
	v_fma_mixlo_f16 v4, s4, v4, 0
	v_fma_mixlo_f16 v5, s4, v5, 0
	;; [unrolled: 1-line block ×4, first 2 shown]
	s_wait_loadcnt 0x2
	v_fma_mixlo_f16 v8, s4, v8, 0
	v_fma_mixlo_f16 v9, s4, v9, 0
	;; [unrolled: 1-line block ×4, first 2 shown]
	s_wait_loadcnt 0x1
	v_fma_mixlo_f16 v12, s4, v12, 0
	v_fma_mixlo_f16 v13, s4, v13, 0
	;; [unrolled: 1-line block ×3, first 2 shown]
	s_wait_loadcnt 0x0
	v_fma_mixlo_f16 v16, s4, v16, 0
	v_fma_mixlo_f16 v17, s4, v17, 0
	v_dual_add_nc_u32 v21, v3, v0 :: v_dual_lshlrev_b32 v5, 16, v5
	v_fma_mixlo_f16 v19, s4, v19, 0
	v_and_b32_e32 v4, 0xffff, v4
	v_dual_lshlrev_b32 v7, 16, v7 :: v_dual_lshlrev_b32 v9, 16, v9
	v_and_b32_e32 v6, 0xffff, v6
	v_and_b32_e32 v8, 0xffff, v8
	v_fma_mixlo_f16 v14, s4, v14, 0
	v_fma_mixlo_f16 v18, s4, v18, 0
	v_dual_lshlrev_b32 v11, 16, v11 :: v_dual_lshlrev_b32 v13, 16, v13
	v_and_b32_e32 v10, 0xffff, v10
	v_and_b32_e32 v12, 0xffff, v12
	v_dual_lshlrev_b32 v15, 16, v15 :: v_dual_lshlrev_b32 v17, 16, v17
	v_and_b32_e32 v16, 0xffff, v16
	v_dual_lshlrev_b32 v19, 16, v19 :: v_dual_bitop2_b32 v4, v5, v4 bitop3:0x54
	v_or3_b32 v5, v7, v6, 0
	v_or_b32_e32 v6, v9, v8
	v_and_b32_e32 v14, 0xffff, v14
	v_and_b32_e32 v18, 0xffff, v18
	v_or3_b32 v7, v11, v10, 0
	v_or_b32_e32 v8, v13, v12
	v_or_b32_e32 v10, v17, v16
	v_or3_b32 v4, 0, 0, v4
	v_or3_b32 v6, 0, 0, v6
	v_lshl_add_u32 v3, v20, 9, v3
	v_or3_b32 v9, v15, v14, 0
	v_or3_b32 v11, v19, v18, 0
	;; [unrolled: 1-line block ×4, first 2 shown]
	ds_store_2addr_b64 v21, v[4:5], v[6:7] offset1:32
	ds_store_2addr_b64 v3, v[8:9], v[10:11] offset1:32
	s_wait_dscnt 0x0
	s_barrier_signal -1
	s_barrier_wait -1
	s_cbranch_scc1 .LBB59_4
; %bb.3:
	s_load_b32 s4, s[0:1], 0xd0
	s_wait_kmcnt 0x0
	s_mul_i32 s4, s4, s2
	s_delay_alu instid0(SALU_CYCLE_1)
	s_add_co_i32 s4, s4, s10
	s_load_b32 s28, s[14:15], s4 offset:0x0 scale_offset
.LBB59_4:
	s_wait_xcnt 0x0
	s_bfe_u32 s4, ttmp6, 0x40010
	s_and_b32 s5, ttmp7, 0xffff
	s_add_co_i32 s4, s4, 1
	s_bfe_u32 s10, ttmp6, 0x40004
	s_mul_i32 s4, s5, s4
	v_lshlrev_b32_e32 v101, 2, v77
	s_add_co_i32 s10, s10, s4
	s_cmp_eq_u32 s27, 0
	v_mbcnt_lo_u32_b32 v103, -1, 0
	s_cselect_b32 s29, s5, s10
	s_mov_b32 s5, 0
	s_lshl_b32 s4, s29, 5
	s_wait_kmcnt 0x0
	s_cmp_lt_i32 s4, s28
	s_cbranch_scc1 .LBB59_7
; %bb.5:
	v_mbcnt_lo_u32_b32 v3, -1, 0
	s_delay_alu instid0(VALU_DEP_1)
	v_dual_mov_b32 v104, 32 :: v_dual_bitop2_b32 v115, 16, v3 bitop3:0x14
	v_xor_b32_e32 v111, 8, v3
	v_xor_b32_e32 v112, 4, v3
	;; [unrolled: 1-line block ×4, first 2 shown]
	s_and_not1_b32 vcc_lo, exec_lo, s5
	s_cbranch_vccz .LBB59_8
; %bb.6:
	v_dual_mov_b32 v83, 0 :: v_dual_mov_b32 v21, 0
	v_dual_mov_b32 v99, 0xfeffffff :: v_dual_mov_b32 v26, 0
	s_delay_alu instid0(VALU_DEP_2) | instskip(NEXT) | instid1(VALU_DEP_2)
	v_dual_mov_b32 v25, 0 :: v_dual_mov_b32 v82, v83
	v_dual_mov_b32 v27, 0 :: v_dual_mov_b32 v98, v99
	;; [unrolled: 1-line block ×4, first 2 shown]
	s_branch .LBB59_20
.LBB59_7:
                                        ; implicit-def: $vgpr3
                                        ; implicit-def: $vgpr104
                                        ; implicit-def: $vgpr115
                                        ; implicit-def: $vgpr111
                                        ; implicit-def: $vgpr112
                                        ; implicit-def: $vgpr113
                                        ; implicit-def: $vgpr114
.LBB59_8:
	s_clause 0x1
	s_load_b128 s[24:27], s[0:1], 0x98
	s_load_b64 s[14:15], s[0:1], 0x8c
	s_mul_f32 s5, s34, 0x4f7ffffe
	s_sub_co_i32 s10, 0, s38
	s_load_b64 s[20:21], s[0:1], 0xa8
	s_ashr_i32 s39, s3, 31
	s_cvt_u32_f32 s5, s5
	s_abs_i32 s34, s33
	s_mov_b32 s11, s35
	s_ashr_i32 s36, s33, 31
	s_mul_i32 s10, s10, s5
	s_ashr_i32 s37, s37, 1
	s_mul_hi_u32 s3, s5, s10
	s_xor_b32 s36, s36, s39
	s_add_co_i32 s10, s5, s3
	s_ashr_i32 s3, s2, 31
	s_mul_u64 s[10:11], s[34:35], s[10:11]
	s_load_b32 s35, s[0:1], 0x54
	s_mul_i32 s5, s11, s38
	v_mad_u32 v109, v2, s37, v77
	s_sub_co_i32 s5, s34, s5
	s_wait_kmcnt 0x0
	s_ashr_i32 s14, s14, 2
	s_ashr_i32 s10, s26, 2
	v_mul_lo_u32 v78, s14, v1
	s_add_co_i32 s26, s11, 1
	s_sub_co_i32 s34, s5, s38
	s_cmp_ge_u32 s5, s38
	s_mul_u64 s[24:25], s[24:25], s[2:3]
	s_cselect_b32 s11, s26, s11
	s_cselect_b32 s5, s34, s5
	s_add_co_i32 s26, s11, 1
	s_cmp_ge_u32 s5, s38
	s_mul_u64 s[20:21], s[20:21], s[2:3]
	s_cselect_b32 s5, s26, s11
	s_lshl_b32 s3, s14, 3
	v_mul_lo_u32 v84, s10, v1
	v_dual_add_nc_u32 v80, s3, v78 :: v_dual_lshlrev_b32 v86, 2, v101
	s_xor_b32 s5, s5, s36
	v_dual_ashrrev_i32 v79, 31, v78 :: v_dual_mov_b32 v87, 0
	s_delay_alu instid0(VALU_DEP_2)
	v_add_nc_u32_e32 v88, s3, v80
	s_sub_co_i32 s5, s5, s36
	s_add_nc_u64 s[6:7], s[6:7], s[24:25]
	s_mul_i32 s24, s5, s15
	s_add_nc_u64 s[8:9], s[8:9], s[20:21]
	v_dual_add_nc_u32 v90, s3, v88 :: v_dual_ashrrev_i32 v89, 31, v88
	s_lshl_b32 s3, s10, 3
	s_delay_alu instid0(SALU_CYCLE_1) | instskip(NEXT) | instid1(VALU_DEP_2)
	v_dual_ashrrev_i32 v85, 31, v84 :: v_dual_add_nc_u32 v92, s3, v84
	v_ashrrev_i32_e32 v91, 31, v90
	s_mul_i32 s20, s5, s27
	v_mad_u32_u24 v105, 0x210, v1, v86
	v_mul_u32_u24_e32 v106, 0x210, v77
	v_dual_add_nc_u32 v94, s3, v92 :: v_dual_ashrrev_i32 v93, 31, v92
	v_ashrrev_i32_e32 v81, 31, v80
	v_dual_mov_b32 v104, 32 :: v_dual_add_nc_u32 v107, 0x4200, v0
	s_delay_alu instid0(VALU_DEP_3)
	v_add_nc_u32_e32 v96, s3, v94
	v_lshl_add_u32 v108, v1, 9, v86
	v_lshl_add_u32 v110, v1, 7, 0x6200
	v_ashrrev_i32_e32 v95, 31, v94
	v_dual_mov_b32 v17, 0xfeffffff :: v_dual_mov_b32 v22, v87
	v_dual_ashrrev_i32 v97, 31, v96 :: v_dual_mov_b32 v23, v87
	v_dual_mov_b32 v24, v87 :: v_dual_mov_b32 v20, v87
	v_dual_mov_b32 v25, v87 :: v_dual_mov_b32 v26, v87
	;; [unrolled: 1-line block ×3, first 2 shown]
	v_mov_b32_e32 v16, 0xfeffffff
	v_dual_mov_b32 v82, v87 :: v_dual_mov_b32 v83, v87
	s_ashr_i32 s25, s24, 31
	s_ashr_i32 s21, s20, 31
	s_add_nc_u64 s[6:7], s[6:7], s[24:25]
	s_add_nc_u64 s[8:9], s[8:9], s[20:21]
	s_ashr_i32 s15, s14, 31
	s_ashr_i32 s11, s10, 31
	s_add_nc_u64 s[20:21], s[0:1], 0xd0
	s_mov_b32 s3, 0xbbbac73d
.LBB59_9:                               ; =>This Inner Loop Header: Depth=1
	s_ashr_i32 s5, s4, 31
	v_mov_b32_e32 v36, 0
	s_mul_u64 s[24:25], s[4:5], s[14:15]
	s_delay_alu instid0(SALU_CYCLE_1) | instskip(NEXT) | instid1(SALU_CYCLE_1)
	s_lshl_b64 s[24:25], s[24:25], 2
	s_add_nc_u64 s[24:25], s[6:7], s[24:25]
	s_delay_alu instid0(SALU_CYCLE_1) | instskip(SKIP_3) | instid1(VALU_DEP_4)
	v_lshl_add_u64 v[0:1], v[78:79], 2, s[24:25]
	v_lshl_add_u64 v[2:3], v[80:81], 2, s[24:25]
	v_lshl_add_u64 v[4:5], v[88:89], 2, s[24:25]
	v_lshl_add_u64 v[6:7], v[90:91], 2, s[24:25]
	v_add_nc_u64_e32 v[18:19], v[0:1], v[86:87]
	s_delay_alu instid0(VALU_DEP_4) | instskip(NEXT) | instid1(VALU_DEP_4)
	v_add_nc_u64_e32 v[28:29], v[2:3], v[86:87]
	v_add_nc_u64_e32 v[30:31], v[4:5], v[86:87]
	s_delay_alu instid0(VALU_DEP_4)
	v_add_nc_u64_e32 v[32:33], v[6:7], v[86:87]
	s_clause 0x3
	global_load_b128 v[0:3], v[18:19], off
	global_load_b128 v[4:7], v[28:29], off
	;; [unrolled: 1-line block ×4, first 2 shown]
	s_wait_xcnt 0x3
	v_add_nc_u32_e32 v18, 0x1080, v105
	v_add_nc_u32_e32 v19, 0x2100, v105
	s_wait_xcnt 0x2
	v_add_nc_u32_e32 v28, 0x3180, v105
	s_wait_loadcnt 0x3
	ds_store_b128 v105, v[0:3]
	s_wait_loadcnt 0x2
	ds_store_b128 v18, v[4:7]
	;; [unrolled: 2-line block ×4, first 2 shown]
	s_wait_dscnt 0x0
	s_barrier_signal -1
	s_barrier_wait -1
	ds_load_b128 v[2:5], v106
	ds_load_b128 v[6:9], v107
	ds_load_b128 v[10:13], v107 offset:512
	v_dual_mov_b32 v1, 0 :: v_dual_add_nc_u32 v0, s4, v109
	s_wait_dscnt 0x1
	;;#ASMSTART
	v_dot2_f32_f16 v1, v2, v6, v1
	;;#ASMEND
	;;#ASMSTART
	v_dot2_f32_f16 v1, v3, v7, v1
	;;#ASMEND
	;;#ASMSTART
	v_dot2_f32_f16 v1, v4, v8, v1
	;;#ASMEND
	;;#ASMSTART
	v_dot2_f32_f16 v1, v5, v9, v1
	;;#ASMEND
	s_wait_dscnt 0x0
	;;#ASMSTART
	v_dot2_f32_f16 v36, v2, v10, v36
	;;#ASMEND
	;;#ASMSTART
	v_dot2_f32_f16 v36, v3, v11, v36
	;;#ASMEND
	;;#ASMSTART
	v_dot2_f32_f16 v36, v4, v12, v36
	;;#ASMEND
	;;#ASMSTART
	v_dot2_f32_f16 v36, v5, v13, v36
	;;#ASMEND
	ds_load_b128 v[2:5], v106 offset:16
	ds_load_b128 v[6:9], v107 offset:16
	ds_load_b128 v[10:13], v107 offset:528
	s_wait_dscnt 0x1
	;;#ASMSTART
	v_dot2_f32_f16 v1, v2, v6, v1
	;;#ASMEND
	;;#ASMSTART
	v_dot2_f32_f16 v1, v3, v7, v1
	;;#ASMEND
	;;#ASMSTART
	v_dot2_f32_f16 v1, v4, v8, v1
	;;#ASMEND
	;;#ASMSTART
	v_dot2_f32_f16 v1, v5, v9, v1
	;;#ASMEND
	s_wait_dscnt 0x0
	;;#ASMSTART
	v_dot2_f32_f16 v36, v2, v10, v36
	;;#ASMEND
	;;#ASMSTART
	v_dot2_f32_f16 v36, v3, v11, v36
	;;#ASMEND
	;;#ASMSTART
	v_dot2_f32_f16 v36, v4, v12, v36
	;;#ASMEND
	;;#ASMSTART
	v_dot2_f32_f16 v36, v5, v13, v36
	;;#ASMEND
	ds_load_b128 v[2:5], v106 offset:32
	ds_load_b128 v[6:9], v107 offset:32
	ds_load_b128 v[10:13], v107 offset:544
	;; [unrolled: 29-line block ×31, first 2 shown]
	s_wait_dscnt 0x1
	;;#ASMSTART
	v_dot2_f32_f16 v1, v2, v6, v1
	;;#ASMEND
	;;#ASMSTART
	v_dot2_f32_f16 v1, v3, v7, v1
	;;#ASMEND
	;; [unrolled: 3-line block ×4, first 2 shown]
	s_wait_dscnt 0x0
	;;#ASMSTART
	v_dot2_f32_f16 v36, v2, v10, v36
	;;#ASMEND
	;;#ASMSTART
	v_dot2_f32_f16 v36, v3, v11, v36
	;;#ASMEND
	;; [unrolled: 3-line block ×4, first 2 shown]
	global_load_u16 v18, v0, s[30:31] scale_offset
	v_cmp_ngt_f32_e64 s24, 0x3f200000, |v1|
                                        ; implicit-def: $vgpr0
	s_wait_xcnt 0x0
	s_and_saveexec_b32 s25, s24
	s_delay_alu instid0(SALU_CYCLE_1)
	s_xor_b32 s24, exec_lo, s25
	s_cbranch_execz .LBB59_11
; %bb.10:                               ;   in Loop: Header=BB59_9 Depth=1
	v_add_f32_e64 v0, |v1|, |v1|
	s_delay_alu instid0(VALU_DEP_1) | instskip(SKIP_1) | instid1(VALU_DEP_2)
	v_mul_f32_e32 v2, 0x3fb8aa3b, v0
	v_cmp_ngt_f32_e32 vcc_lo, 0xc2ce8ed0, v0
	v_rndne_f32_e32 v3, v2
	v_fma_f32 v4, 0x3fb8aa3b, v0, -v2
	s_delay_alu instid0(VALU_DEP_2) | instskip(NEXT) | instid1(VALU_DEP_2)
	v_sub_f32_e32 v2, v2, v3
	v_fmac_f32_e32 v4, 0x32a5705f, v0
	v_cvt_i32_f32_e32 v3, v3
	s_delay_alu instid0(VALU_DEP_2) | instskip(NEXT) | instid1(VALU_DEP_1)
	v_add_f32_e32 v2, v2, v4
	v_exp_f32_e32 v2, v2
	v_nop
	s_delay_alu instid0(TRANS32_DEP_1) | instskip(NEXT) | instid1(VALU_DEP_1)
	v_ldexp_f32 v2, v2, v3
	v_cndmask_b32_e32 v2, 0, v2, vcc_lo
	v_cmp_nlt_f32_e32 vcc_lo, 0x42b17218, v0
	s_delay_alu instid0(VALU_DEP_2) | instskip(NEXT) | instid1(VALU_DEP_1)
	v_cndmask_b32_e32 v0, 0x7f800000, v2, vcc_lo
	v_add_f32_e32 v0, 1.0, v0
	s_delay_alu instid0(VALU_DEP_1) | instskip(SKIP_1) | instid1(TRANS32_DEP_1)
	v_rcp_f32_e32 v0, v0
	v_nop
	v_fma_f32 v0, v0, -2.0, 1.0
.LBB59_11:                              ;   in Loop: Header=BB59_9 Depth=1
	s_and_not1_saveexec_b32 s24, s24
	s_cbranch_execz .LBB59_13
; %bb.12:                               ;   in Loop: Header=BB59_9 Depth=1
	v_mul_f32_e32 v0, v1, v1
	s_delay_alu instid0(VALU_DEP_1) | instskip(NEXT) | instid1(VALU_DEP_1)
	v_fmaak_f32 v2, s3, v0, 0x3ca908c9
	v_fmaak_f32 v2, v0, v2, 0xbd5c1c4e
	s_delay_alu instid0(VALU_DEP_1) | instskip(NEXT) | instid1(VALU_DEP_1)
	v_fmaak_f32 v2, v0, v2, 0x3e088382
	v_fmaak_f32 v2, v0, v2, 0xbeaaaa99
	s_delay_alu instid0(VALU_DEP_1) | instskip(NEXT) | instid1(VALU_DEP_1)
	v_mul_f32_e64 v2, |v1|, v2
	v_fma_f32 v0, v0, v2, |v1|
.LBB59_13:                              ;   in Loop: Header=BB59_9 Depth=1
	s_or_b32 exec_lo, exec_lo, s24
	s_delay_alu instid0(VALU_DEP_1)
	v_bfi_b32 v0, 0x7fffffff, v0, v1
	v_dual_max_num_f32 v2, v17, v17 :: v_dual_bitop2_b32 v115, 16, v103 bitop3:0x14
	v_cmp_ngt_f32_e64 s24, 0x3f200000, |v36|
                                        ; implicit-def: $vgpr35
	v_xor_b32_e32 v111, 8, v103
	s_wait_loadcnt 0x0
	v_fma_mix_f32 v19, s35, v0, v18 op_sel_hi:[0,0,1]
	v_cmp_gt_i32_e32 vcc_lo, 32, v115
	v_xor_b32_e32 v112, 4, v103
	v_xor_b32_e32 v114, 1, v103
	v_cndmask_b32_e32 v0, v103, v115, vcc_lo
	v_add_f32_e32 v1, 0x40051340, v19
	v_cmp_gt_i32_e32 vcc_lo, 32, v111
	s_delay_alu instid0(VALU_DEP_2) | instskip(SKIP_4) | instid1(VALU_DEP_2)
	v_dual_lshlrev_b32 v28, 2, v0 :: v_dual_max_num_f32 v0, v2, v1
	ds_bpermute_b32 v1, v28, v0
	s_wait_dscnt 0x0
	v_dual_max_num_f32 v1, v1, v1 :: v_dual_cndmask_b32 v2, v103, v111
	v_cmp_gt_i32_e32 vcc_lo, 32, v112
	v_dual_max_num_f32 v0, v0, v1 :: v_dual_lshlrev_b32 v29, 2, v2
	ds_bpermute_b32 v1, v29, v0
	s_wait_dscnt 0x0
	v_dual_cndmask_b32 v2, v103, v112 :: v_dual_max_num_f32 v1, v1, v1
	s_delay_alu instid0(VALU_DEP_1) | instskip(SKIP_3) | instid1(VALU_DEP_1)
	v_dual_lshlrev_b32 v30, 2, v2 :: v_dual_max_num_f32 v0, v0, v1
	ds_bpermute_b32 v1, v30, v0
	s_wait_dscnt 0x0
	v_dual_max_num_f32 v1, v1, v1 :: v_dual_bitop2_b32 v113, 2, v103 bitop3:0x14
	v_cmp_gt_i32_e32 vcc_lo, 32, v113
	s_delay_alu instid0(VALU_DEP_2) | instskip(SKIP_2) | instid1(VALU_DEP_2)
	v_max_num_f32_e32 v0, v0, v1
	v_cndmask_b32_e32 v2, v103, v113, vcc_lo
	v_cmp_gt_i32_e32 vcc_lo, 32, v114
	v_lshlrev_b32_e32 v31, 2, v2
	ds_bpermute_b32 v1, v31, v0
	s_wait_dscnt 0x0
	v_dual_cndmask_b32 v2, v103, v114 :: v_dual_max_num_f32 v1, v1, v1
	s_delay_alu instid0(VALU_DEP_1) | instskip(SKIP_2) | instid1(SALU_CYCLE_1)
	v_dual_max_num_f32 v32, v0, v1 :: v_dual_lshlrev_b32 v33, 2, v2
	ds_bpermute_b32 v34, v33, v32
	s_and_saveexec_b32 s25, s24
	s_xor_b32 s24, exec_lo, s25
	s_cbranch_execz .LBB59_15
; %bb.14:                               ;   in Loop: Header=BB59_9 Depth=1
	v_add_f32_e64 v0, |v36|, |v36|
	s_delay_alu instid0(VALU_DEP_1) | instskip(SKIP_1) | instid1(VALU_DEP_2)
	v_mul_f32_e32 v1, 0x3fb8aa3b, v0
	v_cmp_ngt_f32_e32 vcc_lo, 0xc2ce8ed0, v0
	v_rndne_f32_e32 v2, v1
	v_fma_f32 v3, 0x3fb8aa3b, v0, -v1
	s_delay_alu instid0(VALU_DEP_2) | instskip(NEXT) | instid1(VALU_DEP_2)
	v_sub_f32_e32 v1, v1, v2
	v_fmac_f32_e32 v3, 0x32a5705f, v0
	v_cvt_i32_f32_e32 v2, v2
	s_delay_alu instid0(VALU_DEP_2) | instskip(NEXT) | instid1(VALU_DEP_1)
	v_add_f32_e32 v1, v1, v3
	v_exp_f32_e32 v1, v1
	v_nop
	s_delay_alu instid0(TRANS32_DEP_1) | instskip(NEXT) | instid1(VALU_DEP_1)
	v_ldexp_f32 v1, v1, v2
	v_cndmask_b32_e32 v1, 0, v1, vcc_lo
	v_cmp_nlt_f32_e32 vcc_lo, 0x42b17218, v0
	s_delay_alu instid0(VALU_DEP_2) | instskip(NEXT) | instid1(VALU_DEP_1)
	v_cndmask_b32_e32 v0, 0x7f800000, v1, vcc_lo
	v_add_f32_e32 v0, 1.0, v0
	s_delay_alu instid0(VALU_DEP_1) | instskip(SKIP_1) | instid1(TRANS32_DEP_1)
	v_rcp_f32_e32 v0, v0
	v_nop
	v_fma_f32 v35, v0, -2.0, 1.0
.LBB59_15:                              ;   in Loop: Header=BB59_9 Depth=1
	s_and_not1_saveexec_b32 s24, s24
	s_cbranch_execz .LBB59_17
; %bb.16:                               ;   in Loop: Header=BB59_9 Depth=1
	v_mul_f32_e32 v0, v36, v36
	s_delay_alu instid0(VALU_DEP_1) | instskip(NEXT) | instid1(VALU_DEP_1)
	v_fmaak_f32 v1, s3, v0, 0x3ca908c9
	v_fmaak_f32 v1, v0, v1, 0xbd5c1c4e
	s_delay_alu instid0(VALU_DEP_1) | instskip(NEXT) | instid1(VALU_DEP_1)
	v_fmaak_f32 v1, v0, v1, 0x3e088382
	v_fmaak_f32 v1, v0, v1, 0xbeaaaa99
	s_delay_alu instid0(VALU_DEP_1) | instskip(NEXT) | instid1(VALU_DEP_1)
	v_mul_f32_e64 v1, |v36|, v1
	v_fma_f32 v35, v0, v1, |v36|
.LBB59_17:                              ;   in Loop: Header=BB59_9 Depth=1
	s_or_b32 exec_lo, exec_lo, s24
	s_mul_u64 s[24:25], s[4:5], s[10:11]
	s_wait_dscnt 0x0
	s_lshl_b64 s[24:25], s[24:25], 2
	s_barrier_signal -1
	s_add_nc_u64 s[24:25], s[8:9], s[24:25]
	s_barrier_wait -1
	v_lshl_add_u64 v[0:1], v[84:85], 2, s[24:25]
	v_lshl_add_u64 v[2:3], v[92:93], 2, s[24:25]
	;; [unrolled: 1-line block ×4, first 2 shown]
	s_delay_alu instid0(VALU_DEP_4) | instskip(NEXT) | instid1(VALU_DEP_4)
	v_add_nc_u64_e32 v[38:39], v[0:1], v[86:87]
	v_add_nc_u64_e32 v[40:41], v[2:3], v[86:87]
	s_delay_alu instid0(VALU_DEP_4) | instskip(NEXT) | instid1(VALU_DEP_4)
	v_add_nc_u64_e32 v[42:43], v[4:5], v[86:87]
	v_add_nc_u64_e32 v[44:45], v[6:7], v[86:87]
	v_cvt_f32_f16_e32 v37, v18
	v_bfi_b32 v18, 0x7fffffff, v35, v36
	v_add_nc_u32_e32 v119, 0x2000, v102
	s_clause 0x3
	global_load_b128 v[12:15], v[38:39], off
	global_load_b128 v[8:11], v[40:41], off
	;; [unrolled: 1-line block ×4, first 2 shown]
	v_add_nc_u32_e32 v118, 0x2800, v102
	v_add_nc_u32_e32 v117, 0x3000, v102
	v_dual_fmac_f32 v37, s35, v18 :: v_dual_max_num_f32 v18, v16, v16
	v_add_nc_u32_e32 v116, 0x3800, v102
	s_delay_alu instid0(VALU_DEP_2) | instskip(NEXT) | instid1(VALU_DEP_1)
	v_add_f32_e32 v35, 0x40051340, v37
	v_max_num_f32_e32 v18, v18, v35
	ds_bpermute_b32 v28, v28, v18
	s_wait_dscnt 0x0
	v_max_num_f32_e32 v28, v28, v28
	s_delay_alu instid0(VALU_DEP_1) | instskip(SKIP_3) | instid1(VALU_DEP_1)
	v_max_num_f32_e32 v18, v18, v28
	ds_bpermute_b32 v28, v29, v18
	s_wait_dscnt 0x0
	v_max_num_f32_e32 v28, v28, v28
	v_max_num_f32_e32 v18, v18, v28
	ds_bpermute_b32 v28, v30, v18
	s_wait_dscnt 0x0
	v_dual_add_nc_u32 v30, v110, v101 :: v_dual_max_num_f32 v28, v28, v28
	s_delay_alu instid0(VALU_DEP_1) | instskip(SKIP_3) | instid1(VALU_DEP_1)
	v_max_num_f32_e32 v18, v18, v28
	ds_bpermute_b32 v28, v31, v18
	s_wait_dscnt 0x0
	v_max_num_f32_e32 v28, v28, v28
	v_max_num_f32_e32 v31, v18, v28
	v_dual_max_num_f32 v18, v34, v34 :: v_dual_max_num_f32 v28, v32, v32
	s_delay_alu instid0(VALU_DEP_1) | instskip(SKIP_3) | instid1(VALU_DEP_1)
	v_max_num_f32_e32 v98, v28, v18
	ds_bpermute_b32 v29, v33, v31
	v_add_nc_u32_e32 v28, 0x800, v102
	v_dual_sub_f32 v17, v17, v98 :: v_dual_sub_f32 v18, v19, v98
	v_dual_mul_f32 v19, 0x3fb8aa3b, v17 :: v_dual_mul_f32 v32, 0x3fb8aa3b, v18
	v_cmp_ngt_f32_e32 vcc_lo, 0xc2ce8ed0, v18
	s_delay_alu instid0(VALU_DEP_2) | instskip(NEXT) | instid1(VALU_DEP_3)
	v_fma_f32 v34, 0x3fb8aa3b, v17, -v19
	v_fma_f32 v35, 0x3fb8aa3b, v18, -v32
	v_rndne_f32_e32 v36, v32
	s_delay_alu instid0(VALU_DEP_2) | instskip(SKIP_2) | instid1(VALU_DEP_3)
	v_dual_fmac_f32 v34, 0x32a5705f, v17 :: v_dual_fmac_f32 v35, 0x32a5705f, v18
	s_wait_dscnt 0x0
	v_max_num_f32_e32 v33, v29, v29
	v_dual_sub_f32 v32, v32, v36 :: v_dual_add_nc_u32 v29, 0x1000, v102
	s_delay_alu instid0(VALU_DEP_2) | instskip(SKIP_1) | instid1(VALU_DEP_2)
	v_max_num_f32_e32 v99, v31, v33
	v_rndne_f32_e32 v31, v19
	v_dual_sub_f32 v33, v37, v99 :: v_dual_sub_f32 v37, v16, v99
	s_delay_alu instid0(VALU_DEP_2) | instskip(SKIP_1) | instid1(VALU_DEP_3)
	v_sub_f32_e32 v19, v19, v31
	v_cvt_i32_f32_e32 v16, v31
	v_dual_add_f32 v31, v32, v35 :: v_dual_mul_f32 v32, 0x3fb8aa3b, v33
	v_cvt_i32_f32_e32 v35, v36
	s_delay_alu instid0(VALU_DEP_4) | instskip(NEXT) | instid1(VALU_DEP_3)
	v_dual_mul_f32 v36, 0x3fb8aa3b, v37 :: v_dual_add_f32 v19, v19, v34
	v_exp_f32_e32 v31, v31
	s_delay_alu instid0(VALU_DEP_3)
	v_fma_f32 v34, 0x3fb8aa3b, v33, -v32
	s_wait_xcnt 0x3
	v_rndne_f32_e32 v38, v32
	v_fma_f32 v39, 0x3fb8aa3b, v37, -v36
	v_exp_f32_e32 v19, v19
	s_wait_xcnt 0x2
	v_rndne_f32_e32 v40, v36
	s_delay_alu instid0(VALU_DEP_2) | instskip(SKIP_2) | instid1(TRANS32_DEP_1)
	v_dual_sub_f32 v32, v32, v38 :: v_dual_fmac_f32 v39, 0x32a5705f, v37
	v_ldexp_f32 v31, v31, v35
	v_fmac_f32_e32 v34, 0x32a5705f, v33
	v_ldexp_f32 v16, v19, v16
	v_cvt_i32_f32_e32 v35, v40
	s_delay_alu instid0(VALU_DEP_4) | instskip(SKIP_3) | instid1(VALU_DEP_2)
	v_cndmask_b32_e32 v31, 0, v31, vcc_lo
	v_cmp_ngt_f32_e32 vcc_lo, 0xc2ce8ed0, v17
	v_add_f32_e32 v19, v32, v34
	v_cvt_i32_f32_e32 v34, v38
	v_exp_f32_e32 v19, v19
	v_nop
	s_delay_alu instid0(TRANS32_DEP_1) | instskip(SKIP_1) | instid1(VALU_DEP_1)
	v_ldexp_f32 v19, v19, v34
	v_sub_f32_e32 v36, v36, v40
	v_dual_add_f32 v32, v36, v39 :: v_dual_cndmask_b32 v36, 0, v16, vcc_lo
	v_cmp_nlt_f32_e32 vcc_lo, 0x42b17218, v18
	s_delay_alu instid0(VALU_DEP_2) | instskip(SKIP_2) | instid1(TRANS32_DEP_1)
	v_exp_f32_e32 v32, v32
	v_cndmask_b32_e32 v16, 0x7f800000, v31, vcc_lo
	v_cmp_nlt_f32_e32 vcc_lo, 0x42b17218, v17
	v_ldexp_f32 v31, v32, v35
	v_cndmask_b32_e32 v18, 0x7f800000, v36, vcc_lo
	v_cmp_ngt_f32_e32 vcc_lo, 0xc2ce8ed0, v33
	v_cndmask_b32_e32 v17, 0, v19, vcc_lo
	v_cmp_ngt_f32_e32 vcc_lo, 0xc2ce8ed0, v37
	v_dual_cndmask_b32 v19, 0, v31 :: v_dual_add_nc_u32 v120, 0x1800, v102
	v_cmp_nlt_f32_e32 vcc_lo, 0x42b17218, v33
	v_cvt_f16_f32_e32 v31, v18
	v_cndmask_b32_e32 v17, 0x7f800000, v17, vcc_lo
	v_cmp_nlt_f32_e32 vcc_lo, 0x42b17218, v37
	s_delay_alu instid0(VALU_DEP_3) | instskip(NEXT) | instid1(VALU_DEP_3)
	v_and_b32_e32 v31, 0xffff, v31
	v_cvt_pk_f16_f32 v32, v16, v17
	s_delay_alu instid0(VALU_DEP_2)
	v_mul_u32_u24_e32 v31, 0x10001, v31
	ds_store_b32 v30, v32
	v_pk_mul_f16 v121, v27, v31
	v_pk_mul_f16 v122, v26, v31
	;; [unrolled: 1-line block ×3, first 2 shown]
	s_wait_loadcnt 0x3
	ds_store_b128 v108, v[12:15]
	v_add_nc_u32_e32 v12, 0x1000, v108
	s_wait_loadcnt 0x2
	ds_store_b128 v12, v[8:11]
	v_add_nc_u32_e32 v8, 0x2000, v108
	;; [unrolled: 3-line block ×3, first 2 shown]
	s_wait_loadcnt 0x0
	ds_store_b128 v4, v[0:3]
	s_wait_dscnt 0x0
	s_barrier_signal -1
	s_barrier_wait -1
	ds_load_b128 v[0:3], v110
	v_cndmask_b32_e32 v19, 0x7f800000, v19, vcc_lo
	s_delay_alu instid0(VALU_DEP_1) | instskip(SKIP_1) | instid1(VALU_DEP_2)
	v_cvt_f16_f32_e32 v33, v19
	v_pk_fma_f32 v[82:83], v[82:83], v[18:19], v[16:17]
	v_and_b32_e32 v30, 0xffff, v33
	s_delay_alu instid0(VALU_DEP_1) | instskip(NEXT) | instid1(VALU_DEP_1)
	v_mul_u32_u24_e32 v30, 0x10001, v30
	v_pk_mul_f16 v124, v24, v30
	ds_load_2addr_b64 v[36:39], v102 offset1:32
	ds_load_b128 v[52:55], v110 offset:16
	ds_load_b128 v[44:47], v110 offset:32
	;; [unrolled: 1-line block ×3, first 2 shown]
	ds_load_2addr_b64 v[8:11], v102 offset0:64 offset1:96
	ds_load_2addr_b64 v[72:75], v102 offset0:128 offset1:160
	;; [unrolled: 1-line block ×3, first 2 shown]
	ds_load_2addr_b64 v[12:15], v28 offset1:32
	ds_load_2addr_b64 v[16:19], v28 offset0:64 offset1:96
	ds_load_2addr_b64 v[68:71], v28 offset0:128 offset1:160
	;; [unrolled: 1-line block ×3, first 2 shown]
	s_wait_dscnt 0xb
	v_and_b32_e32 v28, 0xffff, v0
	v_lshrrev_b32_e32 v0, 16, v0
	v_pk_mul_f16 v22, v22, v30
	v_pk_mul_f16 v23, v23, v30
	ds_load_2addr_b64 v[40:43], v29 offset1:32
	ds_load_2addr_b64 v[64:67], v29 offset0:64 offset1:96
	ds_load_2addr_b64 v[60:63], v29 offset0:128 offset1:160
	v_mul_u32_u24_e32 v28, 0x10001, v28
	v_mul_u32_u24_e32 v0, 0x10001, v0
	ds_load_2addr_b64 v[56:59], v29 offset0:192 offset1:224
	ds_load_2addr_b64 v[32:35], v120 offset1:32
	v_and_b32_e32 v29, 0xffff, v1
	v_lshrrev_b32_e32 v1, 16, v1
	s_wait_dscnt 0xf
	v_pk_fma_f16 v121, v37, v28, v121
	v_pk_fma_f16 v124, v37, v0, v124
	;; [unrolled: 1-line block ×4, first 2 shown]
	v_pk_mul_f16 v0, v36, v0
	v_pk_fma_f16 v122, v38, v28, v122
	v_pk_fma_f16 v123, v39, v28, v123
	v_pk_mul_f16 v28, v36, v28
	v_mul_u32_u24_e32 v1, 0x10001, v1
	v_pk_fma_f16 v0, v20, v30, v0
	v_mul_u32_u24_e32 v125, 0x10001, v29
	v_and_b32_e32 v20, 0xffff, v2
	v_pk_fma_f16 v21, v21, v31, v28
	s_wait_dscnt 0xb
	v_pk_fma_f16 v124, v9, v1, v124
	v_pk_fma_f16 v126, v10, v1, v22
	;; [unrolled: 1-line block ×4, first 2 shown]
	v_lshrrev_b32_e32 v1, 16, v2
	ds_load_2addr_b64 v[36:39], v120 offset0:64 offset1:96
	ds_load_2addr_b64 v[28:31], v120 offset0:128 offset1:160
	v_pk_fma_f16 v121, v9, v125, v121
	v_pk_fma_f16 v122, v10, v125, v122
	;; [unrolled: 1-line block ×4, first 2 shown]
	v_mul_u32_u24_e32 v2, 0x10001, v20
	ds_load_2addr_b64 v[20:23], v120 offset0:192 offset1:224
	v_lshrrev_b32_e32 v120, 16, v3
	v_and_b32_e32 v3, 0xffff, v3
	v_mul_u32_u24_e32 v1, 0x10001, v1
	s_wait_dscnt 0xd
	v_pk_fma_f16 v121, v73, v2, v121
	v_pk_fma_f16 v122, v74, v2, v122
	;; [unrolled: 1-line block ×4, first 2 shown]
	v_mul_u32_u24_e32 v128, 0x10001, v3
	v_pk_fma_f16 v73, v73, v1, v124
	v_pk_fma_f16 v74, v74, v1, v126
	;; [unrolled: 1-line block ×4, first 2 shown]
	v_and_b32_e32 v124, 0xffff, v52
	v_lshrrev_b32_e32 v52, 16, v52
	v_mul_u32_u24_e32 v120, 0x10001, v120
	s_wait_dscnt 0xc
	v_pk_fma_f16 v121, v5, v128, v121
	v_pk_fma_f16 v122, v6, v128, v122
	;; [unrolled: 1-line block ×4, first 2 shown]
	v_mul_u32_u24_e32 v124, 0x10001, v124
	v_pk_fma_f16 v73, v5, v120, v73
	v_pk_fma_f16 v74, v6, v120, v74
	;; [unrolled: 1-line block ×4, first 2 shown]
	v_and_b32_e32 v120, 0xffff, v53
	v_mul_u32_u24_e32 v52, 0x10001, v52
	v_lshrrev_b32_e32 v53, 16, v53
	s_wait_dscnt 0xb
	v_pk_fma_f16 v121, v13, v124, v121
	v_pk_fma_f16 v122, v14, v124, v122
	;; [unrolled: 1-line block ×4, first 2 shown]
	v_mul_u32_u24_e32 v120, 0x10001, v120
	v_pk_fma_f16 v73, v13, v52, v73
	v_pk_fma_f16 v74, v14, v52, v74
	;; [unrolled: 1-line block ×4, first 2 shown]
	v_lshrrev_b32_e32 v72, 16, v54
	v_and_b32_e32 v54, 0xffff, v54
	v_mul_u32_u24_e32 v53, 0x10001, v53
	ds_load_2addr_b64 v[8:11], v119 offset1:32
	ds_load_2addr_b64 v[0:3], v119 offset0:64 offset1:96
	ds_load_2addr_b64 v[4:7], v119 offset0:128 offset1:160
	;; [unrolled: 1-line block ×3, first 2 shown]
	s_wait_dscnt 0xe
	v_pk_fma_f16 v119, v17, v120, v121
	v_pk_fma_f16 v121, v18, v120, v122
	;; [unrolled: 1-line block ×4, first 2 shown]
	v_and_b32_e32 v123, 0xffff, v55
	v_mul_u32_u24_e32 v54, 0x10001, v54
	v_mul_u32_u24_e32 v72, 0x10001, v72
	v_pk_fma_f16 v73, v17, v53, v73
	v_pk_fma_f16 v74, v18, v53, v74
	;; [unrolled: 1-line block ×4, first 2 shown]
	v_dual_lshrrev_b32 v53, 16, v55 :: v_dual_lshrrev_b32 v126, 16, v44
	v_mul_u32_u24_e32 v55, 0x10001, v123
	s_wait_dscnt 0xd
	v_pk_fma_f16 v119, v69, v54, v119
	v_pk_fma_f16 v123, v69, v72, v73
	;; [unrolled: 1-line block ×8, first 2 shown]
	v_and_b32_e32 v120, 0xffff, v44
	v_mul_u32_u24_e32 v44, 0x10001, v53
	s_wait_dscnt 0xc
	v_pk_fma_f16 v53, v49, v55, v119
	v_pk_fma_f16 v119, v50, v55, v121
	;; [unrolled: 1-line block ×4, first 2 shown]
	v_and_b32_e32 v55, 0xffff, v45
	v_pk_fma_f16 v49, v49, v44, v123
	v_pk_fma_f16 v50, v50, v44, v124
	;; [unrolled: 1-line block ×4, first 2 shown]
	v_dual_lshrrev_b32 v122, 16, v45 :: v_dual_lshrrev_b32 v124, 16, v46
	v_mul_u32_u24_e32 v52, 0x10001, v120
	v_mul_u32_u24_e32 v126, 0x10001, v126
	v_and_b32_e32 v123, 0xffff, v46
	v_mul_u32_u24_e32 v127, 0x10001, v55
	v_mul_u32_u24_e32 v122, 0x10001, v122
	s_wait_dscnt 0xb
	v_pk_fma_f16 v128, v41, v52, v53
	v_pk_fma_f16 v119, v42, v52, v119
	;; [unrolled: 1-line block ×8, first 2 shown]
	ds_load_2addr_b64 v[16:19], v118 offset1:32
	ds_load_b128 v[72:75], v110 offset:64
	ds_load_b128 v[68:71], v110 offset:80
	v_lshrrev_b32_e32 v125, 16, v47
	v_and_b32_e32 v120, 0xffff, v47
	ds_load_2addr_b64 v[44:47], v118 offset0:64 offset1:96
	ds_load_2addr_b64 v[52:55], v118 offset0:128 offset1:160
	s_wait_dscnt 0xf
	v_pk_fma_f16 v126, v65, v127, v128
	v_pk_fma_f16 v119, v66, v127, v119
	;; [unrolled: 1-line block ×4, first 2 shown]
	ds_load_2addr_b64 v[48:51], v118 offset0:192 offset1:224
	v_mul_u32_u24_e32 v118, 0x10001, v123
	v_pk_fma_f16 v65, v65, v122, v41
	v_pk_fma_f16 v66, v66, v122, v42
	;; [unrolled: 1-line block ×4, first 2 shown]
	v_mul_u32_u24_e32 v123, 0x10001, v124
	v_lshrrev_b32_e32 v122, 16, v24
	s_wait_dscnt 0xf
	v_pk_fma_f16 v124, v61, v118, v126
	v_pk_fma_f16 v119, v62, v118, v119
	;; [unrolled: 1-line block ×4, first 2 shown]
	v_and_b32_e32 v24, 0xffff, v24
	v_pk_fma_f16 v65, v61, v123, v65
	v_pk_fma_f16 v66, v62, v123, v66
	;; [unrolled: 1-line block ×4, first 2 shown]
	v_and_b32_e32 v123, 0xffff, v25
	v_lshrrev_b32_e32 v126, 16, v25
	v_and_b32_e32 v127, 0xffff, v26
	v_mul_u32_u24_e32 v25, 0x10001, v120
	v_lshrrev_b32_e32 v120, 16, v26
	v_mul_u32_u24_e32 v26, 0x10001, v125
	v_mul_u32_u24_e32 v125, 0x10001, v24
	v_lshrrev_b32_e32 v128, 16, v27
	s_wait_dscnt 0xe
	v_pk_fma_f16 v124, v57, v25, v124
	v_pk_fma_f16 v119, v58, v25, v119
	;; [unrolled: 1-line block ×7, first 2 shown]
	v_mul_u32_u24_e32 v65, 0x10001, v122
	v_pk_fma_f16 v59, v59, v26, v67
	s_wait_dscnt 0xd
	v_pk_fma_f16 v66, v33, v125, v124
	v_pk_fma_f16 v67, v34, v125, v119
	;; [unrolled: 1-line block ×6, first 2 shown]
	v_mul_u32_u24_e32 v56, 0x10001, v123
	v_mul_u32_u24_e32 v123, 0x10001, v126
	v_and_b32_e32 v129, 0xffff, v27
	v_pk_fma_f16 v33, v33, v65, v57
	v_pk_fma_f16 v35, v35, v65, v59
	s_wait_dscnt 0xc
	v_pk_fma_f16 v66, v37, v56, v66
	v_pk_fma_f16 v67, v38, v56, v67
	;; [unrolled: 1-line block ×4, first 2 shown]
	v_mul_u32_u24_e32 v124, 0x10001, v127
	v_pk_fma_f16 v38, v38, v123, v34
	v_pk_fma_f16 v36, v36, v123, v32
	v_mul_u32_u24_e32 v120, 0x10001, v120
	s_wait_dscnt 0x4
	v_and_b32_e32 v64, 0xffff, v72
	v_lshrrev_b32_e32 v72, 16, v72
	v_pk_fma_f16 v37, v37, v123, v33
	v_pk_fma_f16 v39, v39, v123, v35
	;; [unrolled: 1-line block ×8, first 2 shown]
	v_mul_u32_u24_e32 v125, 0x10001, v129
	v_mul_u32_u24_e32 v126, 0x10001, v128
	v_and_b32_e32 v65, 0xffff, v73
	v_dual_lshrrev_b32 v73, 16, v73 :: v_dual_lshrrev_b32 v121, 16, v74
	v_pk_fma_f16 v37, v29, v120, v37
	v_pk_fma_f16 v39, v31, v120, v39
	v_mul_u32_u24_e32 v64, 0x10001, v64
	v_pk_fma_f16 v66, v21, v125, v66
	v_pk_fma_f16 v67, v22, v125, v67
	;; [unrolled: 1-line block ×6, first 2 shown]
	v_mul_u32_u24_e32 v72, 0x10001, v72
	v_pk_fma_f16 v37, v21, v126, v37
	v_pk_fma_f16 v39, v23, v126, v39
	;; [unrolled: 1-line block ×8, first 2 shown]
	v_mul_u32_u24_e32 v65, 0x10001, v65
	v_mul_u32_u24_e32 v73, 0x10001, v73
	v_lshrrev_b32_e32 v122, 16, v75
	v_pk_fma_f16 v37, v9, v72, v37
	v_pk_fma_f16 v39, v11, v72, v39
	;; [unrolled: 1-line block ×6, first 2 shown]
	v_mul_u32_u24_e32 v38, 0x10001, v121
	v_and_b32_e32 v74, 0xffff, v74
	ds_load_2addr_b64 v[40:43], v117 offset1:32
	ds_load_b128 v[60:63], v110 offset:96
	ds_load_b128 v[28:31], v110 offset:112
	ds_load_2addr_b64 v[24:27], v117 offset0:64 offset1:96
	ds_load_2addr_b64 v[56:59], v117 offset0:128 offset1:160
	;; [unrolled: 1-line block ×3, first 2 shown]
	s_wait_dscnt 0x9
	v_and_b32_e32 v117, 0xffff, v68
	v_lshrrev_b32_e32 v68, 16, v68
	v_pk_fma_f16 v66, v1, v65, v66
	v_pk_fma_f16 v119, v3, v65, v119
	;; [unrolled: 1-line block ×4, first 2 shown]
	v_mul_u32_u24_e32 v73, 0x10001, v122
	v_pk_fma_f16 v0, v4, v38, v0
	v_and_b32_e32 v75, 0xffff, v75
	v_mul_u32_u24_e32 v37, 0x10001, v74
	v_and_b32_e32 v123, 0xffff, v69
	v_dual_lshrrev_b32 v69, 16, v69 :: v_dual_lshrrev_b32 v120, 16, v70
	v_mul_u32_u24_e32 v68, 0x10001, v68
	v_pk_fma_f16 v1, v5, v38, v1
	v_pk_fma_f16 v2, v6, v38, v2
	v_pk_fma_f16 v0, v12, v73, v0
	v_mul_u32_u24_e32 v39, 0x10001, v75
	v_pk_fma_f16 v66, v5, v37, v66
	v_pk_fma_f16 v67, v6, v37, v67
	v_pk_fma_f16 v119, v7, v37, v119
	v_pk_fma_f16 v5, v4, v37, v64
	v_mul_u32_u24_e32 v69, 0x10001, v69
	v_pk_fma_f16 v3, v7, v38, v3
	;; [unrolled: 5-line block ×3, first 2 shown]
	v_pk_fma_f16 v6, v14, v39, v67
	v_pk_fma_f16 v7, v15, v39, v119
	;; [unrolled: 1-line block ×3, first 2 shown]
	s_wait_dscnt 0x4
	v_dual_lshrrev_b32 v124, 16, v71 :: v_dual_lshrrev_b32 v125, 16, v60
	v_mul_u32_u24_e32 v117, 0x10001, v120
	v_pk_fma_f16 v3, v15, v73, v3
	v_pk_fma_f16 v1, v17, v68, v1
	;; [unrolled: 1-line block ×4, first 2 shown]
	v_and_b32_e32 v70, 0xffff, v70
	v_mul_u32_u24_e32 v75, 0x10001, v123
	v_pk_fma_f16 v4, v17, v74, v4
	v_pk_fma_f16 v6, v18, v74, v6
	;; [unrolled: 1-line block ×4, first 2 shown]
	v_mul_u32_u24_e32 v120, 0x10001, v124
	v_pk_fma_f16 v3, v19, v68, v3
	v_pk_fma_f16 v1, v45, v69, v1
	;; [unrolled: 1-line block ×4, first 2 shown]
	v_and_b32_e32 v71, 0xffff, v71
	v_mul_u32_u24_e32 v70, 0x10001, v70
	v_pk_fma_f16 v4, v45, v75, v4
	v_pk_fma_f16 v6, v46, v75, v6
	;; [unrolled: 1-line block ×4, first 2 shown]
	v_dual_lshrrev_b32 v118, 16, v61 :: v_dual_lshrrev_b32 v72, 16, v62
	v_mul_u32_u24_e32 v121, 0x10001, v125
	v_pk_fma_f16 v3, v47, v69, v3
	v_pk_fma_f16 v1, v53, v117, v1
	;; [unrolled: 1-line block ×4, first 2 shown]
	v_and_b32_e32 v60, 0xffff, v60
	v_mul_u32_u24_e32 v71, 0x10001, v71
	v_pk_fma_f16 v4, v53, v70, v4
	v_pk_fma_f16 v6, v54, v70, v6
	;; [unrolled: 1-line block ×4, first 2 shown]
	ds_load_2addr_b64 v[20:23], v116 offset1:32
	v_mul_u32_u24_e32 v118, 0x10001, v118
	v_pk_fma_f16 v3, v55, v117, v3
	v_pk_fma_f16 v1, v49, v120, v1
	;; [unrolled: 1-line block ×4, first 2 shown]
	v_and_b32_e32 v61, 0xffff, v61
	v_mul_u32_u24_e32 v60, 0x10001, v60
	v_pk_fma_f16 v4, v49, v71, v4
	v_pk_fma_f16 v6, v50, v71, v6
	;; [unrolled: 1-line block ×4, first 2 shown]
	s_wait_dscnt 0x4
	v_dual_lshrrev_b32 v126, 16, v63 :: v_dual_lshrrev_b32 v65, 16, v28
	v_mul_u32_u24_e32 v72, 0x10001, v72
	v_pk_fma_f16 v3, v51, v120, v3
	v_pk_fma_f16 v1, v41, v121, v1
	;; [unrolled: 1-line block ×3, first 2 shown]
	s_wait_dscnt 0x3
	v_pk_fma_f16 v0, v24, v118, v0
	v_and_b32_e32 v62, 0xffff, v62
	v_mul_u32_u24_e32 v61, 0x10001, v61
	v_pk_fma_f16 v4, v41, v60, v4
	v_pk_fma_f16 v6, v42, v60, v6
	;; [unrolled: 1-line block ×4, first 2 shown]
	v_mul_u32_u24_e32 v122, 0x10001, v126
	v_pk_fma_f16 v3, v43, v121, v3
	v_pk_fma_f16 v1, v25, v118, v1
	v_pk_fma_f16 v2, v26, v118, v2
	s_wait_dscnt 0x2
	v_pk_fma_f16 v0, v56, v72, v0
	v_and_b32_e32 v63, 0xffff, v63
	ds_load_2addr_b64 v[8:11], v116 offset0:64 offset1:96
	v_mul_u32_u24_e32 v62, 0x10001, v62
	v_pk_fma_f16 v4, v25, v61, v4
	v_pk_fma_f16 v6, v26, v61, v6
	;; [unrolled: 1-line block ×4, first 2 shown]
	v_mul_u32_u24_e32 v65, 0x10001, v65
	v_pk_fma_f16 v3, v27, v118, v3
	v_pk_fma_f16 v1, v57, v72, v1
	;; [unrolled: 1-line block ×3, first 2 shown]
	s_wait_dscnt 0x2
	v_pk_fma_f16 v0, v32, v122, v0
	v_and_b32_e32 v28, 0xffff, v28
	v_mul_u32_u24_e32 v63, 0x10001, v63
	v_pk_fma_f16 v4, v57, v62, v4
	v_pk_fma_f16 v6, v58, v62, v6
	;; [unrolled: 1-line block ×7, first 2 shown]
	s_wait_dscnt 0x1
	v_pk_fma_f16 v13, v20, v65, v0
	v_dual_lshrrev_b32 v0, 16, v29 :: v_dual_lshrrev_b32 v19, 16, v30
	v_and_b32_e32 v36, 0xffff, v29
	v_mul_u32_u24_e32 v28, 0x10001, v28
	v_pk_fma_f16 v4, v33, v63, v4
	v_pk_fma_f16 v6, v34, v63, v6
	;; [unrolled: 1-line block ×7, first 2 shown]
	v_mul_u32_u24_e32 v17, 0x10001, v0
	ds_load_2addr_b64 v[0:3], v116 offset0:128 offset1:160
	v_pk_fma_f16 v4, v21, v28, v4
	v_pk_fma_f16 v5, v20, v28, v5
	;; [unrolled: 1-line block ×3, first 2 shown]
	v_mul_u32_u24_e32 v16, 0x10001, v36
	v_pk_fma_f16 v7, v23, v28, v7
	v_pk_fma_f16 v12, v23, v65, v12
	s_wait_dscnt 0x1
	s_delay_alu instid0(VALU_DEP_3)
	v_pk_fma_f16 v18, v8, v16, v5
	v_pk_fma_f16 v8, v8, v17, v13
	;; [unrolled: 1-line block ×6, first 2 shown]
	ds_load_2addr_b64 v[4:7], v116 offset0:192 offset1:224
	s_wait_dscnt 0x0
	s_barrier_signal -1
	s_barrier_wait -1
	s_load_b32 s5, s[20:21], 0x4
	v_pk_fma_f16 v10, v10, v17, v15
	v_and_b32_e32 v15, 0xffff, v30
	v_pk_fma_f16 v11, v11, v17, v12
	s_delay_alu instid0(VALU_DEP_2) | instskip(SKIP_1) | instid1(VALU_DEP_2)
	v_mul_u32_u24_e32 v12, 0x10001, v15
	v_mul_u32_u24_e32 v15, 0x10001, v19
	v_pk_fma_f16 v17, v0, v12, v18
	s_delay_alu instid0(VALU_DEP_2)
	v_pk_fma_f16 v0, v0, v15, v8
	v_and_b32_e32 v8, 0xffff, v31
	v_lshrrev_b32_e32 v18, 16, v31
	v_pk_fma_f16 v13, v1, v12, v13
	v_pk_fma_f16 v1, v1, v15, v9
	;; [unrolled: 1-line block ×3, first 2 shown]
	v_mul_u32_u24_e32 v8, 0x10001, v8
	v_mul_u32_u24_e32 v14, 0x10001, v18
	v_pk_fma_f16 v2, v2, v15, v10
	v_pk_fma_f16 v10, v3, v12, v16
	;; [unrolled: 1-line block ×3, first 2 shown]
	s_wait_kmcnt 0x0
	s_lshl_b32 s5, s5, 5
	v_pk_fma_f16 v21, v4, v8, v17
	v_pk_fma_f16 v20, v4, v14, v0
	;; [unrolled: 1-line block ×8, first 2 shown]
	s_add_co_i32 s4, s5, s4
	s_delay_alu instid0(SALU_CYCLE_1)
	s_cmp_ge_i32 s4, s28
	s_cbranch_scc1 .LBB59_19
; %bb.18:                               ;   in Loop: Header=BB59_9 Depth=1
	v_dual_mov_b32 v17, v98 :: v_dual_mov_b32 v16, v99
	s_branch .LBB59_9
.LBB59_19:
	v_mov_b32_e32 v3, v103
.LBB59_20:
	v_cmp_lt_i32_e32 vcc_lo, v115, v104
	s_cmp_lg_u64 s[12:13], 0
	s_cselect_b32 s3, -1, 0
	s_cmp_eq_u32 s29, 0
	v_cndmask_b32_e32 v0, v3, v115, vcc_lo
	v_cmp_lt_i32_e32 vcc_lo, v111, v104
	s_cselect_b32 s4, -1, 0
	s_delay_alu instid0(SALU_CYCLE_1) | instskip(SKIP_2) | instid1(VALU_DEP_2)
	s_and_b32 s3, s4, s3
	v_cndmask_b32_e32 v2, v3, v111, vcc_lo
	v_cmp_lt_i32_e32 vcc_lo, v112, v104
	v_dual_lshlrev_b32 v2, 2, v2 :: v_dual_lshlrev_b32 v1, 2, v0
	ds_bpermute_b32 v0, v1, v82
	ds_bpermute_b32 v1, v1, v83
	s_wait_dscnt 0x0
	v_pk_add_f32 v[0:1], v[82:83], v[0:1]
	ds_bpermute_b32 v4, v2, v0
	ds_bpermute_b32 v5, v2, v1
	v_cndmask_b32_e32 v2, v3, v112, vcc_lo
	v_cmp_lt_i32_e32 vcc_lo, v113, v104
	s_delay_alu instid0(VALU_DEP_2)
	v_lshlrev_b32_e32 v2, 2, v2
	s_wait_dscnt 0x0
	v_pk_add_f32 v[0:1], v[0:1], v[4:5]
	ds_bpermute_b32 v4, v2, v0
	ds_bpermute_b32 v5, v2, v1
	v_cndmask_b32_e32 v2, v3, v113, vcc_lo
	v_cmp_lt_i32_e32 vcc_lo, v114, v104
	s_delay_alu instid0(VALU_DEP_2)
	v_lshlrev_b32_e32 v2, 2, v2
	s_wait_dscnt 0x0
	v_pk_add_f32 v[0:1], v[0:1], v[4:5]
	ds_bpermute_b32 v4, v2, v0
	ds_bpermute_b32 v5, v2, v1
	v_cndmask_b32_e32 v2, v3, v114, vcc_lo
	s_and_b32 vcc_lo, exec_lo, s3
	s_delay_alu instid0(VALU_DEP_1)
	v_lshlrev_b32_e32 v3, 2, v2
	s_wait_dscnt 0x0
	v_pk_add_f32 v[0:1], v[0:1], v[4:5]
	ds_bpermute_b32 v2, v3, v0
	ds_bpermute_b32 v3, v3, v1
	s_wait_dscnt 0x0
	v_pk_add_f32 v[0:1], v[0:1], v[2:3]
	v_add_nc_u32_e32 v2, s33, v76
	s_cbranch_vccz .LBB59_22
; %bb.21:
	s_delay_alu instid0(VALU_DEP_1) | instskip(NEXT) | instid1(VALU_DEP_1)
	v_dual_ashrrev_i32 v3, 31, v2 :: v_dual_max_num_f32 v7, v99, v99
	v_lshl_add_u64 v[4:5], v[2:3], 2, s[12:13]
	v_max_num_f32_e32 v3, v98, v98
	global_load_b64 v[4:5], v[4:5], off
	s_wait_loadcnt 0x0
	v_dual_max_num_f32 v6, v4, v4 :: v_dual_max_num_f32 v8, v5, v5
	s_delay_alu instid0(VALU_DEP_1) | instskip(NEXT) | instid1(VALU_DEP_1)
	v_max_num_f32_e32 v6, v3, v6
	v_dual_max_num_f32 v7, v7, v8 :: v_dual_sub_f32 v3, v98, v6
	s_delay_alu instid0(VALU_DEP_1) | instskip(SKIP_2) | instid1(VALU_DEP_3)
	v_dual_sub_f32 v8, v4, v6 :: v_dual_sub_f32 v9, v99, v7
	v_sub_f32_e32 v10, v5, v7
	v_mov_b64_e32 v[98:99], v[6:7]
	v_dual_mul_f32 v4, 0x3fb8aa3b, v3 :: v_dual_mul_f32 v5, 0x3fb8aa3b, v8
	s_delay_alu instid0(VALU_DEP_4) | instskip(SKIP_1) | instid1(VALU_DEP_3)
	v_mul_f32_e32 v11, 0x3fb8aa3b, v9
	v_cmp_ngt_f32_e32 vcc_lo, 0xc2ce8ed0, v3
	v_fma_f32 v13, 0x3fb8aa3b, v3, -v4
	v_rndne_f32_e32 v14, v4
	s_delay_alu instid0(VALU_DEP_4) | instskip(SKIP_2) | instid1(VALU_DEP_4)
	v_rndne_f32_e32 v18, v11
	v_fma_f32 v17, 0x3fb8aa3b, v9, -v11
	v_rndne_f32_e32 v16, v5
	v_dual_fmac_f32 v13, 0x32a5705f, v3 :: v_dual_sub_f32 v4, v4, v14
	s_delay_alu instid0(VALU_DEP_4) | instskip(SKIP_2) | instid1(VALU_DEP_4)
	v_sub_f32_e32 v11, v11, v18
	v_mul_f32_e32 v12, 0x3fb8aa3b, v10
	v_fma_f32 v15, 0x3fb8aa3b, v8, -v5
	v_dual_sub_f32 v5, v5, v16 :: v_dual_add_f32 v4, v4, v13
	v_cvt_i32_f32_e32 v13, v14
	s_delay_alu instid0(VALU_DEP_4) | instskip(SKIP_4) | instid1(VALU_DEP_3)
	v_fma_f32 v19, 0x3fb8aa3b, v10, -v12
	v_rndne_f32_e32 v28, v12
	v_fmac_f32_e32 v17, 0x32a5705f, v9
	v_exp_f32_e32 v4, v4
	v_cvt_i32_f32_e32 v14, v18
	v_sub_f32_e32 v12, v12, v28
	s_delay_alu instid0(TRANS32_DEP_1) | instskip(SKIP_2) | instid1(VALU_DEP_3)
	v_ldexp_f32 v4, v4, v13
	v_fmac_f32_e32 v19, 0x32a5705f, v10
	v_cvt_i32_f32_e32 v13, v28
	v_cndmask_b32_e32 v4, 0, v4, vcc_lo
	s_delay_alu instid0(VALU_DEP_3) | instskip(SKIP_2) | instid1(VALU_DEP_3)
	v_dual_fmac_f32 v15, 0x32a5705f, v8 :: v_dual_add_f32 v12, v12, v19
	v_add_f32_e32 v11, v11, v17
	v_cmp_ngt_f32_e32 vcc_lo, 0xc2ce8ed0, v9
	v_add_f32_e32 v5, v5, v15
	v_cvt_i32_f32_e32 v15, v16
	s_delay_alu instid0(VALU_DEP_4) | instskip(SKIP_1) | instid1(VALU_DEP_2)
	v_exp_f32_e32 v11, v11
	v_exp_f32_e32 v12, v12
	v_exp_f32_e32 v5, v5
	s_delay_alu instid0(TRANS32_DEP_3) | instskip(NEXT) | instid1(TRANS32_DEP_2)
	v_ldexp_f32 v11, v11, v14
	v_ldexp_f32 v12, v12, v13
	s_delay_alu instid0(VALU_DEP_2) | instskip(SKIP_1) | instid1(TRANS32_DEP_1)
	v_cndmask_b32_e32 v11, 0, v11, vcc_lo
	v_cmp_nlt_f32_e32 vcc_lo, 0x42b17218, v3
	v_ldexp_f32 v3, v5, v15
	v_cndmask_b32_e32 v4, 0x7f800000, v4, vcc_lo
	v_cmp_nlt_f32_e32 vcc_lo, 0x42b17218, v9
	s_delay_alu instid0(VALU_DEP_2) | instskip(SKIP_2) | instid1(VALU_DEP_3)
	v_cvt_f16_f32_e32 v9, v4
	v_cndmask_b32_e32 v5, 0x7f800000, v11, vcc_lo
	v_cmp_ngt_f32_e32 vcc_lo, 0xc2ce8ed0, v8
	v_and_b32_e32 v13, 0xffff, v9
	v_cndmask_b32_e32 v3, 0, v3, vcc_lo
	v_cmp_ngt_f32_e32 vcc_lo, 0xc2ce8ed0, v10
	v_cndmask_b32_e32 v11, 0, v12, vcc_lo
	v_cvt_f16_f32_e32 v12, v5
	v_cmp_nlt_f32_e32 vcc_lo, 0x42b17218, v8
	v_cndmask_b32_e32 v8, 0x7f800000, v3, vcc_lo
	v_cmp_nlt_f32_e32 vcc_lo, 0x42b17218, v10
	s_delay_alu instid0(VALU_DEP_4) | instskip(SKIP_2) | instid1(VALU_DEP_3)
	v_and_b32_e32 v3, 0xffff, v12
	v_mul_u32_u24_e32 v10, 0x10001, v13
	v_cndmask_b32_e32 v9, 0x7f800000, v11, vcc_lo
	v_mul_u32_u24_e32 v3, 0x10001, v3
	s_delay_alu instid0(VALU_DEP_3)
	v_pk_mul_f16 v21, v21, v10
	v_pk_mul_f16 v27, v27, v10
	;; [unrolled: 1-line block ×3, first 2 shown]
	v_pk_fma_f32 v[0:1], v[0:1], v[4:5], v[8:9]
	v_pk_mul_f16 v25, v25, v10
	v_pk_mul_f16 v20, v20, v3
	;; [unrolled: 1-line block ×5, first 2 shown]
.LBB59_22:
	s_mov_b32 s3, exec_lo
	v_cmpx_gt_i32_e64 s22, v100
	s_cbranch_execz .LBB59_31
; %bb.23:
	s_load_b32 s0, s[0:1], 0xd4
	v_mov_b32_e32 v4, 1.0
	s_wait_kmcnt 0x0
	s_cmp_lg_u32 s0, 1
	s_cselect_b32 s3, -1, 0
	s_cmp_eq_u32 s0, 1
	s_cselect_b32 s1, -1, 0
	s_and_b32 vcc_lo, exec_lo, s3
	s_cbranch_vccnz .LBB59_25
; %bb.24:
	v_div_scale_f32 v3, null, v0, v0, 1.0
	s_delay_alu instid0(VALU_DEP_1) | instskip(SKIP_1) | instid1(TRANS32_DEP_1)
	v_rcp_f32_e32 v4, v3
	v_nop
	v_fma_f32 v5, -v3, v4, 1.0
	s_delay_alu instid0(VALU_DEP_1) | instskip(SKIP_1) | instid1(VALU_DEP_1)
	v_fmac_f32_e32 v4, v5, v4
	v_div_scale_f32 v5, vcc_lo, 1.0, v0, 1.0
	v_mul_f32_e32 v6, v5, v4
	s_delay_alu instid0(VALU_DEP_1) | instskip(NEXT) | instid1(VALU_DEP_1)
	v_fma_f32 v7, -v3, v6, v5
	v_fmac_f32_e32 v6, v7, v4
	s_delay_alu instid0(VALU_DEP_1) | instskip(NEXT) | instid1(VALU_DEP_1)
	v_fma_f32 v3, -v3, v6, v5
	v_div_fmas_f32 v3, v3, v4, v6
	s_delay_alu instid0(VALU_DEP_1)
	v_div_fixup_f32 v4, v3, v0, 1.0
.LBB59_25:
	v_mad_u32 v3, s2, s22, v100
	v_dual_mov_b32 v13, 0 :: v_dual_lshrrev_b32 v5, 16, v27
	v_dual_lshrrev_b32 v11, 16, v26 :: v_dual_lshrrev_b32 v15, 16, v25
	v_cvt_f32_f16_e32 v6, v21
	v_cvt_f32_f16_e32 v8, v27
	s_delay_alu instid0(VALU_DEP_4)
	v_cvt_f32_f16_e32 v9, v5
	v_cvt_f32_f16_e32 v10, v26
	;; [unrolled: 1-line block ×4, first 2 shown]
	v_mad_u32 v2, v3, s23, v2
	v_lshrrev_b32_e32 v3, 16, v21
	v_cvt_f32_f16_e32 v15, v15
	v_cmp_eq_u32_e32 vcc_lo, 0, v77
	v_pk_mul_f32 v[8:9], v[4:5], v[8:9] op_sel_hi:[0,1]
	v_pk_mul_f32 v[10:11], v[4:5], v[10:11] op_sel_hi:[0,1]
	v_cvt_f32_f16_e32 v7, v3
	s_and_b32 s2, vcc_lo, s3
	s_delay_alu instid0(VALU_DEP_1) | instskip(SKIP_1) | instid1(VALU_DEP_1)
	v_pk_mul_f32 v[6:7], v[4:5], v[6:7] op_sel_hi:[0,1]
	v_mad_u32 v2, s0, v2, s29
	v_lshl_add_u32 v12, v2, 8, v101
	s_delay_alu instid0(VALU_DEP_1) | instskip(SKIP_1) | instid1(VALU_DEP_1)
	v_lshl_add_u64 v[16:17], v[12:13], 2, s[16:17]
	v_add_nc_u32_e32 v12, 0x80, v12
	v_lshl_add_u64 v[18:19], v[12:13], 2, s[16:17]
	v_pk_mul_f32 v[12:13], v[4:5], v[14:15] op_sel_hi:[0,1]
	s_clause 0x1
	global_store_b128 v[16:17], v[6:9], off
	global_store_b128 v[18:19], v[10:13], off
	s_wait_xcnt 0x0
	s_and_saveexec_b32 s3, s2
	s_cbranch_execz .LBB59_27
; %bb.26:
	v_dual_mov_b32 v4, v98 :: v_dual_mov_b32 v5, v0
	global_store_b64 v2, v[4:5], s[18:19] scale_offset
.LBB59_27:
	s_wait_xcnt 0x0
	s_or_b32 exec_lo, exec_lo, s3
	v_mov_b32_e32 v0, 1.0
	s_and_not1_b32 vcc_lo, exec_lo, s1
	s_cbranch_vccnz .LBB59_29
; %bb.28:
	v_div_scale_f32 v0, null, v1, v1, 1.0
	s_delay_alu instid0(VALU_DEP_1) | instskip(SKIP_1) | instid1(TRANS32_DEP_1)
	v_rcp_f32_e32 v3, v0
	v_nop
	v_fma_f32 v4, -v0, v3, 1.0
	s_delay_alu instid0(VALU_DEP_1) | instskip(SKIP_1) | instid1(VALU_DEP_1)
	v_fmac_f32_e32 v3, v4, v3
	v_div_scale_f32 v4, vcc_lo, 1.0, v1, 1.0
	v_mul_f32_e32 v5, v4, v3
	s_delay_alu instid0(VALU_DEP_1) | instskip(NEXT) | instid1(VALU_DEP_1)
	v_fma_f32 v6, -v0, v5, v4
	v_fmac_f32_e32 v5, v6, v3
	s_delay_alu instid0(VALU_DEP_1) | instskip(NEXT) | instid1(VALU_DEP_1)
	v_fma_f32 v0, -v0, v5, v4
	v_div_fmas_f32 v0, v0, v3, v5
	s_delay_alu instid0(VALU_DEP_1)
	v_div_fixup_f32 v0, v0, v1, 1.0
.LBB59_29:
	v_dual_mov_b32 v9, 0 :: v_dual_add_nc_u32 v2, s0, v2
	v_dual_lshrrev_b32 v3, 16, v20 :: v_dual_lshrrev_b32 v10, 16, v22
	v_dual_lshrrev_b32 v6, 16, v24 :: v_dual_lshrrev_b32 v14, 16, v23
	s_delay_alu instid0(VALU_DEP_3) | instskip(SKIP_1) | instid1(VALU_DEP_4)
	v_lshl_add_u32 v8, v2, 8, v101
	v_cvt_f32_f16_e32 v4, v20
	v_cvt_f32_f16_e32 v5, v3
	s_delay_alu instid0(VALU_DEP_4)
	v_cvt_f32_f16_e32 v7, v6
	v_cvt_f32_f16_e32 v6, v24
	v_lshl_add_u64 v[12:13], v[8:9], 2, s[16:17]
	v_add_nc_u32_e32 v8, 0x80, v8
	v_cvt_f32_f16_e32 v11, v10
	v_cvt_f32_f16_e32 v10, v22
	;; [unrolled: 1-line block ×4, first 2 shown]
	v_pk_mul_f32 v[4:5], v[0:1], v[4:5] op_sel_hi:[0,1]
	v_pk_mul_f32 v[6:7], v[0:1], v[6:7] op_sel_hi:[0,1]
	v_lshl_add_u64 v[16:17], v[8:9], 2, s[16:17]
	v_pk_mul_f32 v[8:9], v[0:1], v[10:11] op_sel_hi:[0,1]
	v_pk_mul_f32 v[10:11], v[0:1], v[14:15] op_sel_hi:[0,1]
	s_clause 0x1
	global_store_b128 v[12:13], v[4:7], off
	global_store_b128 v[16:17], v[8:11], off
	s_wait_xcnt 0x0
	s_and_b32 exec_lo, exec_lo, s2
	s_cbranch_execz .LBB59_31
; %bb.30:
	v_mov_b32_e32 v0, v99
	global_store_b64 v2, v[0:1], s[18:19] scale_offset
.LBB59_31:
	s_sendmsg sendmsg(MSG_DEALLOC_VGPRS)
	s_endpgm
	.section	.rodata,"a",@progbits
	.p2align	6, 0x0
	.amdhsa_kernel _ZL15flash_attn_tileILi256ELi256ELi2ELi8ELb1EEvPKcS1_S1_S1_S1_PKiPfP15HIP_vector_typeIfLj2EEffffjfiS5_IjLj3EEiiiiiiiiiiiliiliiiiil
		.amdhsa_group_segment_fixed_size 26112
		.amdhsa_private_segment_fixed_size 0
		.amdhsa_kernarg_size 464
		.amdhsa_user_sgpr_count 2
		.amdhsa_user_sgpr_dispatch_ptr 0
		.amdhsa_user_sgpr_queue_ptr 0
		.amdhsa_user_sgpr_kernarg_segment_ptr 1
		.amdhsa_user_sgpr_dispatch_id 0
		.amdhsa_user_sgpr_kernarg_preload_length 0
		.amdhsa_user_sgpr_kernarg_preload_offset 0
		.amdhsa_user_sgpr_private_segment_size 0
		.amdhsa_wavefront_size32 1
		.amdhsa_uses_dynamic_stack 0
		.amdhsa_enable_private_segment 0
		.amdhsa_system_sgpr_workgroup_id_x 1
		.amdhsa_system_sgpr_workgroup_id_y 1
		.amdhsa_system_sgpr_workgroup_id_z 1
		.amdhsa_system_sgpr_workgroup_info 0
		.amdhsa_system_vgpr_workitem_id 1
		.amdhsa_next_free_vgpr 130
		.amdhsa_next_free_sgpr 42
		.amdhsa_named_barrier_count 0
		.amdhsa_reserve_vcc 1
		.amdhsa_float_round_mode_32 0
		.amdhsa_float_round_mode_16_64 0
		.amdhsa_float_denorm_mode_32 3
		.amdhsa_float_denorm_mode_16_64 3
		.amdhsa_fp16_overflow 0
		.amdhsa_memory_ordered 1
		.amdhsa_forward_progress 1
		.amdhsa_inst_pref_size 79
		.amdhsa_round_robin_scheduling 0
		.amdhsa_exception_fp_ieee_invalid_op 0
		.amdhsa_exception_fp_denorm_src 0
		.amdhsa_exception_fp_ieee_div_zero 0
		.amdhsa_exception_fp_ieee_overflow 0
		.amdhsa_exception_fp_ieee_underflow 0
		.amdhsa_exception_fp_ieee_inexact 0
		.amdhsa_exception_int_div_zero 0
	.end_amdhsa_kernel
	.section	.text._ZL15flash_attn_tileILi256ELi256ELi2ELi8ELb1EEvPKcS1_S1_S1_S1_PKiPfP15HIP_vector_typeIfLj2EEffffjfiS5_IjLj3EEiiiiiiiiiiiliiliiiiil,"axG",@progbits,_ZL15flash_attn_tileILi256ELi256ELi2ELi8ELb1EEvPKcS1_S1_S1_S1_PKiPfP15HIP_vector_typeIfLj2EEffffjfiS5_IjLj3EEiiiiiiiiiiiliiliiiiil,comdat
.Lfunc_end59:
	.size	_ZL15flash_attn_tileILi256ELi256ELi2ELi8ELb1EEvPKcS1_S1_S1_S1_PKiPfP15HIP_vector_typeIfLj2EEffffjfiS5_IjLj3EEiiiiiiiiiiiliiliiiiil, .Lfunc_end59-_ZL15flash_attn_tileILi256ELi256ELi2ELi8ELb1EEvPKcS1_S1_S1_S1_PKiPfP15HIP_vector_typeIfLj2EEffffjfiS5_IjLj3EEiiiiiiiiiiiliiliiiiil
                                        ; -- End function
	.set _ZL15flash_attn_tileILi256ELi256ELi2ELi8ELb1EEvPKcS1_S1_S1_S1_PKiPfP15HIP_vector_typeIfLj2EEffffjfiS5_IjLj3EEiiiiiiiiiiiliiliiiiil.num_vgpr, 130
	.set _ZL15flash_attn_tileILi256ELi256ELi2ELi8ELb1EEvPKcS1_S1_S1_S1_PKiPfP15HIP_vector_typeIfLj2EEffffjfiS5_IjLj3EEiiiiiiiiiiiliiliiiiil.num_agpr, 0
	.set _ZL15flash_attn_tileILi256ELi256ELi2ELi8ELb1EEvPKcS1_S1_S1_S1_PKiPfP15HIP_vector_typeIfLj2EEffffjfiS5_IjLj3EEiiiiiiiiiiiliiliiiiil.numbered_sgpr, 42
	.set _ZL15flash_attn_tileILi256ELi256ELi2ELi8ELb1EEvPKcS1_S1_S1_S1_PKiPfP15HIP_vector_typeIfLj2EEffffjfiS5_IjLj3EEiiiiiiiiiiiliiliiiiil.num_named_barrier, 0
	.set _ZL15flash_attn_tileILi256ELi256ELi2ELi8ELb1EEvPKcS1_S1_S1_S1_PKiPfP15HIP_vector_typeIfLj2EEffffjfiS5_IjLj3EEiiiiiiiiiiiliiliiiiil.private_seg_size, 0
	.set _ZL15flash_attn_tileILi256ELi256ELi2ELi8ELb1EEvPKcS1_S1_S1_S1_PKiPfP15HIP_vector_typeIfLj2EEffffjfiS5_IjLj3EEiiiiiiiiiiiliiliiiiil.uses_vcc, 1
	.set _ZL15flash_attn_tileILi256ELi256ELi2ELi8ELb1EEvPKcS1_S1_S1_S1_PKiPfP15HIP_vector_typeIfLj2EEffffjfiS5_IjLj3EEiiiiiiiiiiiliiliiiiil.uses_flat_scratch, 0
	.set _ZL15flash_attn_tileILi256ELi256ELi2ELi8ELb1EEvPKcS1_S1_S1_S1_PKiPfP15HIP_vector_typeIfLj2EEffffjfiS5_IjLj3EEiiiiiiiiiiiliiliiiiil.has_dyn_sized_stack, 0
	.set _ZL15flash_attn_tileILi256ELi256ELi2ELi8ELb1EEvPKcS1_S1_S1_S1_PKiPfP15HIP_vector_typeIfLj2EEffffjfiS5_IjLj3EEiiiiiiiiiiiliiliiiiil.has_recursion, 0
	.set _ZL15flash_attn_tileILi256ELi256ELi2ELi8ELb1EEvPKcS1_S1_S1_S1_PKiPfP15HIP_vector_typeIfLj2EEffffjfiS5_IjLj3EEiiiiiiiiiiiliiliiiiil.has_indirect_call, 0
	.section	.AMDGPU.csdata,"",@progbits
; Kernel info:
; codeLenInByte = 9996
; TotalNumSgprs: 44
; NumVgprs: 130
; ScratchSize: 0
; MemoryBound: 0
; FloatMode: 240
; IeeeMode: 1
; LDSByteSize: 26112 bytes/workgroup (compile time only)
; SGPRBlocks: 0
; VGPRBlocks: 8
; NumSGPRsForWavesPerEU: 44
; NumVGPRsForWavesPerEU: 130
; NamedBarCnt: 0
; Occupancy: 7
; WaveLimiterHint : 1
; COMPUTE_PGM_RSRC2:SCRATCH_EN: 0
; COMPUTE_PGM_RSRC2:USER_SGPR: 2
; COMPUTE_PGM_RSRC2:TRAP_HANDLER: 0
; COMPUTE_PGM_RSRC2:TGID_X_EN: 1
; COMPUTE_PGM_RSRC2:TGID_Y_EN: 1
; COMPUTE_PGM_RSRC2:TGID_Z_EN: 1
; COMPUTE_PGM_RSRC2:TIDIG_COMP_CNT: 1
	.section	.text._ZL15flash_attn_tileILi256ELi256ELi1ELi8ELb1EEvPKcS1_S1_S1_S1_PKiPfP15HIP_vector_typeIfLj2EEffffjfiS5_IjLj3EEiiiiiiiiiiiliiliiiiil,"axG",@progbits,_ZL15flash_attn_tileILi256ELi256ELi1ELi8ELb1EEvPKcS1_S1_S1_S1_PKiPfP15HIP_vector_typeIfLj2EEffffjfiS5_IjLj3EEiiiiiiiiiiiliiliiiiil,comdat
	.globl	_ZL15flash_attn_tileILi256ELi256ELi1ELi8ELb1EEvPKcS1_S1_S1_S1_PKiPfP15HIP_vector_typeIfLj2EEffffjfiS5_IjLj3EEiiiiiiiiiiiliiliiiiil ; -- Begin function _ZL15flash_attn_tileILi256ELi256ELi1ELi8ELb1EEvPKcS1_S1_S1_S1_PKiPfP15HIP_vector_typeIfLj2EEffffjfiS5_IjLj3EEiiiiiiiiiiiliiliiiiil
	.p2align	8
	.type	_ZL15flash_attn_tileILi256ELi256ELi1ELi8ELb1EEvPKcS1_S1_S1_S1_PKiPfP15HIP_vector_typeIfLj2EEffffjfiS5_IjLj3EEiiiiiiiiiiiliiliiiiil,@function
_ZL15flash_attn_tileILi256ELi256ELi1ELi8ELb1EEvPKcS1_S1_S1_S1_PKiPfP15HIP_vector_typeIfLj2EEffffjfiS5_IjLj3EEiiiiiiiiiiiliiliiiiil: ; @_ZL15flash_attn_tileILi256ELi256ELi1ELi8ELb1EEvPKcS1_S1_S1_S1_PKiPfP15HIP_vector_typeIfLj2EEffffjfiS5_IjLj3EEiiiiiiiiiiiliiliiiiil
; %bb.0:
	s_clause 0x1
	s_load_b128 s[20:23], s[0:1], 0x5c
	s_load_b64 s[28:29], s[0:1], 0x80
	s_bfe_u32 s5, ttmp6, 0x40014
	s_lshr_b32 s4, ttmp7, 16
	s_add_co_i32 s5, s5, 1
	s_bfe_u32 s6, ttmp6, 0x40008
	s_mul_i32 s5, s4, s5
	s_getreg_b32 s27, hwreg(HW_REG_IB_STS2, 6, 4)
	s_add_co_i32 s6, s6, s5
	s_load_b64 s[36:37], s[0:1], 0xb8
	s_mov_b32 s35, 0
	s_mov_b64 s[30:31], 0
	s_wait_kmcnt 0x0
	s_ashr_i32 s2, s23, 31
	s_delay_alu instid0(SALU_CYCLE_1) | instskip(NEXT) | instid1(SALU_CYCLE_1)
	s_lshr_b32 s2, s2, 29
	s_add_co_i32 s2, s23, s2
	s_delay_alu instid0(SALU_CYCLE_1) | instskip(NEXT) | instid1(SALU_CYCLE_1)
	s_ashr_i32 s2, s2, 3
	s_cvt_f32_u32 s3, s2
	s_sub_co_i32 s7, 0, s2
	s_delay_alu instid0(SALU_CYCLE_2) | instskip(SKIP_1) | instid1(TRANS32_DEP_1)
	v_rcp_iflag_f32_e32 v1, s3
	v_nop
	v_readfirstlane_b32 s3, v1
	s_mul_f32 s3, s3, 0x4f7ffffe
	s_delay_alu instid0(SALU_CYCLE_3) | instskip(NEXT) | instid1(SALU_CYCLE_3)
	s_cvt_u32_f32 s3, s3
	s_mul_i32 s7, s7, s3
	s_delay_alu instid0(SALU_CYCLE_1) | instskip(NEXT) | instid1(SALU_CYCLE_1)
	s_mul_hi_u32 s7, s3, s7
	s_add_co_i32 s3, s3, s7
	s_cmp_eq_u32 s27, 0
	s_cselect_b32 s4, s4, s6
	s_delay_alu instid0(SALU_CYCLE_1) | instskip(NEXT) | instid1(SALU_CYCLE_1)
	s_mul_hi_u32 s3, s4, s3
	s_mul_i32 s5, s3, s2
	s_add_co_i32 s6, s3, 1
	s_sub_co_i32 s5, s4, s5
	s_delay_alu instid0(SALU_CYCLE_1)
	s_sub_co_i32 s7, s5, s2
	s_cmp_ge_u32 s5, s2
	s_cselect_b32 s3, s6, s3
	s_cselect_b32 s5, s7, s5
	s_add_co_i32 s6, s3, 1
	s_cmp_ge_u32 s5, s2
	s_cselect_b32 s2, s6, s3
	s_abs_i32 s3, s29
	s_lshl_b32 s4, s4, 3
	s_cvt_f32_u32 s5, s3
	s_sub_co_i32 s6, 0, s3
	s_mul_i32 s7, s2, s23
	s_abs_i32 s8, s23
	v_rcp_iflag_f32_e32 v1, s5
	s_sub_co_i32 s33, s4, s7
	v_nop
	s_delay_alu instid0(TRANS32_DEP_1) | instskip(SKIP_1) | instid1(SALU_CYCLE_3)
	v_readfirstlane_b32 s5, v1
	s_mul_f32 s5, s5, 0x4f7ffffe
	s_cvt_u32_f32 s5, s5
	s_delay_alu instid0(SALU_CYCLE_3) | instskip(NEXT) | instid1(SALU_CYCLE_1)
	s_mul_i32 s6, s6, s5
	s_mul_hi_u32 s6, s5, s6
	s_delay_alu instid0(SALU_CYCLE_1) | instskip(NEXT) | instid1(SALU_CYCLE_1)
	s_add_co_i32 s5, s5, s6
	s_mul_hi_u32 s4, s8, s5
	s_xor_b32 s5, s23, s29
	s_mul_i32 s6, s4, s3
	s_ashr_i32 s24, s5, 31
	s_sub_co_i32 s5, s8, s6
	s_add_co_i32 s6, s4, 1
	s_sub_co_i32 s7, s5, s3
	s_cmp_ge_u32 s5, s3
	s_cselect_b32 s4, s6, s4
	s_cselect_b32 s5, s7, s5
	s_add_co_i32 s6, s4, 1
	s_cmp_ge_u32 s5, s3
	s_cselect_b32 s3, s6, s4
	s_load_b512 s[4:19], s[0:1], 0x0
	s_xor_b32 s3, s3, s24
	s_delay_alu instid0(SALU_CYCLE_1) | instskip(NEXT) | instid1(SALU_CYCLE_1)
	s_sub_co_i32 s3, s3, s24
	s_abs_i32 s38, s3
	s_delay_alu instid0(SALU_CYCLE_1) | instskip(NEXT) | instid1(SALU_CYCLE_3)
	s_cvt_f32_u32 s24, s38
	v_rcp_iflag_f32_e32 v1, s24
	v_nop
	s_delay_alu instid0(TRANS32_DEP_1)
	v_readfirstlane_b32 s34, v1
	s_wait_kmcnt 0x0
	s_cmp_eq_u64 s[10:11], 0
	s_cbranch_scc1 .LBB60_2
; %bb.1:
	s_abs_i32 s26, s36
	s_abs_i32 s29, s2
	s_cvt_f32_u32 s24, s26
	s_sub_co_i32 s25, 0, s26
	s_delay_alu instid0(SALU_CYCLE_2) | instskip(SKIP_1) | instid1(TRANS32_DEP_1)
	v_rcp_iflag_f32_e32 v1, s24
	v_nop
	v_readfirstlane_b32 s24, v1
	s_mul_f32 s24, s24, 0x4f7ffffe
	s_delay_alu instid0(SALU_CYCLE_3) | instskip(NEXT) | instid1(SALU_CYCLE_3)
	s_cvt_u32_f32 s24, s24
	s_mul_i32 s25, s25, s24
	s_delay_alu instid0(SALU_CYCLE_1) | instskip(NEXT) | instid1(SALU_CYCLE_1)
	s_mul_hi_u32 s25, s24, s25
	s_add_co_i32 s24, s24, s25
	s_delay_alu instid0(SALU_CYCLE_1) | instskip(SKIP_2) | instid1(SALU_CYCLE_1)
	s_mul_hi_u32 s30, s29, s24
	s_load_b64 s[24:25], s[0:1], 0xc8
	s_mul_i32 s30, s30, s26
	s_sub_co_i32 s29, s29, s30
	s_ashr_i32 s30, s2, 31
	s_sub_co_i32 s31, s29, s26
	s_cmp_ge_u32 s29, s26
	s_cselect_b32 s29, s31, s29
	s_delay_alu instid0(SALU_CYCLE_1) | instskip(SKIP_2) | instid1(SALU_CYCLE_1)
	s_sub_co_i32 s31, s29, s26
	s_cmp_ge_u32 s29, s26
	s_cselect_b32 s26, s31, s29
	s_xor_b32 s26, s26, s30
	s_delay_alu instid0(SALU_CYCLE_1) | instskip(NEXT) | instid1(SALU_CYCLE_1)
	s_sub_co_i32 s30, s26, s30
	s_ashr_i32 s31, s30, 31
	s_wait_kmcnt 0x0
	s_mul_u64 s[24:25], s[24:25], s[30:31]
	s_delay_alu instid0(SALU_CYCLE_1)
	s_add_nc_u64 s[30:31], s[10:11], s[24:25]
.LBB60_2:
	s_bfe_u32 s10, ttmp6, 0x4000c
	v_dual_lshrrev_b32 v1, 10, v0 :: v_dual_mov_b32 v3, 0
	s_add_co_i32 s10, s10, 1
	s_and_b32 s11, ttmp6, 15
	s_mul_i32 s10, ttmp9, s10
	s_delay_alu instid0(VALU_DEP_1) | instskip(SKIP_4) | instid1(SALU_CYCLE_1)
	v_bfe_u32 v1, v1, 2, 8
	s_add_co_i32 s11, s11, s10
	s_cmp_eq_u32 s27, 0
	s_load_b96 s[24:26], s[0:1], 0x70
	s_cselect_b32 s10, ttmp9, s11
	v_dual_mov_b32 v65, v3 :: v_dual_add_nc_u32 v104, s10, v1
	v_dual_mov_b32 v9, v3 :: v_dual_mov_b32 v11, v3
	s_delay_alu instid0(VALU_DEP_2) | instskip(NEXT) | instid1(VALU_DEP_1)
	v_mul_hi_u32 v1, s20, v104
	v_add_nc_u32_e32 v1, v104, v1
	s_wait_kmcnt 0x0
	s_mul_i32 s20, s33, s25
	s_ashr_i32 s41, s25, 31
	s_mov_b32 s40, s25
	s_ashr_i32 s25, s24, 31
	v_lshrrev_b32_e32 v1, s21, v1
	s_lshr_b64 s[24:25], s[24:25], 2
	s_ashr_i32 s21, s20, 31
	s_delay_alu instid0(VALU_DEP_1) | instskip(NEXT) | instid1(VALU_DEP_1)
	v_mul_lo_u32 v1, v1, s22
	v_sub_nc_u32_e32 v2, v104, v1
	v_bfe_u32 v1, v0, 10, 10
	s_delay_alu instid0(VALU_DEP_1) | instskip(NEXT) | instid1(VALU_DEP_3)
	v_lshlrev_b32_e32 v24, 1, v1
	v_mul_u64_e32 v[4:5], s[24:25], v[2:3]
	s_lshr_b64 s[24:25], s[40:41], 2
	s_delay_alu instid0(VALU_DEP_2) | instskip(SKIP_1) | instid1(VALU_DEP_2)
	v_and_b32_e32 v64, 6, v24
	v_bitop3_b32 v8, v24, 7, 1 bitop3:0xc8
	v_mul_u64_e32 v[6:7], s[24:25], v[64:65]
	s_delay_alu instid0(VALU_DEP_2)
	v_mul_u64_e32 v[8:9], s[24:25], v[8:9]
	s_mul_i32 s24, s2, s26
	v_and_b32_e32 v65, 0x3ff, v0
	s_ashr_i32 s25, s24, 31
	s_cmp_eq_u64 s[14:15], 0
	s_add_nc_u64 s[4:5], s[4:5], s[24:25]
	s_delay_alu instid0(SALU_CYCLE_1) | instskip(SKIP_3) | instid1(VALU_DEP_1)
	s_add_nc_u64 s[4:5], s[4:5], s[20:21]
	v_dual_lshlrev_b32 v10, 4, v65 :: v_dual_lshlrev_b32 v106, 3, v65
	v_lshl_add_u64 v[4:5], v[4:5], 2, s[4:5]
	s_load_b32 s4, s[0:1], 0x40
	v_add_nc_u64_e32 v[10:11], v[4:5], v[10:11]
	s_delay_alu instid0(VALU_DEP_1)
	v_lshl_add_u64 v[20:21], v[6:7], 2, v[10:11]
	v_lshl_add_u64 v[22:23], v[8:9], 2, v[10:11]
	s_clause 0x3
	global_load_b128 v[4:7], v[20:21], off
	global_load_b128 v[8:11], v[20:21], off offset:512
	global_load_b128 v[12:15], v[22:23], off
	global_load_b128 v[16:19], v[22:23], off offset:512
	s_wait_xcnt 0x2
	v_or_b32_e32 v20, 1, v24
	v_add_nc_u32_e32 v3, 0x4200, v106
	s_wait_loadcnt 0x2
	s_wait_kmcnt 0x0
	v_fma_mixlo_f16 v8, s4, v8, 0
	v_fma_mixlo_f16 v4, s4, v4, 0
	;; [unrolled: 1-line block ×5, first 2 shown]
	v_lshlrev_b32_e32 v0, 10, v1
	v_fma_mixlo_f16 v9, s4, v9, 0
	v_fma_mixlo_f16 v10, s4, v10, 0
	;; [unrolled: 1-line block ×3, first 2 shown]
	s_wait_loadcnt 0x1
	v_fma_mixlo_f16 v12, s4, v12, 0
	v_fma_mixlo_f16 v13, s4, v13, 0
	s_wait_loadcnt 0x0
	v_fma_mixlo_f16 v16, s4, v16, 0
	v_fma_mixlo_f16 v17, s4, v17, 0
	v_lshlrev_b32_e32 v5, 16, v5
	v_and_b32_e32 v4, 0xffff, v4
	v_dual_lshlrev_b32 v7, 16, v7 :: v_dual_add_nc_u32 v21, v3, v0
	v_and_b32_e32 v6, 0xffff, v6
	v_dual_lshlrev_b32 v9, 16, v9 :: v_dual_lshlrev_b32 v11, 16, v11
	v_and_b32_e32 v8, 0xffff, v8
	v_fma_mixlo_f16 v14, s4, v14, 0
	v_fma_mixlo_f16 v15, s4, v15, 0
	;; [unrolled: 1-line block ×4, first 2 shown]
	v_and_b32_e32 v10, 0xffff, v10
	s_delay_alu instid0(VALU_DEP_4) | instskip(SKIP_1) | instid1(VALU_DEP_4)
	v_dual_lshlrev_b32 v13, 16, v13 :: v_dual_lshlrev_b32 v15, 16, v15
	v_and_b32_e32 v12, 0xffff, v12
	v_dual_lshlrev_b32 v17, 16, v17 :: v_dual_lshlrev_b32 v19, 16, v19
	v_and_b32_e32 v16, 0xffff, v16
	v_or_b32_e32 v4, v5, v4
	v_or3_b32 v5, v7, v6, 0
	v_or_b32_e32 v6, v9, v8
	v_and_b32_e32 v14, 0xffff, v14
	v_and_b32_e32 v18, 0xffff, v18
	v_or3_b32 v7, v11, v10, 0
	v_or_b32_e32 v8, v13, v12
	v_or_b32_e32 v10, v17, v16
	v_or3_b32 v4, 0, 0, v4
	v_or3_b32 v6, 0, 0, v6
	v_lshl_add_u32 v3, v20, 9, v3
	v_or3_b32 v9, v15, v14, 0
	v_or3_b32 v11, v19, v18, 0
	;; [unrolled: 1-line block ×4, first 2 shown]
	ds_store_2addr_b64 v21, v[4:5], v[6:7] offset1:32
	ds_store_2addr_b64 v3, v[8:9], v[10:11] offset1:32
	s_wait_dscnt 0x0
	s_barrier_signal -1
	s_barrier_wait -1
	s_cbranch_scc1 .LBB60_4
; %bb.3:
	s_load_b32 s4, s[0:1], 0xd0
	s_wait_kmcnt 0x0
	s_mul_i32 s4, s4, s2
	s_delay_alu instid0(SALU_CYCLE_1)
	s_add_co_i32 s4, s4, s10
	s_load_b32 s28, s[14:15], s4 offset:0x0 scale_offset
.LBB60_4:
	s_wait_xcnt 0x0
	s_bfe_u32 s4, ttmp6, 0x40010
	s_and_b32 s5, ttmp7, 0xffff
	s_add_co_i32 s4, s4, 1
	s_bfe_u32 s10, ttmp6, 0x40004
	s_mul_i32 s4, s5, s4
	v_lshlrev_b32_e32 v105, 2, v65
	s_add_co_i32 s10, s10, s4
	s_cmp_eq_u32 s27, 0
	v_mbcnt_lo_u32_b32 v107, -1, 0
	s_cselect_b32 s29, s5, s10
	s_mov_b32 s5, 0
	s_lshl_b32 s4, s29, 5
	s_wait_kmcnt 0x0
	s_cmp_lt_i32 s4, s28
	s_cbranch_scc1 .LBB60_7
; %bb.5:
	v_mbcnt_lo_u32_b32 v3, -1, 0
	s_delay_alu instid0(VALU_DEP_1)
	v_dual_mov_b32 v108, 32 :: v_dual_bitop2_b32 v133, 16, v3 bitop3:0x14
	v_xor_b32_e32 v129, 8, v3
	v_xor_b32_e32 v130, 4, v3
	;; [unrolled: 1-line block ×4, first 2 shown]
	s_and_not1_b32 vcc_lo, exec_lo, s5
	s_cbranch_vccz .LBB60_8
; %bb.6:
	v_dual_mov_b32 v83, 0 :: v_dual_mov_b32 v40, 0
	v_dual_mov_b32 v103, 0xfeffffff :: v_dual_mov_b32 v102, 0xfeffffff
	s_delay_alu instid0(VALU_DEP_2)
	v_dual_mov_b32 v43, 0 :: v_dual_mov_b32 v82, v83
	v_dual_mov_b32 v42, 0 :: v_dual_mov_b32 v41, 0
	;; [unrolled: 1-line block ×4, first 2 shown]
	s_branch .LBB60_20
.LBB60_7:
                                        ; implicit-def: $vgpr3
                                        ; implicit-def: $vgpr108
                                        ; implicit-def: $vgpr133
                                        ; implicit-def: $vgpr129
                                        ; implicit-def: $vgpr130
                                        ; implicit-def: $vgpr131
                                        ; implicit-def: $vgpr132
.LBB60_8:
	s_clause 0x1
	s_load_b128 s[24:27], s[0:1], 0x98
	s_load_b64 s[20:21], s[0:1], 0x8c
	s_mul_f32 s5, s34, 0x4f7ffffe
	s_sub_co_i32 s10, 0, s38
	s_ashr_i32 s15, s3, 31
	s_abs_i32 s34, s33
	s_cvt_u32_f32 s5, s5
	s_mov_b32 s11, s35
	s_ashr_i32 s14, s33, 31
	s_ashr_i32 s39, s37, 1
	s_mul_i32 s10, s10, s5
	s_xor_b32 s15, s14, s15
	s_mul_hi_u32 s3, s5, s10
	s_load_b64 s[36:37], s[0:1], 0xa8
	s_add_co_i32 s10, s5, s3
	s_ashr_i32 s3, s2, 31
	s_mul_u64 s[10:11], s[34:35], s[10:11]
	s_load_b32 s35, s[0:1], 0x54
	s_mul_i32 s5, s11, s38
	v_mad_u32 v120, v2, s39, v65
	s_sub_co_i32 s5, s34, s5
	s_wait_kmcnt 0x0
	s_ashr_i32 s14, s20, 2
	s_ashr_i32 s10, s26, 2
	v_mul_lo_u32 v66, s14, v1
	s_add_co_i32 s34, s11, 1
	s_sub_co_i32 s40, s5, s38
	s_cmp_ge_u32 s5, s38
	v_mul_lo_u32 v76, s10, v1
	s_cselect_b32 s11, s34, s11
	s_cselect_b32 s5, s40, s5
	s_add_co_i32 s34, s11, 1
	s_cmp_ge_u32 s5, s38
	s_mul_u64 s[24:25], s[24:25], s[2:3]
	s_cselect_b32 s5, s34, s11
	s_and_b32 s11, s20, -4
	s_delay_alu instid0(SALU_CYCLE_1)
	v_dual_lshlrev_b32 v72, 2, v105 :: v_dual_add_nc_u32 v68, s11, v66
	s_xor_b32 s5, s5, s15
	s_add_nc_u64 s[6:7], s[6:7], s[24:25]
	v_ashrrev_i32_e32 v67, 31, v66
	s_sub_co_i32 s5, s5, s15
	v_add_nc_u32_e32 v70, s11, v68
	s_mul_i32 s20, s5, s21
	v_mad_u32_u24 v109, 0x210, v1, v72
	v_ashrrev_i32_e32 v69, 31, v68
	s_ashr_i32 s21, s20, 31
	v_add_nc_u32_e32 v74, s11, v70
	s_add_nc_u64 s[6:7], s[6:7], s[20:21]
	s_mul_u64 s[20:21], s[36:37], s[2:3]
	s_and_b32 s3, s26, -4
	s_delay_alu instid0(SALU_CYCLE_1) | instskip(SKIP_3) | instid1(VALU_DEP_3)
	v_dual_ashrrev_i32 v71, 31, v70 :: v_dual_add_nc_u32 v84, s3, v76
	v_dual_add_nc_u32 v78, s11, v74 :: v_dual_ashrrev_i32 v75, 31, v74
	v_dual_mov_b32 v73, 0 :: v_dual_add_nc_u32 v110, 0x840, v109
	v_lshl_add_u32 v119, v1, 9, v72
	v_dual_add_nc_u32 v80, s11, v78 :: v_dual_ashrrev_i32 v79, 31, v78
	s_mul_i32 s24, s5, s27
	v_dual_mov_b32 v108, 32 :: v_dual_add_nc_u32 v111, 0x1080, v109
	s_delay_alu instid0(VALU_DEP_2) | instskip(SKIP_2) | instid1(VALU_DEP_3)
	v_dual_add_nc_u32 v86, s11, v80 :: v_dual_ashrrev_i32 v81, 31, v80
	v_add_nc_u32_e32 v88, s3, v84
	v_dual_mov_b32 v83, v73 :: v_dual_add_nc_u32 v112, 0x18c0, v109
	v_dual_add_nc_u32 v90, s11, v86 :: v_dual_ashrrev_i32 v87, 31, v86
	s_delay_alu instid0(VALU_DEP_3) | instskip(SKIP_1) | instid1(VALU_DEP_3)
	v_add_nc_u32_e32 v92, s3, v88
	v_dual_mov_b32 v82, v73 :: v_dual_add_nc_u32 v113, 0x2100, v109
	v_ashrrev_i32_e32 v91, 31, v90
	v_dual_mov_b32 v37, v73 :: v_dual_add_nc_u32 v114, 0x2940, v109
	s_delay_alu instid0(VALU_DEP_4) | instskip(SKIP_3) | instid1(VALU_DEP_4)
	v_add_nc_u32_e32 v94, s3, v92
	v_ashrrev_i32_e32 v77, 31, v76
	v_dual_mov_b32 v38, v73 :: v_dual_add_nc_u32 v115, 0x3180, v109
	v_dual_mov_b32 v39, v73 :: v_dual_add_nc_u32 v116, 0x39c0, v109
	v_add_nc_u32_e32 v96, s3, v94
	v_mul_u32_u24_e32 v117, 0x210, v65
	v_dual_mov_b32 v41, v73 :: v_dual_add_nc_u32 v118, 0x4200, v0
	v_lshl_add_u32 v121, v1, 7, 0x5200
	s_delay_alu instid0(VALU_DEP_4) | instskip(SKIP_2) | instid1(VALU_DEP_3)
	v_dual_add_nc_u32 v98, s3, v96 :: v_dual_ashrrev_i32 v97, 31, v96
	v_ashrrev_i32_e32 v89, 31, v88
	v_dual_mov_b32 v43, v73 :: v_dual_add_nc_u32 v122, 0x800, v119
	v_dual_add_nc_u32 v100, s3, v98 :: v_dual_ashrrev_i32 v85, 31, v84
	v_ashrrev_i32_e32 v95, 31, v94
	v_dual_mov_b32 v36, v73 :: v_dual_add_nc_u32 v123, 0x1000, v119
	v_add_nc_u32_e32 v124, 0x1800, v119
	v_dual_ashrrev_i32 v93, 31, v92 :: v_dual_ashrrev_i32 v99, 31, v98
	v_dual_mov_b32 v42, v73 :: v_dual_add_nc_u32 v125, 0x2000, v119
	v_add_nc_u32_e32 v126, 0x2800, v119
	v_dual_mov_b32 v40, v73 :: v_dual_add_nc_u32 v127, 0x3000, v119
	v_add_nc_u32_e32 v128, 0x3800, v119
	v_dual_mov_b32 v32, 0xfeffffff :: v_dual_ashrrev_i32 v101, 31, v100
	v_mov_b32_e32 v33, 0xfeffffff
	s_add_nc_u64 s[8:9], s[8:9], s[20:21]
	s_ashr_i32 s25, s24, 31
	s_ashr_i32 s15, s14, 31
	s_add_nc_u64 s[8:9], s[8:9], s[24:25]
	s_ashr_i32 s11, s10, 31
	s_add_nc_u64 s[20:21], s[0:1], 0xd0
	s_mov_b32 s3, 0xbbbac73d
.LBB60_9:                               ; =>This Inner Loop Header: Depth=1
	s_ashr_i32 s5, s4, 31
	v_mov_b32_e32 v52, 0
	s_mul_u64 s[24:25], s[4:5], s[14:15]
	s_delay_alu instid0(SALU_CYCLE_1) | instskip(NEXT) | instid1(SALU_CYCLE_1)
	s_lshl_b64 s[24:25], s[24:25], 2
	s_add_nc_u64 s[24:25], s[6:7], s[24:25]
	s_delay_alu instid0(SALU_CYCLE_1)
	v_lshl_add_u64 v[0:1], v[66:67], 2, s[24:25]
	v_lshl_add_u64 v[2:3], v[68:69], 2, s[24:25]
	;; [unrolled: 1-line block ×6, first 2 shown]
	v_add_nc_u64_e32 v[0:1], v[0:1], v[72:73]
	v_lshl_add_u64 v[12:13], v[86:87], 2, s[24:25]
	v_lshl_add_u64 v[14:15], v[90:91], 2, s[24:25]
	v_add_nc_u64_e32 v[16:17], v[2:3], v[72:73]
	v_add_nc_u64_e32 v[18:19], v[4:5], v[72:73]
	;; [unrolled: 1-line block ×7, first 2 shown]
	s_clause 0x7
	global_load_b128 v[0:3], v[0:1], off
	global_load_b128 v[4:7], v[16:17], off
	;; [unrolled: 1-line block ×8, first 2 shown]
	s_wait_loadcnt 0x7
	ds_store_b128 v109, v[0:3]
	s_wait_loadcnt 0x6
	ds_store_b128 v110, v[4:7]
	;; [unrolled: 2-line block ×8, first 2 shown]
	s_wait_dscnt 0x0
	s_barrier_signal -1
	s_barrier_wait -1
	ds_load_b128 v[2:5], v117
	ds_load_b128 v[6:9], v118
	ds_load_b128 v[10:13], v118 offset:512
	v_dual_mov_b32 v1, 0 :: v_dual_add_nc_u32 v0, s4, v120
	s_wait_dscnt 0x1
	;;#ASMSTART
	v_dot2_f32_f16 v1, v2, v6, v1
	;;#ASMEND
	;;#ASMSTART
	v_dot2_f32_f16 v1, v3, v7, v1
	;;#ASMEND
	;;#ASMSTART
	v_dot2_f32_f16 v1, v4, v8, v1
	;;#ASMEND
	;;#ASMSTART
	v_dot2_f32_f16 v1, v5, v9, v1
	;;#ASMEND
	s_wait_dscnt 0x0
	;;#ASMSTART
	v_dot2_f32_f16 v52, v2, v10, v52
	;;#ASMEND
	;;#ASMSTART
	v_dot2_f32_f16 v52, v3, v11, v52
	;;#ASMEND
	;;#ASMSTART
	v_dot2_f32_f16 v52, v4, v12, v52
	;;#ASMEND
	;;#ASMSTART
	v_dot2_f32_f16 v52, v5, v13, v52
	;;#ASMEND
	ds_load_b128 v[2:5], v117 offset:16
	ds_load_b128 v[6:9], v118 offset:16
	ds_load_b128 v[10:13], v118 offset:528
	s_wait_dscnt 0x1
	;;#ASMSTART
	v_dot2_f32_f16 v1, v2, v6, v1
	;;#ASMEND
	;;#ASMSTART
	v_dot2_f32_f16 v1, v3, v7, v1
	;;#ASMEND
	;;#ASMSTART
	v_dot2_f32_f16 v1, v4, v8, v1
	;;#ASMEND
	;;#ASMSTART
	v_dot2_f32_f16 v1, v5, v9, v1
	;;#ASMEND
	s_wait_dscnt 0x0
	;;#ASMSTART
	v_dot2_f32_f16 v52, v2, v10, v52
	;;#ASMEND
	;;#ASMSTART
	v_dot2_f32_f16 v52, v3, v11, v52
	;;#ASMEND
	;;#ASMSTART
	v_dot2_f32_f16 v52, v4, v12, v52
	;;#ASMEND
	;;#ASMSTART
	v_dot2_f32_f16 v52, v5, v13, v52
	;;#ASMEND
	ds_load_b128 v[2:5], v117 offset:32
	ds_load_b128 v[6:9], v118 offset:32
	ds_load_b128 v[10:13], v118 offset:544
	s_wait_dscnt 0x1
	;;#ASMSTART
	v_dot2_f32_f16 v1, v2, v6, v1
	;;#ASMEND
	;;#ASMSTART
	v_dot2_f32_f16 v1, v3, v7, v1
	;;#ASMEND
	;;#ASMSTART
	v_dot2_f32_f16 v1, v4, v8, v1
	;;#ASMEND
	;;#ASMSTART
	v_dot2_f32_f16 v1, v5, v9, v1
	;;#ASMEND
	s_wait_dscnt 0x0
	;;#ASMSTART
	v_dot2_f32_f16 v52, v2, v10, v52
	;;#ASMEND
	;;#ASMSTART
	v_dot2_f32_f16 v52, v3, v11, v52
	;;#ASMEND
	;;#ASMSTART
	v_dot2_f32_f16 v52, v4, v12, v52
	;;#ASMEND
	;;#ASMSTART
	v_dot2_f32_f16 v52, v5, v13, v52
	;;#ASMEND
	ds_load_b128 v[2:5], v117 offset:48
	ds_load_b128 v[6:9], v118 offset:48
	ds_load_b128 v[10:13], v118 offset:560
	s_wait_dscnt 0x1
	;;#ASMSTART
	v_dot2_f32_f16 v1, v2, v6, v1
	;;#ASMEND
	;;#ASMSTART
	v_dot2_f32_f16 v1, v3, v7, v1
	;;#ASMEND
	;;#ASMSTART
	v_dot2_f32_f16 v1, v4, v8, v1
	;;#ASMEND
	;;#ASMSTART
	v_dot2_f32_f16 v1, v5, v9, v1
	;;#ASMEND
	s_wait_dscnt 0x0
	;;#ASMSTART
	v_dot2_f32_f16 v52, v2, v10, v52
	;;#ASMEND
	;;#ASMSTART
	v_dot2_f32_f16 v52, v3, v11, v52
	;;#ASMEND
	;;#ASMSTART
	v_dot2_f32_f16 v52, v4, v12, v52
	;;#ASMEND
	;;#ASMSTART
	v_dot2_f32_f16 v52, v5, v13, v52
	;;#ASMEND
	ds_load_b128 v[2:5], v117 offset:64
	ds_load_b128 v[6:9], v118 offset:64
	ds_load_b128 v[10:13], v118 offset:576
	s_wait_dscnt 0x1
	;;#ASMSTART
	v_dot2_f32_f16 v1, v2, v6, v1
	;;#ASMEND
	;;#ASMSTART
	v_dot2_f32_f16 v1, v3, v7, v1
	;;#ASMEND
	;;#ASMSTART
	v_dot2_f32_f16 v1, v4, v8, v1
	;;#ASMEND
	;;#ASMSTART
	v_dot2_f32_f16 v1, v5, v9, v1
	;;#ASMEND
	s_wait_dscnt 0x0
	;;#ASMSTART
	v_dot2_f32_f16 v52, v2, v10, v52
	;;#ASMEND
	;;#ASMSTART
	v_dot2_f32_f16 v52, v3, v11, v52
	;;#ASMEND
	;;#ASMSTART
	v_dot2_f32_f16 v52, v4, v12, v52
	;;#ASMEND
	;;#ASMSTART
	v_dot2_f32_f16 v52, v5, v13, v52
	;;#ASMEND
	ds_load_b128 v[2:5], v117 offset:80
	ds_load_b128 v[6:9], v118 offset:80
	ds_load_b128 v[10:13], v118 offset:592
	s_wait_dscnt 0x1
	;;#ASMSTART
	v_dot2_f32_f16 v1, v2, v6, v1
	;;#ASMEND
	;;#ASMSTART
	v_dot2_f32_f16 v1, v3, v7, v1
	;;#ASMEND
	;;#ASMSTART
	v_dot2_f32_f16 v1, v4, v8, v1
	;;#ASMEND
	;;#ASMSTART
	v_dot2_f32_f16 v1, v5, v9, v1
	;;#ASMEND
	s_wait_dscnt 0x0
	;;#ASMSTART
	v_dot2_f32_f16 v52, v2, v10, v52
	;;#ASMEND
	;;#ASMSTART
	v_dot2_f32_f16 v52, v3, v11, v52
	;;#ASMEND
	;;#ASMSTART
	v_dot2_f32_f16 v52, v4, v12, v52
	;;#ASMEND
	;;#ASMSTART
	v_dot2_f32_f16 v52, v5, v13, v52
	;;#ASMEND
	ds_load_b128 v[2:5], v117 offset:96
	ds_load_b128 v[6:9], v118 offset:96
	ds_load_b128 v[10:13], v118 offset:608
	s_wait_dscnt 0x1
	;;#ASMSTART
	v_dot2_f32_f16 v1, v2, v6, v1
	;;#ASMEND
	;;#ASMSTART
	v_dot2_f32_f16 v1, v3, v7, v1
	;;#ASMEND
	;;#ASMSTART
	v_dot2_f32_f16 v1, v4, v8, v1
	;;#ASMEND
	;;#ASMSTART
	v_dot2_f32_f16 v1, v5, v9, v1
	;;#ASMEND
	s_wait_dscnt 0x0
	;;#ASMSTART
	v_dot2_f32_f16 v52, v2, v10, v52
	;;#ASMEND
	;;#ASMSTART
	v_dot2_f32_f16 v52, v3, v11, v52
	;;#ASMEND
	;;#ASMSTART
	v_dot2_f32_f16 v52, v4, v12, v52
	;;#ASMEND
	;;#ASMSTART
	v_dot2_f32_f16 v52, v5, v13, v52
	;;#ASMEND
	ds_load_b128 v[2:5], v117 offset:112
	ds_load_b128 v[6:9], v118 offset:112
	ds_load_b128 v[10:13], v118 offset:624
	s_wait_dscnt 0x1
	;;#ASMSTART
	v_dot2_f32_f16 v1, v2, v6, v1
	;;#ASMEND
	;;#ASMSTART
	v_dot2_f32_f16 v1, v3, v7, v1
	;;#ASMEND
	;;#ASMSTART
	v_dot2_f32_f16 v1, v4, v8, v1
	;;#ASMEND
	;;#ASMSTART
	v_dot2_f32_f16 v1, v5, v9, v1
	;;#ASMEND
	s_wait_dscnt 0x0
	;;#ASMSTART
	v_dot2_f32_f16 v52, v2, v10, v52
	;;#ASMEND
	;;#ASMSTART
	v_dot2_f32_f16 v52, v3, v11, v52
	;;#ASMEND
	;;#ASMSTART
	v_dot2_f32_f16 v52, v4, v12, v52
	;;#ASMEND
	;;#ASMSTART
	v_dot2_f32_f16 v52, v5, v13, v52
	;;#ASMEND
	ds_load_b128 v[2:5], v117 offset:128
	ds_load_b128 v[6:9], v118 offset:128
	ds_load_b128 v[10:13], v118 offset:640
	s_wait_dscnt 0x1
	;;#ASMSTART
	v_dot2_f32_f16 v1, v2, v6, v1
	;;#ASMEND
	;;#ASMSTART
	v_dot2_f32_f16 v1, v3, v7, v1
	;;#ASMEND
	;;#ASMSTART
	v_dot2_f32_f16 v1, v4, v8, v1
	;;#ASMEND
	;;#ASMSTART
	v_dot2_f32_f16 v1, v5, v9, v1
	;;#ASMEND
	s_wait_dscnt 0x0
	;;#ASMSTART
	v_dot2_f32_f16 v52, v2, v10, v52
	;;#ASMEND
	;;#ASMSTART
	v_dot2_f32_f16 v52, v3, v11, v52
	;;#ASMEND
	;;#ASMSTART
	v_dot2_f32_f16 v52, v4, v12, v52
	;;#ASMEND
	;;#ASMSTART
	v_dot2_f32_f16 v52, v5, v13, v52
	;;#ASMEND
	ds_load_b128 v[2:5], v117 offset:144
	ds_load_b128 v[6:9], v118 offset:144
	ds_load_b128 v[10:13], v118 offset:656
	s_wait_dscnt 0x1
	;;#ASMSTART
	v_dot2_f32_f16 v1, v2, v6, v1
	;;#ASMEND
	;;#ASMSTART
	v_dot2_f32_f16 v1, v3, v7, v1
	;;#ASMEND
	;;#ASMSTART
	v_dot2_f32_f16 v1, v4, v8, v1
	;;#ASMEND
	;;#ASMSTART
	v_dot2_f32_f16 v1, v5, v9, v1
	;;#ASMEND
	s_wait_dscnt 0x0
	;;#ASMSTART
	v_dot2_f32_f16 v52, v2, v10, v52
	;;#ASMEND
	;;#ASMSTART
	v_dot2_f32_f16 v52, v3, v11, v52
	;;#ASMEND
	;;#ASMSTART
	v_dot2_f32_f16 v52, v4, v12, v52
	;;#ASMEND
	;;#ASMSTART
	v_dot2_f32_f16 v52, v5, v13, v52
	;;#ASMEND
	ds_load_b128 v[2:5], v117 offset:160
	ds_load_b128 v[6:9], v118 offset:160
	ds_load_b128 v[10:13], v118 offset:672
	s_wait_dscnt 0x1
	;;#ASMSTART
	v_dot2_f32_f16 v1, v2, v6, v1
	;;#ASMEND
	;;#ASMSTART
	v_dot2_f32_f16 v1, v3, v7, v1
	;;#ASMEND
	;;#ASMSTART
	v_dot2_f32_f16 v1, v4, v8, v1
	;;#ASMEND
	;;#ASMSTART
	v_dot2_f32_f16 v1, v5, v9, v1
	;;#ASMEND
	s_wait_dscnt 0x0
	;;#ASMSTART
	v_dot2_f32_f16 v52, v2, v10, v52
	;;#ASMEND
	;;#ASMSTART
	v_dot2_f32_f16 v52, v3, v11, v52
	;;#ASMEND
	;;#ASMSTART
	v_dot2_f32_f16 v52, v4, v12, v52
	;;#ASMEND
	;;#ASMSTART
	v_dot2_f32_f16 v52, v5, v13, v52
	;;#ASMEND
	ds_load_b128 v[2:5], v117 offset:176
	ds_load_b128 v[6:9], v118 offset:176
	ds_load_b128 v[10:13], v118 offset:688
	s_wait_dscnt 0x1
	;;#ASMSTART
	v_dot2_f32_f16 v1, v2, v6, v1
	;;#ASMEND
	;;#ASMSTART
	v_dot2_f32_f16 v1, v3, v7, v1
	;;#ASMEND
	;;#ASMSTART
	v_dot2_f32_f16 v1, v4, v8, v1
	;;#ASMEND
	;;#ASMSTART
	v_dot2_f32_f16 v1, v5, v9, v1
	;;#ASMEND
	s_wait_dscnt 0x0
	;;#ASMSTART
	v_dot2_f32_f16 v52, v2, v10, v52
	;;#ASMEND
	;;#ASMSTART
	v_dot2_f32_f16 v52, v3, v11, v52
	;;#ASMEND
	;;#ASMSTART
	v_dot2_f32_f16 v52, v4, v12, v52
	;;#ASMEND
	;;#ASMSTART
	v_dot2_f32_f16 v52, v5, v13, v52
	;;#ASMEND
	ds_load_b128 v[2:5], v117 offset:192
	ds_load_b128 v[6:9], v118 offset:192
	ds_load_b128 v[10:13], v118 offset:704
	s_wait_dscnt 0x1
	;;#ASMSTART
	v_dot2_f32_f16 v1, v2, v6, v1
	;;#ASMEND
	;;#ASMSTART
	v_dot2_f32_f16 v1, v3, v7, v1
	;;#ASMEND
	;;#ASMSTART
	v_dot2_f32_f16 v1, v4, v8, v1
	;;#ASMEND
	;;#ASMSTART
	v_dot2_f32_f16 v1, v5, v9, v1
	;;#ASMEND
	s_wait_dscnt 0x0
	;;#ASMSTART
	v_dot2_f32_f16 v52, v2, v10, v52
	;;#ASMEND
	;;#ASMSTART
	v_dot2_f32_f16 v52, v3, v11, v52
	;;#ASMEND
	;;#ASMSTART
	v_dot2_f32_f16 v52, v4, v12, v52
	;;#ASMEND
	;;#ASMSTART
	v_dot2_f32_f16 v52, v5, v13, v52
	;;#ASMEND
	ds_load_b128 v[2:5], v117 offset:208
	ds_load_b128 v[6:9], v118 offset:208
	ds_load_b128 v[10:13], v118 offset:720
	s_wait_dscnt 0x1
	;;#ASMSTART
	v_dot2_f32_f16 v1, v2, v6, v1
	;;#ASMEND
	;;#ASMSTART
	v_dot2_f32_f16 v1, v3, v7, v1
	;;#ASMEND
	;;#ASMSTART
	v_dot2_f32_f16 v1, v4, v8, v1
	;;#ASMEND
	;;#ASMSTART
	v_dot2_f32_f16 v1, v5, v9, v1
	;;#ASMEND
	s_wait_dscnt 0x0
	;;#ASMSTART
	v_dot2_f32_f16 v52, v2, v10, v52
	;;#ASMEND
	;;#ASMSTART
	v_dot2_f32_f16 v52, v3, v11, v52
	;;#ASMEND
	;;#ASMSTART
	v_dot2_f32_f16 v52, v4, v12, v52
	;;#ASMEND
	;;#ASMSTART
	v_dot2_f32_f16 v52, v5, v13, v52
	;;#ASMEND
	ds_load_b128 v[2:5], v117 offset:224
	ds_load_b128 v[6:9], v118 offset:224
	ds_load_b128 v[10:13], v118 offset:736
	s_wait_dscnt 0x1
	;;#ASMSTART
	v_dot2_f32_f16 v1, v2, v6, v1
	;;#ASMEND
	;;#ASMSTART
	v_dot2_f32_f16 v1, v3, v7, v1
	;;#ASMEND
	;;#ASMSTART
	v_dot2_f32_f16 v1, v4, v8, v1
	;;#ASMEND
	;;#ASMSTART
	v_dot2_f32_f16 v1, v5, v9, v1
	;;#ASMEND
	s_wait_dscnt 0x0
	;;#ASMSTART
	v_dot2_f32_f16 v52, v2, v10, v52
	;;#ASMEND
	;;#ASMSTART
	v_dot2_f32_f16 v52, v3, v11, v52
	;;#ASMEND
	;;#ASMSTART
	v_dot2_f32_f16 v52, v4, v12, v52
	;;#ASMEND
	;;#ASMSTART
	v_dot2_f32_f16 v52, v5, v13, v52
	;;#ASMEND
	ds_load_b128 v[2:5], v117 offset:240
	ds_load_b128 v[6:9], v118 offset:240
	ds_load_b128 v[10:13], v118 offset:752
	s_wait_dscnt 0x1
	;;#ASMSTART
	v_dot2_f32_f16 v1, v2, v6, v1
	;;#ASMEND
	;;#ASMSTART
	v_dot2_f32_f16 v1, v3, v7, v1
	;;#ASMEND
	;;#ASMSTART
	v_dot2_f32_f16 v1, v4, v8, v1
	;;#ASMEND
	;;#ASMSTART
	v_dot2_f32_f16 v1, v5, v9, v1
	;;#ASMEND
	s_wait_dscnt 0x0
	;;#ASMSTART
	v_dot2_f32_f16 v52, v2, v10, v52
	;;#ASMEND
	;;#ASMSTART
	v_dot2_f32_f16 v52, v3, v11, v52
	;;#ASMEND
	;;#ASMSTART
	v_dot2_f32_f16 v52, v4, v12, v52
	;;#ASMEND
	;;#ASMSTART
	v_dot2_f32_f16 v52, v5, v13, v52
	;;#ASMEND
	ds_load_b128 v[2:5], v117 offset:256
	ds_load_b128 v[6:9], v118 offset:256
	ds_load_b128 v[10:13], v118 offset:768
	s_wait_dscnt 0x1
	;;#ASMSTART
	v_dot2_f32_f16 v1, v2, v6, v1
	;;#ASMEND
	;;#ASMSTART
	v_dot2_f32_f16 v1, v3, v7, v1
	;;#ASMEND
	;;#ASMSTART
	v_dot2_f32_f16 v1, v4, v8, v1
	;;#ASMEND
	;;#ASMSTART
	v_dot2_f32_f16 v1, v5, v9, v1
	;;#ASMEND
	s_wait_dscnt 0x0
	;;#ASMSTART
	v_dot2_f32_f16 v52, v2, v10, v52
	;;#ASMEND
	;;#ASMSTART
	v_dot2_f32_f16 v52, v3, v11, v52
	;;#ASMEND
	;;#ASMSTART
	v_dot2_f32_f16 v52, v4, v12, v52
	;;#ASMEND
	;;#ASMSTART
	v_dot2_f32_f16 v52, v5, v13, v52
	;;#ASMEND
	ds_load_b128 v[2:5], v117 offset:272
	ds_load_b128 v[6:9], v118 offset:272
	ds_load_b128 v[10:13], v118 offset:784
	s_wait_dscnt 0x1
	;;#ASMSTART
	v_dot2_f32_f16 v1, v2, v6, v1
	;;#ASMEND
	;;#ASMSTART
	v_dot2_f32_f16 v1, v3, v7, v1
	;;#ASMEND
	;;#ASMSTART
	v_dot2_f32_f16 v1, v4, v8, v1
	;;#ASMEND
	;;#ASMSTART
	v_dot2_f32_f16 v1, v5, v9, v1
	;;#ASMEND
	s_wait_dscnt 0x0
	;;#ASMSTART
	v_dot2_f32_f16 v52, v2, v10, v52
	;;#ASMEND
	;;#ASMSTART
	v_dot2_f32_f16 v52, v3, v11, v52
	;;#ASMEND
	;;#ASMSTART
	v_dot2_f32_f16 v52, v4, v12, v52
	;;#ASMEND
	;;#ASMSTART
	v_dot2_f32_f16 v52, v5, v13, v52
	;;#ASMEND
	ds_load_b128 v[2:5], v117 offset:288
	ds_load_b128 v[6:9], v118 offset:288
	ds_load_b128 v[10:13], v118 offset:800
	s_wait_dscnt 0x1
	;;#ASMSTART
	v_dot2_f32_f16 v1, v2, v6, v1
	;;#ASMEND
	;;#ASMSTART
	v_dot2_f32_f16 v1, v3, v7, v1
	;;#ASMEND
	;;#ASMSTART
	v_dot2_f32_f16 v1, v4, v8, v1
	;;#ASMEND
	;;#ASMSTART
	v_dot2_f32_f16 v1, v5, v9, v1
	;;#ASMEND
	s_wait_dscnt 0x0
	;;#ASMSTART
	v_dot2_f32_f16 v52, v2, v10, v52
	;;#ASMEND
	;;#ASMSTART
	v_dot2_f32_f16 v52, v3, v11, v52
	;;#ASMEND
	;;#ASMSTART
	v_dot2_f32_f16 v52, v4, v12, v52
	;;#ASMEND
	;;#ASMSTART
	v_dot2_f32_f16 v52, v5, v13, v52
	;;#ASMEND
	ds_load_b128 v[2:5], v117 offset:304
	ds_load_b128 v[6:9], v118 offset:304
	ds_load_b128 v[10:13], v118 offset:816
	s_wait_dscnt 0x1
	;;#ASMSTART
	v_dot2_f32_f16 v1, v2, v6, v1
	;;#ASMEND
	;;#ASMSTART
	v_dot2_f32_f16 v1, v3, v7, v1
	;;#ASMEND
	;;#ASMSTART
	v_dot2_f32_f16 v1, v4, v8, v1
	;;#ASMEND
	;;#ASMSTART
	v_dot2_f32_f16 v1, v5, v9, v1
	;;#ASMEND
	s_wait_dscnt 0x0
	;;#ASMSTART
	v_dot2_f32_f16 v52, v2, v10, v52
	;;#ASMEND
	;;#ASMSTART
	v_dot2_f32_f16 v52, v3, v11, v52
	;;#ASMEND
	;;#ASMSTART
	v_dot2_f32_f16 v52, v4, v12, v52
	;;#ASMEND
	;;#ASMSTART
	v_dot2_f32_f16 v52, v5, v13, v52
	;;#ASMEND
	ds_load_b128 v[2:5], v117 offset:320
	ds_load_b128 v[6:9], v118 offset:320
	ds_load_b128 v[10:13], v118 offset:832
	s_wait_dscnt 0x1
	;;#ASMSTART
	v_dot2_f32_f16 v1, v2, v6, v1
	;;#ASMEND
	;;#ASMSTART
	v_dot2_f32_f16 v1, v3, v7, v1
	;;#ASMEND
	;;#ASMSTART
	v_dot2_f32_f16 v1, v4, v8, v1
	;;#ASMEND
	;;#ASMSTART
	v_dot2_f32_f16 v1, v5, v9, v1
	;;#ASMEND
	s_wait_dscnt 0x0
	;;#ASMSTART
	v_dot2_f32_f16 v52, v2, v10, v52
	;;#ASMEND
	;;#ASMSTART
	v_dot2_f32_f16 v52, v3, v11, v52
	;;#ASMEND
	;;#ASMSTART
	v_dot2_f32_f16 v52, v4, v12, v52
	;;#ASMEND
	;;#ASMSTART
	v_dot2_f32_f16 v52, v5, v13, v52
	;;#ASMEND
	ds_load_b128 v[2:5], v117 offset:336
	ds_load_b128 v[6:9], v118 offset:336
	ds_load_b128 v[10:13], v118 offset:848
	s_wait_dscnt 0x1
	;;#ASMSTART
	v_dot2_f32_f16 v1, v2, v6, v1
	;;#ASMEND
	;;#ASMSTART
	v_dot2_f32_f16 v1, v3, v7, v1
	;;#ASMEND
	;;#ASMSTART
	v_dot2_f32_f16 v1, v4, v8, v1
	;;#ASMEND
	;;#ASMSTART
	v_dot2_f32_f16 v1, v5, v9, v1
	;;#ASMEND
	s_wait_dscnt 0x0
	;;#ASMSTART
	v_dot2_f32_f16 v52, v2, v10, v52
	;;#ASMEND
	;;#ASMSTART
	v_dot2_f32_f16 v52, v3, v11, v52
	;;#ASMEND
	;;#ASMSTART
	v_dot2_f32_f16 v52, v4, v12, v52
	;;#ASMEND
	;;#ASMSTART
	v_dot2_f32_f16 v52, v5, v13, v52
	;;#ASMEND
	ds_load_b128 v[2:5], v117 offset:352
	ds_load_b128 v[6:9], v118 offset:352
	ds_load_b128 v[10:13], v118 offset:864
	s_wait_dscnt 0x1
	;;#ASMSTART
	v_dot2_f32_f16 v1, v2, v6, v1
	;;#ASMEND
	;;#ASMSTART
	v_dot2_f32_f16 v1, v3, v7, v1
	;;#ASMEND
	;;#ASMSTART
	v_dot2_f32_f16 v1, v4, v8, v1
	;;#ASMEND
	;;#ASMSTART
	v_dot2_f32_f16 v1, v5, v9, v1
	;;#ASMEND
	s_wait_dscnt 0x0
	;;#ASMSTART
	v_dot2_f32_f16 v52, v2, v10, v52
	;;#ASMEND
	;;#ASMSTART
	v_dot2_f32_f16 v52, v3, v11, v52
	;;#ASMEND
	;;#ASMSTART
	v_dot2_f32_f16 v52, v4, v12, v52
	;;#ASMEND
	;;#ASMSTART
	v_dot2_f32_f16 v52, v5, v13, v52
	;;#ASMEND
	ds_load_b128 v[2:5], v117 offset:368
	ds_load_b128 v[6:9], v118 offset:368
	ds_load_b128 v[10:13], v118 offset:880
	s_wait_dscnt 0x1
	;;#ASMSTART
	v_dot2_f32_f16 v1, v2, v6, v1
	;;#ASMEND
	;;#ASMSTART
	v_dot2_f32_f16 v1, v3, v7, v1
	;;#ASMEND
	;;#ASMSTART
	v_dot2_f32_f16 v1, v4, v8, v1
	;;#ASMEND
	;;#ASMSTART
	v_dot2_f32_f16 v1, v5, v9, v1
	;;#ASMEND
	s_wait_dscnt 0x0
	;;#ASMSTART
	v_dot2_f32_f16 v52, v2, v10, v52
	;;#ASMEND
	;;#ASMSTART
	v_dot2_f32_f16 v52, v3, v11, v52
	;;#ASMEND
	;;#ASMSTART
	v_dot2_f32_f16 v52, v4, v12, v52
	;;#ASMEND
	;;#ASMSTART
	v_dot2_f32_f16 v52, v5, v13, v52
	;;#ASMEND
	ds_load_b128 v[2:5], v117 offset:384
	ds_load_b128 v[6:9], v118 offset:384
	ds_load_b128 v[10:13], v118 offset:896
	s_wait_dscnt 0x1
	;;#ASMSTART
	v_dot2_f32_f16 v1, v2, v6, v1
	;;#ASMEND
	;;#ASMSTART
	v_dot2_f32_f16 v1, v3, v7, v1
	;;#ASMEND
	;;#ASMSTART
	v_dot2_f32_f16 v1, v4, v8, v1
	;;#ASMEND
	;;#ASMSTART
	v_dot2_f32_f16 v1, v5, v9, v1
	;;#ASMEND
	s_wait_dscnt 0x0
	;;#ASMSTART
	v_dot2_f32_f16 v52, v2, v10, v52
	;;#ASMEND
	;;#ASMSTART
	v_dot2_f32_f16 v52, v3, v11, v52
	;;#ASMEND
	;;#ASMSTART
	v_dot2_f32_f16 v52, v4, v12, v52
	;;#ASMEND
	;;#ASMSTART
	v_dot2_f32_f16 v52, v5, v13, v52
	;;#ASMEND
	ds_load_b128 v[2:5], v117 offset:400
	ds_load_b128 v[6:9], v118 offset:400
	ds_load_b128 v[10:13], v118 offset:912
	s_wait_dscnt 0x1
	;;#ASMSTART
	v_dot2_f32_f16 v1, v2, v6, v1
	;;#ASMEND
	;;#ASMSTART
	v_dot2_f32_f16 v1, v3, v7, v1
	;;#ASMEND
	;;#ASMSTART
	v_dot2_f32_f16 v1, v4, v8, v1
	;;#ASMEND
	;;#ASMSTART
	v_dot2_f32_f16 v1, v5, v9, v1
	;;#ASMEND
	s_wait_dscnt 0x0
	;;#ASMSTART
	v_dot2_f32_f16 v52, v2, v10, v52
	;;#ASMEND
	;;#ASMSTART
	v_dot2_f32_f16 v52, v3, v11, v52
	;;#ASMEND
	;;#ASMSTART
	v_dot2_f32_f16 v52, v4, v12, v52
	;;#ASMEND
	;;#ASMSTART
	v_dot2_f32_f16 v52, v5, v13, v52
	;;#ASMEND
	ds_load_b128 v[2:5], v117 offset:416
	ds_load_b128 v[6:9], v118 offset:416
	ds_load_b128 v[10:13], v118 offset:928
	s_wait_dscnt 0x1
	;;#ASMSTART
	v_dot2_f32_f16 v1, v2, v6, v1
	;;#ASMEND
	;;#ASMSTART
	v_dot2_f32_f16 v1, v3, v7, v1
	;;#ASMEND
	;;#ASMSTART
	v_dot2_f32_f16 v1, v4, v8, v1
	;;#ASMEND
	;;#ASMSTART
	v_dot2_f32_f16 v1, v5, v9, v1
	;;#ASMEND
	s_wait_dscnt 0x0
	;;#ASMSTART
	v_dot2_f32_f16 v52, v2, v10, v52
	;;#ASMEND
	;;#ASMSTART
	v_dot2_f32_f16 v52, v3, v11, v52
	;;#ASMEND
	;;#ASMSTART
	v_dot2_f32_f16 v52, v4, v12, v52
	;;#ASMEND
	;;#ASMSTART
	v_dot2_f32_f16 v52, v5, v13, v52
	;;#ASMEND
	ds_load_b128 v[2:5], v117 offset:432
	ds_load_b128 v[6:9], v118 offset:432
	ds_load_b128 v[10:13], v118 offset:944
	s_wait_dscnt 0x1
	;;#ASMSTART
	v_dot2_f32_f16 v1, v2, v6, v1
	;;#ASMEND
	;;#ASMSTART
	v_dot2_f32_f16 v1, v3, v7, v1
	;;#ASMEND
	;;#ASMSTART
	v_dot2_f32_f16 v1, v4, v8, v1
	;;#ASMEND
	;;#ASMSTART
	v_dot2_f32_f16 v1, v5, v9, v1
	;;#ASMEND
	s_wait_dscnt 0x0
	;;#ASMSTART
	v_dot2_f32_f16 v52, v2, v10, v52
	;;#ASMEND
	;;#ASMSTART
	v_dot2_f32_f16 v52, v3, v11, v52
	;;#ASMEND
	;;#ASMSTART
	v_dot2_f32_f16 v52, v4, v12, v52
	;;#ASMEND
	;;#ASMSTART
	v_dot2_f32_f16 v52, v5, v13, v52
	;;#ASMEND
	ds_load_b128 v[2:5], v117 offset:448
	ds_load_b128 v[6:9], v118 offset:448
	ds_load_b128 v[10:13], v118 offset:960
	s_wait_dscnt 0x1
	;;#ASMSTART
	v_dot2_f32_f16 v1, v2, v6, v1
	;;#ASMEND
	;;#ASMSTART
	v_dot2_f32_f16 v1, v3, v7, v1
	;;#ASMEND
	;;#ASMSTART
	v_dot2_f32_f16 v1, v4, v8, v1
	;;#ASMEND
	;;#ASMSTART
	v_dot2_f32_f16 v1, v5, v9, v1
	;;#ASMEND
	s_wait_dscnt 0x0
	;;#ASMSTART
	v_dot2_f32_f16 v52, v2, v10, v52
	;;#ASMEND
	;;#ASMSTART
	v_dot2_f32_f16 v52, v3, v11, v52
	;;#ASMEND
	;;#ASMSTART
	v_dot2_f32_f16 v52, v4, v12, v52
	;;#ASMEND
	;;#ASMSTART
	v_dot2_f32_f16 v52, v5, v13, v52
	;;#ASMEND
	ds_load_b128 v[2:5], v117 offset:464
	ds_load_b128 v[6:9], v118 offset:464
	ds_load_b128 v[10:13], v118 offset:976
	s_wait_dscnt 0x1
	;;#ASMSTART
	v_dot2_f32_f16 v1, v2, v6, v1
	;;#ASMEND
	;;#ASMSTART
	v_dot2_f32_f16 v1, v3, v7, v1
	;;#ASMEND
	;;#ASMSTART
	v_dot2_f32_f16 v1, v4, v8, v1
	;;#ASMEND
	;;#ASMSTART
	v_dot2_f32_f16 v1, v5, v9, v1
	;;#ASMEND
	s_wait_dscnt 0x0
	;;#ASMSTART
	v_dot2_f32_f16 v52, v2, v10, v52
	;;#ASMEND
	;;#ASMSTART
	v_dot2_f32_f16 v52, v3, v11, v52
	;;#ASMEND
	;;#ASMSTART
	v_dot2_f32_f16 v52, v4, v12, v52
	;;#ASMEND
	;;#ASMSTART
	v_dot2_f32_f16 v52, v5, v13, v52
	;;#ASMEND
	ds_load_b128 v[2:5], v117 offset:480
	ds_load_b128 v[6:9], v118 offset:480
	ds_load_b128 v[10:13], v118 offset:992
	s_wait_dscnt 0x1
	;;#ASMSTART
	v_dot2_f32_f16 v1, v2, v6, v1
	;;#ASMEND
	;;#ASMSTART
	v_dot2_f32_f16 v1, v3, v7, v1
	;;#ASMEND
	;;#ASMSTART
	v_dot2_f32_f16 v1, v4, v8, v1
	;;#ASMEND
	;;#ASMSTART
	v_dot2_f32_f16 v1, v5, v9, v1
	;;#ASMEND
	s_wait_dscnt 0x0
	;;#ASMSTART
	v_dot2_f32_f16 v52, v2, v10, v52
	;;#ASMEND
	;;#ASMSTART
	v_dot2_f32_f16 v52, v3, v11, v52
	;;#ASMEND
	;;#ASMSTART
	v_dot2_f32_f16 v52, v4, v12, v52
	;;#ASMEND
	;;#ASMSTART
	v_dot2_f32_f16 v52, v5, v13, v52
	;;#ASMEND
	ds_load_b128 v[2:5], v117 offset:496
	ds_load_b128 v[6:9], v118 offset:496
	ds_load_b128 v[10:13], v118 offset:1008
	s_wait_dscnt 0x1
	;;#ASMSTART
	v_dot2_f32_f16 v1, v2, v6, v1
	;;#ASMEND
	;;#ASMSTART
	v_dot2_f32_f16 v1, v3, v7, v1
	;;#ASMEND
	;; [unrolled: 3-line block ×4, first 2 shown]
	s_wait_dscnt 0x0
	;;#ASMSTART
	v_dot2_f32_f16 v52, v2, v10, v52
	;;#ASMEND
	;;#ASMSTART
	v_dot2_f32_f16 v52, v3, v11, v52
	;;#ASMEND
	;; [unrolled: 3-line block ×4, first 2 shown]
	global_load_u16 v34, v0, s[30:31] scale_offset
	v_cmp_ngt_f32_e64 s24, 0x3f200000, |v1|
                                        ; implicit-def: $vgpr0
	s_wait_xcnt 0x0
	s_and_saveexec_b32 s25, s24
	s_delay_alu instid0(SALU_CYCLE_1)
	s_xor_b32 s24, exec_lo, s25
	s_cbranch_execz .LBB60_11
; %bb.10:                               ;   in Loop: Header=BB60_9 Depth=1
	v_add_f32_e64 v0, |v1|, |v1|
	s_delay_alu instid0(VALU_DEP_1) | instskip(SKIP_1) | instid1(VALU_DEP_2)
	v_mul_f32_e32 v2, 0x3fb8aa3b, v0
	v_cmp_ngt_f32_e32 vcc_lo, 0xc2ce8ed0, v0
	v_rndne_f32_e32 v3, v2
	v_fma_f32 v4, 0x3fb8aa3b, v0, -v2
	s_delay_alu instid0(VALU_DEP_2) | instskip(NEXT) | instid1(VALU_DEP_2)
	v_sub_f32_e32 v2, v2, v3
	v_fmac_f32_e32 v4, 0x32a5705f, v0
	v_cvt_i32_f32_e32 v3, v3
	s_delay_alu instid0(VALU_DEP_2) | instskip(NEXT) | instid1(VALU_DEP_1)
	v_add_f32_e32 v2, v2, v4
	v_exp_f32_e32 v2, v2
	v_nop
	s_delay_alu instid0(TRANS32_DEP_1) | instskip(NEXT) | instid1(VALU_DEP_1)
	v_ldexp_f32 v2, v2, v3
	v_cndmask_b32_e32 v2, 0, v2, vcc_lo
	v_cmp_nlt_f32_e32 vcc_lo, 0x42b17218, v0
	s_delay_alu instid0(VALU_DEP_2) | instskip(NEXT) | instid1(VALU_DEP_1)
	v_cndmask_b32_e32 v0, 0x7f800000, v2, vcc_lo
	v_add_f32_e32 v0, 1.0, v0
	s_delay_alu instid0(VALU_DEP_1) | instskip(SKIP_1) | instid1(TRANS32_DEP_1)
	v_rcp_f32_e32 v0, v0
	v_nop
	v_fma_f32 v0, v0, -2.0, 1.0
.LBB60_11:                              ;   in Loop: Header=BB60_9 Depth=1
	s_and_not1_saveexec_b32 s24, s24
	s_cbranch_execz .LBB60_13
; %bb.12:                               ;   in Loop: Header=BB60_9 Depth=1
	v_mul_f32_e32 v0, v1, v1
	s_delay_alu instid0(VALU_DEP_1) | instskip(NEXT) | instid1(VALU_DEP_1)
	v_fmaak_f32 v2, s3, v0, 0x3ca908c9
	v_fmaak_f32 v2, v0, v2, 0xbd5c1c4e
	s_delay_alu instid0(VALU_DEP_1) | instskip(NEXT) | instid1(VALU_DEP_1)
	v_fmaak_f32 v2, v0, v2, 0x3e088382
	v_fmaak_f32 v2, v0, v2, 0xbeaaaa99
	s_delay_alu instid0(VALU_DEP_1) | instskip(NEXT) | instid1(VALU_DEP_1)
	v_mul_f32_e64 v2, |v1|, v2
	v_fma_f32 v0, v0, v2, |v1|
.LBB60_13:                              ;   in Loop: Header=BB60_9 Depth=1
	s_or_b32 exec_lo, exec_lo, s24
	s_delay_alu instid0(VALU_DEP_1)
	v_bfi_b32 v0, 0x7fffffff, v0, v1
	v_dual_max_num_f32 v2, v32, v32 :: v_dual_bitop2_b32 v133, 16, v107 bitop3:0x14
	v_cmp_ngt_f32_e64 s24, 0x3f200000, |v52|
                                        ; implicit-def: $vgpr51
	v_xor_b32_e32 v130, 4, v107
	s_wait_loadcnt 0x0
	v_fma_mix_f32 v35, s35, v0, v34 op_sel_hi:[0,0,1]
	v_cmp_gt_i32_e32 vcc_lo, 32, v133
	v_xor_b32_e32 v132, 1, v107
	s_delay_alu instid0(VALU_DEP_3) | instskip(NEXT) | instid1(VALU_DEP_1)
	v_dual_add_f32 v1, 0x40051340, v35 :: v_dual_cndmask_b32 v0, v107, v133
	v_dual_lshlrev_b32 v44, 2, v0 :: v_dual_max_num_f32 v0, v2, v1
	ds_bpermute_b32 v1, v44, v0
	s_wait_dscnt 0x0
	v_dual_max_num_f32 v1, v1, v1 :: v_dual_bitop2_b32 v129, 8, v107 bitop3:0x14
	s_delay_alu instid0(VALU_DEP_1) | instskip(NEXT) | instid1(VALU_DEP_2)
	v_cmp_gt_i32_e32 vcc_lo, 32, v129
	v_max_num_f32_e32 v0, v0, v1
	v_cndmask_b32_e32 v2, v107, v129, vcc_lo
	v_cmp_gt_i32_e32 vcc_lo, 32, v130
	s_delay_alu instid0(VALU_DEP_2) | instskip(SKIP_3) | instid1(VALU_DEP_1)
	v_lshlrev_b32_e32 v45, 2, v2
	ds_bpermute_b32 v1, v45, v0
	s_wait_dscnt 0x0
	v_dual_cndmask_b32 v2, v107, v130 :: v_dual_max_num_f32 v1, v1, v1
	v_dual_lshlrev_b32 v46, 2, v2 :: v_dual_max_num_f32 v0, v0, v1
	ds_bpermute_b32 v1, v46, v0
	s_wait_dscnt 0x0
	v_dual_max_num_f32 v1, v1, v1 :: v_dual_bitop2_b32 v131, 2, v107 bitop3:0x14
	s_delay_alu instid0(VALU_DEP_1) | instskip(NEXT) | instid1(VALU_DEP_2)
	v_cmp_gt_i32_e32 vcc_lo, 32, v131
	v_dual_max_num_f32 v0, v0, v1 :: v_dual_cndmask_b32 v2, v107, v131, vcc_lo
	v_cmp_gt_i32_e32 vcc_lo, 32, v132
	s_delay_alu instid0(VALU_DEP_2) | instskip(SKIP_3) | instid1(VALU_DEP_1)
	v_lshlrev_b32_e32 v47, 2, v2
	ds_bpermute_b32 v1, v47, v0
	s_wait_dscnt 0x0
	v_dual_cndmask_b32 v2, v107, v132 :: v_dual_max_num_f32 v1, v1, v1
	v_dual_max_num_f32 v48, v0, v1 :: v_dual_lshlrev_b32 v49, 2, v2
	ds_bpermute_b32 v50, v49, v48
	s_and_saveexec_b32 s25, s24
	s_delay_alu instid0(SALU_CYCLE_1)
	s_xor_b32 s24, exec_lo, s25
	s_cbranch_execz .LBB60_15
; %bb.14:                               ;   in Loop: Header=BB60_9 Depth=1
	v_add_f32_e64 v0, |v52|, |v52|
	s_delay_alu instid0(VALU_DEP_1) | instskip(SKIP_1) | instid1(VALU_DEP_2)
	v_mul_f32_e32 v1, 0x3fb8aa3b, v0
	v_cmp_ngt_f32_e32 vcc_lo, 0xc2ce8ed0, v0
	v_rndne_f32_e32 v2, v1
	v_fma_f32 v3, 0x3fb8aa3b, v0, -v1
	s_delay_alu instid0(VALU_DEP_2) | instskip(NEXT) | instid1(VALU_DEP_2)
	v_sub_f32_e32 v1, v1, v2
	v_fmac_f32_e32 v3, 0x32a5705f, v0
	v_cvt_i32_f32_e32 v2, v2
	s_delay_alu instid0(VALU_DEP_2) | instskip(NEXT) | instid1(VALU_DEP_1)
	v_add_f32_e32 v1, v1, v3
	v_exp_f32_e32 v1, v1
	v_nop
	s_delay_alu instid0(TRANS32_DEP_1) | instskip(NEXT) | instid1(VALU_DEP_1)
	v_ldexp_f32 v1, v1, v2
	v_cndmask_b32_e32 v1, 0, v1, vcc_lo
	v_cmp_nlt_f32_e32 vcc_lo, 0x42b17218, v0
	s_delay_alu instid0(VALU_DEP_2) | instskip(NEXT) | instid1(VALU_DEP_1)
	v_cndmask_b32_e32 v0, 0x7f800000, v1, vcc_lo
	v_add_f32_e32 v0, 1.0, v0
	s_delay_alu instid0(VALU_DEP_1) | instskip(SKIP_1) | instid1(TRANS32_DEP_1)
	v_rcp_f32_e32 v0, v0
	v_nop
	v_fma_f32 v51, v0, -2.0, 1.0
.LBB60_15:                              ;   in Loop: Header=BB60_9 Depth=1
	s_and_not1_saveexec_b32 s24, s24
	s_cbranch_execz .LBB60_17
; %bb.16:                               ;   in Loop: Header=BB60_9 Depth=1
	v_mul_f32_e32 v0, v52, v52
	s_delay_alu instid0(VALU_DEP_1) | instskip(NEXT) | instid1(VALU_DEP_1)
	v_fmaak_f32 v1, s3, v0, 0x3ca908c9
	v_fmaak_f32 v1, v0, v1, 0xbd5c1c4e
	s_delay_alu instid0(VALU_DEP_1) | instskip(NEXT) | instid1(VALU_DEP_1)
	v_fmaak_f32 v1, v0, v1, 0x3e088382
	v_fmaak_f32 v1, v0, v1, 0xbeaaaa99
	s_delay_alu instid0(VALU_DEP_1) | instskip(NEXT) | instid1(VALU_DEP_1)
	v_mul_f32_e64 v1, |v52|, v1
	v_fma_f32 v51, v0, v1, |v52|
.LBB60_17:                              ;   in Loop: Header=BB60_9 Depth=1
	s_or_b32 exec_lo, exec_lo, s24
	s_mul_u64 s[24:25], s[4:5], s[10:11]
	s_wait_dscnt 0x0
	s_lshl_b64 s[24:25], s[24:25], 2
	s_barrier_signal -1
	s_add_nc_u64 s[24:25], s[8:9], s[24:25]
	s_barrier_wait -1
	v_lshl_add_u64 v[2:3], v[84:85], 2, s[24:25]
	v_lshl_add_u64 v[4:5], v[88:89], 2, s[24:25]
	;; [unrolled: 1-line block ×5, first 2 shown]
	v_add_nc_u64_e32 v[6:7], v[2:3], v[72:73]
	v_lshl_add_u64 v[2:3], v[92:93], 2, s[24:25]
	v_add_nc_u64_e32 v[8:9], v[4:5], v[72:73]
	v_lshl_add_u64 v[4:5], v[94:95], 2, s[24:25]
	;; [unrolled: 2-line block ×3, first 2 shown]
	v_add_nc_u64_e32 v[16:17], v[2:3], v[72:73]
	v_add_nc_u64_e32 v[20:21], v[10:11], v[72:73]
	;; [unrolled: 1-line block ×5, first 2 shown]
	s_clause 0x7
	global_load_b128 v[0:3], v[0:1], off
	global_load_b128 v[4:7], v[6:7], off
	global_load_b128 v[8:11], v[8:9], off
	global_load_b128 v[12:15], v[16:17], off
	global_load_b128 v[16:19], v[18:19], off
	global_load_b128 v[20:23], v[20:21], off
	global_load_b128 v[24:27], v[24:25], off
	global_load_b128 v[28:31], v[28:29], off
	v_cvt_f32_f16_e32 v34, v34
	v_bfi_b32 v51, 0x7fffffff, v51, v52
	v_add_nc_u32_e32 v138, 0x1800, v106
	v_add_nc_u32_e32 v137, 0x2000, v106
	;; [unrolled: 1-line block ×3, first 2 shown]
	s_delay_alu instid0(VALU_DEP_4) | instskip(SKIP_1) | instid1(VALU_DEP_2)
	v_dual_fmac_f32 v34, s35, v51 :: v_dual_add_nc_u32 v135, 0x3000, v106
	v_dual_max_num_f32 v51, v33, v33 :: v_dual_add_nc_u32 v134, 0x3800, v106
	v_add_f32_e32 v52, 0x40051340, v34
	s_delay_alu instid0(VALU_DEP_1) | instskip(SKIP_3) | instid1(VALU_DEP_1)
	v_max_num_f32_e32 v51, v51, v52
	ds_bpermute_b32 v44, v44, v51
	s_wait_dscnt 0x0
	v_max_num_f32_e32 v44, v44, v44
	v_max_num_f32_e32 v44, v51, v44
	ds_bpermute_b32 v45, v45, v44
	s_wait_dscnt 0x0
	v_max_num_f32_e32 v45, v45, v45
	s_delay_alu instid0(VALU_DEP_1) | instskip(SKIP_3) | instid1(VALU_DEP_1)
	v_max_num_f32_e32 v44, v44, v45
	ds_bpermute_b32 v45, v46, v44
	s_wait_dscnt 0x0
	v_dual_max_num_f32 v46, v50, v50 :: v_dual_max_num_f32 v45, v45, v45
	v_max_num_f32_e32 v44, v44, v45
	ds_bpermute_b32 v45, v47, v44
	v_max_num_f32_e32 v47, v48, v48
	s_delay_alu instid0(VALU_DEP_1) | instskip(NEXT) | instid1(VALU_DEP_1)
	v_max_num_f32_e32 v102, v47, v46
	v_dual_sub_f32 v35, v35, v102 :: v_dual_sub_f32 v32, v32, v102
	s_delay_alu instid0(VALU_DEP_1) | instskip(NEXT) | instid1(VALU_DEP_2)
	v_mul_f32_e32 v47, 0x3fb8aa3b, v35
	v_cmp_ngt_f32_e32 vcc_lo, 0xc2ce8ed0, v32
	s_wait_dscnt 0x0
	v_max_num_f32_e32 v45, v45, v45
	s_delay_alu instid0(VALU_DEP_3) | instskip(NEXT) | instid1(VALU_DEP_2)
	v_fma_f32 v50, 0x3fb8aa3b, v35, -v47
	v_max_num_f32_e32 v44, v44, v45
	ds_bpermute_b32 v45, v49, v44
	s_wait_dscnt 0x0
	v_dual_mul_f32 v46, 0x3fb8aa3b, v32 :: v_dual_max_num_f32 v45, v45, v45
	s_delay_alu instid0(VALU_DEP_1) | instskip(SKIP_1) | instid1(VALU_DEP_2)
	v_fma_f32 v48, 0x3fb8aa3b, v32, -v46
	v_rndne_f32_e32 v49, v46
	v_dual_max_num_f32 v103, v44, v45 :: v_dual_fmac_f32 v48, 0x32a5705f, v32
	v_rndne_f32_e32 v44, v47
	s_delay_alu instid0(VALU_DEP_3) | instskip(SKIP_1) | instid1(VALU_DEP_4)
	v_sub_f32_e32 v45, v46, v49
	v_cvt_i32_f32_e32 v46, v49
	v_sub_f32_e32 v33, v33, v103
	v_fmac_f32_e32 v50, 0x32a5705f, v35
	v_dual_sub_f32 v49, v34, v103 :: v_dual_sub_f32 v34, v47, v44
	v_add_f32_e32 v45, v45, v48
	s_delay_alu instid0(VALU_DEP_4) | instskip(SKIP_1) | instid1(VALU_DEP_4)
	v_mul_f32_e32 v47, 0x3fb8aa3b, v33
	v_cvt_i32_f32_e32 v44, v44
	v_add_f32_e32 v34, v34, v50
	s_delay_alu instid0(VALU_DEP_4) | instskip(NEXT) | instid1(VALU_DEP_3)
	v_exp_f32_e32 v45, v45
	v_fma_f32 v50, 0x3fb8aa3b, v33, -v47
	v_rndne_f32_e32 v51, v47
	s_delay_alu instid0(VALU_DEP_3) | instskip(NEXT) | instid1(VALU_DEP_2)
	v_exp_f32_e32 v34, v34
	v_fmac_f32_e32 v50, 0x32a5705f, v33
	s_delay_alu instid0(TRANS32_DEP_2) | instskip(NEXT) | instid1(TRANS32_DEP_1)
	v_ldexp_f32 v45, v45, v46
	v_ldexp_f32 v34, v34, v44
	s_delay_alu instid0(VALU_DEP_2) | instskip(SKIP_1) | instid1(VALU_DEP_3)
	v_cndmask_b32_e32 v45, 0, v45, vcc_lo
	v_cmp_ngt_f32_e32 vcc_lo, 0xc2ce8ed0, v35
	v_cndmask_b32_e32 v34, 0, v34, vcc_lo
	v_cmp_nlt_f32_e32 vcc_lo, 0x42b17218, v32
	s_delay_alu instid0(VALU_DEP_4) | instskip(SKIP_1) | instid1(VALU_DEP_4)
	v_cndmask_b32_e32 v32, 0x7f800000, v45, vcc_lo
	v_cmp_nlt_f32_e32 vcc_lo, 0x42b17218, v35
	v_cndmask_b32_e32 v34, 0x7f800000, v34, vcc_lo
	v_cmp_ngt_f32_e32 vcc_lo, 0xc2ce8ed0, v33
	v_mul_f32_e32 v48, 0x3fb8aa3b, v49
	s_delay_alu instid0(VALU_DEP_1) | instskip(SKIP_2) | instid1(VALU_DEP_3)
	v_fma_f32 v52, 0x3fb8aa3b, v49, -v48
	v_rndne_f32_e32 v53, v48
	v_sub_f32_e32 v54, v47, v51
	v_fmac_f32_e32 v52, 0x32a5705f, v49
	s_delay_alu instid0(VALU_DEP_3) | instskip(NEXT) | instid1(VALU_DEP_3)
	v_sub_f32_e32 v48, v48, v53
	v_dual_add_f32 v44, v54, v50 :: v_dual_add_nc_u32 v47, v121, v105
	v_cvt_i32_f32_e32 v50, v53
	s_delay_alu instid0(VALU_DEP_3) | instskip(SKIP_1) | instid1(VALU_DEP_4)
	v_add_f32_e32 v46, v48, v52
	v_cvt_i32_f32_e32 v48, v51
	v_exp_f32_e32 v44, v44
	s_delay_alu instid0(VALU_DEP_2) | instskip(NEXT) | instid1(TRANS32_DEP_2)
	v_exp_f32_e32 v46, v46
	v_ldexp_f32 v44, v44, v48
	s_delay_alu instid0(TRANS32_DEP_1) | instskip(SKIP_1) | instid1(VALU_DEP_3)
	v_ldexp_f32 v45, v46, v50
	v_cvt_f16_f32_e32 v46, v32
	v_cndmask_b32_e32 v35, 0, v44, vcc_lo
	v_cmp_ngt_f32_e32 vcc_lo, 0xc2ce8ed0, v49
	s_delay_alu instid0(VALU_DEP_3) | instskip(SKIP_3) | instid1(VALU_DEP_4)
	v_and_b32_e32 v46, 0xffff, v46
	v_cndmask_b32_e32 v44, 0, v45, vcc_lo
	v_cmp_nlt_f32_e32 vcc_lo, 0x42b17218, v33
	v_add_nc_u32_e32 v45, 0x800, v106
	v_mul_u32_u24_e32 v46, 0x10001, v46
	v_cndmask_b32_e32 v33, 0x7f800000, v35, vcc_lo
	v_cmp_nlt_f32_e32 vcc_lo, 0x42b17218, v49
	s_delay_alu instid0(VALU_DEP_3) | instskip(SKIP_4) | instid1(VALU_DEP_2)
	v_pk_mul_f16 v43, v43, v46
	v_pk_mul_f16 v42, v42, v46
	;; [unrolled: 1-line block ×3, first 2 shown]
	v_cndmask_b32_e32 v35, 0x7f800000, v44, vcc_lo
	v_add_nc_u32_e32 v44, 0x1000, v106
	v_cvt_pk_f16_f32 v49, v34, v35
	v_pk_fma_f32 v[82:83], v[82:83], v[32:33], v[34:35]
	ds_store_b32 v47, v49
	s_wait_loadcnt 0x7
	ds_store_b128 v119, v[0:3]
	s_wait_loadcnt 0x6
	ds_store_b128 v122, v[4:7]
	;; [unrolled: 2-line block ×8, first 2 shown]
	s_wait_dscnt 0x0
	s_barrier_signal -1
	s_barrier_wait -1
	ds_load_b128 v[0:3], v121
	ds_load_2addr_b64 v[28:31], v106 offset1:32
	s_wait_dscnt 0x1
	v_and_b32_e32 v35, 0xffff, v0
	v_lshrrev_b32_e32 v0, 16, v0
	v_cvt_f16_f32_e32 v48, v33
	v_lshrrev_b32_e32 v139, 16, v3
	v_and_b32_e32 v3, 0xffff, v3
	v_mul_u32_u24_e32 v35, 0x10001, v35
	v_mul_u32_u24_e32 v0, 0x10001, v0
	v_and_b32_e32 v48, 0xffff, v48
	v_mul_u32_u24_e32 v139, 0x10001, v139
	v_mul_u32_u24_e32 v3, 0x10001, v3
	s_delay_alu instid0(VALU_DEP_3)
	v_mul_u32_u24_e32 v47, 0x10001, v48
	ds_load_b128 v[60:63], v121 offset:16
	ds_load_b128 v[24:27], v121 offset:32
	;; [unrolled: 1-line block ×3, first 2 shown]
	ds_load_2addr_b64 v[48:51], v106 offset0:64 offset1:96
	ds_load_2addr_b64 v[140:143], v106 offset0:128 offset1:160
	;; [unrolled: 1-line block ×3, first 2 shown]
	ds_load_2addr_b64 v[20:23], v45 offset1:32
	ds_load_2addr_b64 v[12:15], v45 offset0:64 offset1:96
	ds_load_2addr_b64 v[4:7], v45 offset0:128 offset1:160
	ds_load_2addr_b64 v[8:11], v45 offset0:192 offset1:224
	s_wait_dscnt 0xa
	v_pk_fma_f16 v45, v31, v35, v41
	ds_load_2addr_b64 v[56:59], v44 offset1:32
	ds_load_2addr_b64 v[52:55], v44 offset0:64 offset1:96
	v_pk_mul_f16 v32, v39, v47
	v_pk_mul_f16 v33, v37, v47
	;; [unrolled: 1-line block ×3, first 2 shown]
	v_lshrrev_b32_e32 v37, 16, v1
	v_pk_fma_f16 v38, v29, v35, v43
	v_pk_fma_f16 v39, v30, v35, v42
	v_pk_mul_f16 v35, v28, v35
	v_and_b32_e32 v1, 0xffff, v1
	v_pk_fma_f16 v29, v29, v0, v32
	v_pk_fma_f16 v30, v30, v0, v33
	v_pk_fma_f16 v31, v31, v0, v34
	v_pk_mul_f16 v0, v28, v0
	v_lshrrev_b32_e32 v28, 16, v2
	v_and_b32_e32 v2, 0xffff, v2
	v_mul_u32_u24_e32 v1, 0x10001, v1
	v_mul_u32_u24_e32 v37, 0x10001, v37
	v_pk_fma_f16 v46, v40, v46, v35
	v_pk_fma_f16 v0, v36, v47, v0
	v_mul_u32_u24_e32 v2, 0x10001, v2
	s_wait_dscnt 0x8
	v_pk_fma_f16 v36, v49, v1, v38
	v_pk_fma_f16 v29, v49, v37, v29
	;; [unrolled: 1-line block ×5, first 2 shown]
	v_mul_u32_u24_e32 v28, 0x10001, v28
	v_pk_fma_f16 v30, v50, v37, v30
	v_pk_fma_f16 v31, v51, v37, v31
	;; [unrolled: 1-line block ×3, first 2 shown]
	v_and_b32_e32 v37, 0xffff, v60
	s_wait_dscnt 0x7
	v_pk_fma_f16 v36, v141, v2, v36
	v_pk_fma_f16 v29, v141, v28, v29
	v_pk_fma_f16 v38, v142, v2, v38
	v_pk_fma_f16 v39, v143, v2, v39
	v_pk_fma_f16 v1, v140, v2, v1
	v_pk_fma_f16 v30, v142, v28, v30
	v_pk_fma_f16 v31, v143, v28, v31
	v_pk_fma_f16 v0, v140, v28, v0
	v_lshrrev_b32_e32 v2, 16, v60
	v_mul_u32_u24_e32 v60, 0x10001, v37
	s_wait_dscnt 0x6
	v_pk_fma_f16 v140, v145, v3, v36
	v_pk_fma_f16 v141, v145, v139, v29
	v_pk_fma_f16 v142, v146, v3, v38
	v_pk_fma_f16 v145, v147, v3, v39
	v_pk_fma_f16 v1, v144, v3, v1
	v_and_b32_e32 v3, 0xffff, v61
	ds_load_2addr_b64 v[32:35], v44 offset0:128 offset1:160
	ds_load_2addr_b64 v[40:43], v44 offset0:192 offset1:224
	ds_load_2addr_b64 v[48:51], v138 offset1:32
	ds_load_2addr_b64 v[44:47], v138 offset0:64 offset1:96
	v_pk_fma_f16 v143, v146, v139, v30
	v_pk_fma_f16 v146, v147, v139, v31
	;; [unrolled: 1-line block ×3, first 2 shown]
	ds_load_2addr_b64 v[36:39], v138 offset0:128 offset1:160
	ds_load_2addr_b64 v[28:31], v138 offset0:192 offset1:224
	s_wait_dscnt 0xb
	v_pk_fma_f16 v138, v21, v60, v140
	v_pk_fma_f16 v139, v22, v60, v142
	v_pk_fma_f16 v140, v23, v60, v145
	v_pk_fma_f16 v1, v20, v60, v1
	v_lshrrev_b32_e32 v60, 16, v61
	v_mul_u32_u24_e32 v2, 0x10001, v2
	v_mul_u32_u24_e32 v3, 0x10001, v3
	s_delay_alu instid0(VALU_DEP_3) | instskip(NEXT) | instid1(VALU_DEP_3)
	v_mul_u32_u24_e32 v60, 0x10001, v60
	v_pk_fma_f16 v61, v21, v2, v141
	v_pk_fma_f16 v141, v22, v2, v143
	;; [unrolled: 1-line block ×4, first 2 shown]
	v_and_b32_e32 v2, 0xffff, v62
	s_wait_dscnt 0xa
	v_pk_fma_f16 v138, v13, v3, v138
	v_pk_fma_f16 v139, v14, v3, v139
	;; [unrolled: 1-line block ×4, first 2 shown]
	v_lshrrev_b32_e32 v3, 16, v62
	v_mul_u32_u24_e32 v2, 0x10001, v2
	v_pk_fma_f16 v61, v13, v60, v61
	v_pk_fma_f16 v62, v14, v60, v141
	;; [unrolled: 1-line block ×4, first 2 shown]
	v_lshrrev_b32_e32 v142, 16, v63
	v_and_b32_e32 v63, 0xffff, v63
	v_mul_u32_u24_e32 v143, 0x10001, v3
	s_wait_dscnt 0x9
	v_pk_fma_f16 v138, v5, v2, v138
	v_pk_fma_f16 v139, v6, v2, v139
	;; [unrolled: 1-line block ×8, first 2 shown]
	v_and_b32_e32 v143, 0xffff, v24
	v_mul_u32_u24_e32 v63, 0x10001, v63
	v_lshrrev_b32_e32 v24, 16, v24
	v_mul_u32_u24_e32 v142, 0x10001, v142
	ds_load_2addr_b64 v[20:23], v137 offset1:32
	ds_load_2addr_b64 v[12:15], v137 offset0:64 offset1:96
	ds_load_2addr_b64 v[0:3], v137 offset0:128 offset1:160
	;; [unrolled: 1-line block ×3, first 2 shown]
	v_mul_u32_u24_e32 v137, 0x10001, v143
	s_wait_dscnt 0xc
	v_pk_fma_f16 v138, v9, v63, v138
	v_pk_fma_f16 v61, v9, v142, v61
	;; [unrolled: 1-line block ×8, first 2 shown]
	v_lshrrev_b32_e32 v142, 16, v25
	v_and_b32_e32 v25, 0xffff, v25
	v_mul_u32_u24_e32 v24, 0x10001, v24
	s_wait_dscnt 0xb
	v_pk_fma_f16 v138, v57, v137, v138
	v_pk_fma_f16 v139, v58, v137, v139
	;; [unrolled: 1-line block ×4, first 2 shown]
	v_and_b32_e32 v137, 0xffff, v26
	v_mul_u32_u24_e32 v25, 0x10001, v25
	v_pk_fma_f16 v57, v57, v24, v61
	v_pk_fma_f16 v58, v58, v24, v62
	;; [unrolled: 1-line block ×4, first 2 shown]
	s_wait_dscnt 0xa
	v_pk_fma_f16 v60, v53, v25, v138
	v_pk_fma_f16 v62, v54, v25, v139
	;; [unrolled: 1-line block ×4, first 2 shown]
	v_mul_u32_u24_e32 v137, 0x10001, v137
	v_lshrrev_b32_e32 v143, 16, v27
	v_and_b32_e32 v144, 0xffff, v27
	ds_load_2addr_b64 v[8:11], v136 offset1:32
	s_wait_dscnt 0xa
	v_pk_fma_f16 v60, v33, v137, v60
	v_pk_fma_f16 v62, v34, v137, v62
	;; [unrolled: 1-line block ×4, first 2 shown]
	v_and_b32_e32 v137, 0xffff, v16
	v_lshrrev_b32_e32 v16, 16, v16
	v_mul_u32_u24_e32 v142, 0x10001, v142
	v_mul_u32_u24_e32 v143, 0x10001, v143
	s_delay_alu instid0(VALU_DEP_4) | instskip(NEXT) | instid1(VALU_DEP_4)
	v_mul_u32_u24_e32 v137, 0x10001, v137
	v_mul_u32_u24_e32 v16, 0x10001, v16
	s_delay_alu instid0(VALU_DEP_4)
	v_pk_fma_f16 v61, v53, v142, v57
	v_pk_fma_f16 v138, v54, v142, v58
	;; [unrolled: 1-line block ×4, first 2 shown]
	v_lshrrev_b32_e32 v142, 16, v26
	ds_load_b128 v[56:59], v121 offset:64
	ds_load_b128 v[52:55], v121 offset:80
	ds_load_2addr_b64 v[24:27], v136 offset0:64 offset1:96
	v_mul_u32_u24_e32 v142, 0x10001, v142
	s_delay_alu instid0(VALU_DEP_1)
	v_pk_fma_f16 v61, v33, v142, v61
	v_pk_fma_f16 v138, v34, v142, v138
	;; [unrolled: 1-line block ×4, first 2 shown]
	v_mul_u32_u24_e32 v142, 0x10001, v144
	s_wait_dscnt 0xc
	v_pk_fma_f16 v61, v41, v143, v61
	v_pk_fma_f16 v138, v42, v143, v138
	;; [unrolled: 1-line block ×8, first 2 shown]
	ds_load_2addr_b64 v[32:35], v136 offset0:128 offset1:160
	ds_load_2addr_b64 v[40:43], v136 offset0:192 offset1:224
	v_and_b32_e32 v136, 0xffff, v17
	s_wait_dscnt 0xd
	v_pk_fma_f16 v60, v49, v137, v60
	v_pk_fma_f16 v61, v49, v16, v61
	v_pk_fma_f16 v62, v50, v137, v62
	v_pk_fma_f16 v138, v50, v16, v138
	v_pk_fma_f16 v139, v51, v137, v139
	v_pk_fma_f16 v140, v51, v16, v140
	v_pk_fma_f16 v63, v48, v137, v63
	v_pk_fma_f16 v137, v48, v16, v141
	v_dual_lshrrev_b32 v16, 16, v17 :: v_dual_lshrrev_b32 v141, 16, v18
	v_lshrrev_b32_e32 v142, 16, v19
	v_mul_u32_u24_e32 v17, 0x10001, v136
	v_and_b32_e32 v136, 0xffff, v18
	s_delay_alu instid0(VALU_DEP_4)
	v_mul_u32_u24_e32 v144, 0x10001, v16
	v_and_b32_e32 v143, 0xffff, v19
	v_mul_u32_u24_e32 v141, 0x10001, v141
	s_wait_dscnt 0xc
	v_pk_fma_f16 v60, v45, v17, v60
	v_pk_fma_f16 v62, v46, v17, v62
	;; [unrolled: 1-line block ×4, first 2 shown]
	v_mul_u32_u24_e32 v136, 0x10001, v136
	v_pk_fma_f16 v61, v45, v144, v61
	v_pk_fma_f16 v138, v46, v144, v138
	;; [unrolled: 1-line block ×4, first 2 shown]
	s_wait_dscnt 0x4
	v_lshrrev_b32_e32 v144, 16, v56
	v_pk_fma_f16 v60, v37, v136, v60
	v_pk_fma_f16 v62, v38, v136, v62
	;; [unrolled: 1-line block ×4, first 2 shown]
	v_and_b32_e32 v56, 0xffff, v56
	v_pk_fma_f16 v61, v37, v141, v61
	v_pk_fma_f16 v136, v38, v141, v138
	;; [unrolled: 1-line block ×4, first 2 shown]
	v_mul_u32_u24_e32 v36, 0x10001, v143
	v_mul_u32_u24_e32 v142, 0x10001, v142
	v_lshrrev_b32_e32 v140, 16, v57
	v_and_b32_e32 v57, 0xffff, v57
	v_mul_u32_u24_e32 v56, 0x10001, v56
	v_pk_fma_f16 v60, v29, v36, v60
	v_pk_fma_f16 v62, v30, v36, v62
	;; [unrolled: 1-line block ×8, first 2 shown]
	v_mul_u32_u24_e32 v142, 0x10001, v144
	v_dual_lshrrev_b32 v141, 16, v58 :: v_dual_lshrrev_b32 v143, 16, v59
	v_and_b32_e32 v58, 0xffff, v58
	v_pk_fma_f16 v60, v21, v56, v60
	v_pk_fma_f16 v62, v22, v56, v62
	;; [unrolled: 1-line block ×8, first 2 shown]
	v_mul_u32_u24_e32 v57, 0x10001, v57
	v_mul_u32_u24_e32 v140, 0x10001, v140
	v_and_b32_e32 v59, 0xffff, v59
	v_mul_u32_u24_e32 v58, 0x10001, v58
	ds_load_2addr_b64 v[48:51], v135 offset1:32
	v_pk_fma_f16 v60, v13, v57, v60
	v_pk_fma_f16 v62, v14, v57, v62
	;; [unrolled: 1-line block ×8, first 2 shown]
	v_mul_u32_u24_e32 v138, 0x10001, v141
	ds_load_b128 v[16:19], v121 offset:96
	ds_load_b128 v[20:23], v121 offset:112
	ds_load_2addr_b64 v[44:47], v135 offset0:64 offset1:96
	ds_load_2addr_b64 v[36:39], v135 offset0:128 offset1:160
	;; [unrolled: 1-line block ×3, first 2 shown]
	s_wait_dscnt 0x9
	v_dual_lshrrev_b32 v135, 16, v52 :: v_dual_lshrrev_b32 v63, 16, v53
	v_and_b32_e32 v52, 0xffff, v52
	v_pk_fma_f16 v60, v1, v58, v60
	v_pk_fma_f16 v62, v2, v58, v62
	;; [unrolled: 1-line block ×4, first 2 shown]
	v_mul_u32_u24_e32 v59, 0x10001, v59
	v_mul_u32_u24_e32 v139, 0x10001, v143
	v_pk_fma_f16 v1, v1, v138, v13
	v_pk_fma_f16 v2, v2, v138, v14
	;; [unrolled: 1-line block ×4, first 2 shown]
	v_and_b32_e32 v53, 0xffff, v53
	v_mul_u32_u24_e32 v52, 0x10001, v52
	v_mul_u32_u24_e32 v135, 0x10001, v135
	v_pk_fma_f16 v12, v5, v59, v60
	v_pk_fma_f16 v1, v5, v139, v1
	;; [unrolled: 1-line block ×8, first 2 shown]
	v_dual_lshrrev_b32 v142, 16, v54 :: v_dual_lshrrev_b32 v144, 16, v55
	v_and_b32_e32 v54, 0xffff, v54
	v_mul_u32_u24_e32 v53, 0x10001, v53
	v_mul_u32_u24_e32 v63, 0x10001, v63
	v_pk_fma_f16 v1, v9, v135, v1
	v_pk_fma_f16 v2, v10, v135, v2
	;; [unrolled: 1-line block ×4, first 2 shown]
	v_and_b32_e32 v55, 0xffff, v55
	v_mul_u32_u24_e32 v54, 0x10001, v54
	v_mul_u32_u24_e32 v140, 0x10001, v142
	v_pk_fma_f16 v3, v11, v135, v3
	s_wait_dscnt 0x8
	v_pk_fma_f16 v1, v25, v63, v1
	v_pk_fma_f16 v2, v26, v63, v2
	;; [unrolled: 1-line block ×5, first 2 shown]
	s_wait_dscnt 0x4
	v_dual_lshrrev_b32 v57, 16, v16 :: v_dual_lshrrev_b32 v61, 16, v17
	v_and_b32_e32 v16, 0xffff, v16
	v_mul_u32_u24_e32 v55, 0x10001, v55
	v_mul_u32_u24_e32 v141, 0x10001, v144
	v_pk_fma_f16 v5, v10, v52, v5
	v_pk_fma_f16 v6, v11, v52, v6
	;; [unrolled: 1-line block ×8, first 2 shown]
	v_and_b32_e32 v17, 0xffff, v17
	v_mul_u32_u24_e32 v16, 0x10001, v16
	v_mul_u32_u24_e32 v57, 0x10001, v57
	v_pk_fma_f16 v5, v26, v53, v5
	v_pk_fma_f16 v6, v27, v53, v6
	;; [unrolled: 1-line block ×8, first 2 shown]
	v_dual_lshrrev_b32 v136, 16, v18 :: v_dual_lshrrev_b32 v11, 16, v19
	v_and_b32_e32 v18, 0xffff, v18
	v_mul_u32_u24_e32 v17, 0x10001, v17
	v_mul_u32_u24_e32 v61, 0x10001, v61
	v_pk_fma_f16 v5, v34, v54, v5
	v_pk_fma_f16 v6, v35, v54, v6
	v_pk_fma_f16 v3, v43, v141, v3
	v_pk_fma_f16 v1, v49, v57, v1
	v_pk_fma_f16 v2, v50, v57, v2
	v_pk_fma_f16 v7, v48, v16, v7
	v_pk_fma_f16 v0, v48, v57, v0
	v_pk_fma_f16 v4, v41, v55, v4
	v_mul_u32_u24_e32 v18, 0x10001, v18
	v_mul_u32_u24_e32 v136, 0x10001, v136
	v_pk_fma_f16 v5, v42, v55, v5
	v_pk_fma_f16 v6, v43, v55, v6
	;; [unrolled: 1-line block ×3, first 2 shown]
	s_wait_dscnt 0x2
	v_pk_fma_f16 v1, v45, v61, v1
	v_pk_fma_f16 v8, v46, v61, v2
	v_pk_fma_f16 v2, v44, v17, v7
	v_pk_fma_f16 v0, v44, v61, v0
	v_pk_fma_f16 v4, v49, v16, v4
	v_pk_fma_f16 v5, v50, v16, v5
	v_pk_fma_f16 v6, v51, v16, v6
	v_pk_fma_f16 v7, v47, v61, v3
	s_wait_dscnt 0x1
	v_pk_fma_f16 v9, v36, v18, v2
	v_pk_fma_f16 v10, v36, v136, v0
	;; [unrolled: 1-line block ×3, first 2 shown]
	ds_load_2addr_b64 v[0:3], v134 offset1:32
	v_and_b32_e32 v58, 0xffff, v19
	v_pk_fma_f16 v4, v45, v17, v4
	v_pk_fma_f16 v5, v46, v17, v5
	;; [unrolled: 1-line block ×3, first 2 shown]
	v_mul_u32_u24_e32 v11, 0x10001, v11
	v_mul_u32_u24_e32 v14, 0x10001, v58
	v_pk_fma_f16 v4, v37, v18, v4
	v_pk_fma_f16 v13, v38, v18, v5
	;; [unrolled: 1-line block ×3, first 2 shown]
	v_and_b32_e32 v18, 0xffff, v20
	v_lshrrev_b32_e32 v19, 16, v20
	v_pk_fma_f16 v16, v39, v136, v7
	s_wait_dscnt 0x1
	v_pk_fma_f16 v17, v29, v14, v4
	ds_load_2addr_b64 v[4:7], v134 offset0:64 offset1:96
	v_pk_fma_f16 v8, v38, v136, v8
	v_pk_fma_f16 v9, v28, v14, v9
	;; [unrolled: 1-line block ×3, first 2 shown]
	v_mul_u32_u24_e32 v18, 0x10001, v18
	v_mul_u32_u24_e32 v19, 0x10001, v19
	v_pk_fma_f16 v12, v29, v11, v12
	v_pk_fma_f16 v13, v30, v14, v13
	;; [unrolled: 1-line block ×5, first 2 shown]
	s_wait_dscnt 0x1
	v_pk_fma_f16 v16, v0, v18, v9
	v_pk_fma_f16 v0, v0, v19, v10
	v_and_b32_e32 v9, 0xffff, v21
	v_lshrrev_b32_e32 v10, 16, v21
	v_pk_fma_f16 v17, v1, v18, v17
	v_pk_fma_f16 v1, v1, v19, v12
	;; [unrolled: 1-line block ×4, first 2 shown]
	v_mul_u32_u24_e32 v13, 0x10001, v9
	v_mul_u32_u24_e32 v20, 0x10001, v10
	ds_load_2addr_b64 v[8:11], v134 offset0:128 offset1:160
	v_pk_fma_f16 v14, v3, v18, v14
	v_pk_fma_f16 v3, v3, v19, v15
	s_wait_dscnt 0x1
	v_pk_fma_f16 v15, v4, v13, v16
	v_pk_fma_f16 v4, v4, v20, v0
	;; [unrolled: 1-line block ×8, first 2 shown]
	ds_load_2addr_b64 v[0:3], v134 offset0:192 offset1:224
	s_wait_dscnt 0x0
	s_barrier_signal -1
	s_barrier_wait -1
	s_load_b32 s5, s[20:21], 0x4
	v_and_b32_e32 v17, 0xffff, v22
	v_lshrrev_b32_e32 v18, 16, v22
	s_delay_alu instid0(VALU_DEP_2) | instskip(NEXT) | instid1(VALU_DEP_2)
	v_mul_u32_u24_e32 v14, 0x10001, v17
	v_mul_u32_u24_e32 v17, 0x10001, v18
	v_lshrrev_b32_e32 v18, 16, v23
	s_delay_alu instid0(VALU_DEP_3) | instskip(NEXT) | instid1(VALU_DEP_3)
	v_pk_fma_f16 v15, v8, v14, v15
	v_pk_fma_f16 v4, v8, v17, v4
	v_and_b32_e32 v8, 0xffff, v23
	v_pk_fma_f16 v16, v9, v14, v16
	v_pk_fma_f16 v5, v9, v17, v5
	;; [unrolled: 1-line block ×3, first 2 shown]
	v_mul_u32_u24_e32 v12, 0x10001, v18
	v_mul_u32_u24_e32 v8, 0x10001, v8
	v_pk_fma_f16 v6, v10, v17, v6
	v_pk_fma_f16 v10, v11, v14, v13
	;; [unrolled: 1-line block ×3, first 2 shown]
	s_wait_kmcnt 0x0
	s_lshl_b32 s5, s5, 5
	v_pk_fma_f16 v40, v0, v8, v15
	v_pk_fma_f16 v36, v0, v12, v4
	v_pk_fma_f16 v43, v1, v8, v16
	v_pk_fma_f16 v39, v1, v12, v5
	v_pk_fma_f16 v42, v2, v8, v9
	v_pk_fma_f16 v37, v2, v12, v6
	v_pk_fma_f16 v41, v3, v8, v10
	v_pk_fma_f16 v38, v3, v12, v7
	s_add_co_i32 s4, s5, s4
	s_delay_alu instid0(SALU_CYCLE_1)
	s_cmp_ge_i32 s4, s28
	s_cbranch_scc1 .LBB60_19
; %bb.18:                               ;   in Loop: Header=BB60_9 Depth=1
	v_dual_mov_b32 v32, v102 :: v_dual_mov_b32 v33, v103
	s_branch .LBB60_9
.LBB60_19:
	v_mov_b32_e32 v3, v107
.LBB60_20:
	v_cmp_lt_i32_e32 vcc_lo, v133, v108
	s_cmp_lg_u64 s[12:13], 0
	s_cselect_b32 s3, -1, 0
	s_cmp_eq_u32 s29, 0
	v_cndmask_b32_e32 v0, v3, v133, vcc_lo
	v_cmp_lt_i32_e32 vcc_lo, v129, v108
	s_cselect_b32 s4, -1, 0
	s_delay_alu instid0(SALU_CYCLE_1) | instskip(SKIP_2) | instid1(VALU_DEP_2)
	s_and_b32 s3, s4, s3
	v_cndmask_b32_e32 v2, v3, v129, vcc_lo
	v_cmp_lt_i32_e32 vcc_lo, v130, v108
	v_dual_lshlrev_b32 v2, 2, v2 :: v_dual_lshlrev_b32 v1, 2, v0
	ds_bpermute_b32 v0, v1, v82
	ds_bpermute_b32 v1, v1, v83
	s_wait_dscnt 0x0
	v_pk_add_f32 v[0:1], v[82:83], v[0:1]
	ds_bpermute_b32 v4, v2, v0
	ds_bpermute_b32 v5, v2, v1
	v_cndmask_b32_e32 v2, v3, v130, vcc_lo
	v_cmp_lt_i32_e32 vcc_lo, v131, v108
	s_delay_alu instid0(VALU_DEP_2)
	v_lshlrev_b32_e32 v2, 2, v2
	s_wait_dscnt 0x0
	v_pk_add_f32 v[0:1], v[0:1], v[4:5]
	ds_bpermute_b32 v4, v2, v0
	ds_bpermute_b32 v5, v2, v1
	v_cndmask_b32_e32 v2, v3, v131, vcc_lo
	v_cmp_lt_i32_e32 vcc_lo, v132, v108
	s_delay_alu instid0(VALU_DEP_2)
	v_lshlrev_b32_e32 v2, 2, v2
	s_wait_dscnt 0x0
	v_pk_add_f32 v[0:1], v[0:1], v[4:5]
	ds_bpermute_b32 v4, v2, v0
	ds_bpermute_b32 v5, v2, v1
	v_cndmask_b32_e32 v2, v3, v132, vcc_lo
	s_and_b32 vcc_lo, exec_lo, s3
	s_mov_b32 s3, 0
	s_delay_alu instid0(VALU_DEP_1)
	v_lshlrev_b32_e32 v2, 2, v2
	s_wait_dscnt 0x0
	v_pk_add_f32 v[0:1], v[0:1], v[4:5]
	ds_bpermute_b32 v4, v2, v0
	ds_bpermute_b32 v5, v2, v1
	v_add_nc_u32_e32 v2, s33, v64
	s_cbranch_vccnz .LBB60_23
; %bb.21:
	v_add_nc_u32_e32 v3, s33, v64
	s_wait_dscnt 0x0
	v_pk_add_f32 v[0:1], v[0:1], v[4:5]
	s_and_not1_b32 vcc_lo, exec_lo, s3
	s_cbranch_vccz .LBB60_24
; %bb.22:
	v_mov_b32_e32 v2, v3
	s_branch .LBB60_25
.LBB60_23:
                                        ; implicit-def: $vgpr3
	s_wait_dscnt 0x0
	v_pk_add_f32 v[0:1], v[0:1], v[4:5]
.LBB60_24:
	s_delay_alu instid0(VALU_DEP_2) | instskip(NEXT) | instid1(VALU_DEP_1)
	v_dual_ashrrev_i32 v3, 31, v2 :: v_dual_max_num_f32 v7, v103, v103
	v_lshl_add_u64 v[4:5], v[2:3], 2, s[12:13]
	v_max_num_f32_e32 v3, v102, v102
	global_load_b64 v[4:5], v[4:5], off
	s_wait_loadcnt 0x0
	v_dual_max_num_f32 v6, v4, v4 :: v_dual_max_num_f32 v8, v5, v5
	s_delay_alu instid0(VALU_DEP_1) | instskip(NEXT) | instid1(VALU_DEP_1)
	v_max_num_f32_e32 v6, v3, v6
	v_dual_max_num_f32 v7, v7, v8 :: v_dual_sub_f32 v3, v102, v6
	s_delay_alu instid0(VALU_DEP_1) | instskip(SKIP_2) | instid1(VALU_DEP_3)
	v_dual_sub_f32 v8, v4, v6 :: v_dual_sub_f32 v9, v103, v7
	v_sub_f32_e32 v10, v5, v7
	v_mov_b64_e32 v[102:103], v[6:7]
	v_dual_mul_f32 v4, 0x3fb8aa3b, v3 :: v_dual_mul_f32 v5, 0x3fb8aa3b, v8
	s_delay_alu instid0(VALU_DEP_4) | instskip(SKIP_1) | instid1(VALU_DEP_3)
	v_mul_f32_e32 v11, 0x3fb8aa3b, v9
	v_cmp_ngt_f32_e32 vcc_lo, 0xc2ce8ed0, v3
	v_fma_f32 v13, 0x3fb8aa3b, v3, -v4
	v_rndne_f32_e32 v14, v4
	s_delay_alu instid0(VALU_DEP_4) | instskip(SKIP_2) | instid1(VALU_DEP_4)
	v_rndne_f32_e32 v18, v11
	v_fma_f32 v17, 0x3fb8aa3b, v9, -v11
	v_rndne_f32_e32 v16, v5
	v_dual_fmac_f32 v13, 0x32a5705f, v3 :: v_dual_sub_f32 v4, v4, v14
	s_delay_alu instid0(VALU_DEP_4) | instskip(SKIP_2) | instid1(VALU_DEP_4)
	v_sub_f32_e32 v11, v11, v18
	v_mul_f32_e32 v12, 0x3fb8aa3b, v10
	v_fma_f32 v15, 0x3fb8aa3b, v8, -v5
	v_dual_sub_f32 v5, v5, v16 :: v_dual_add_f32 v4, v4, v13
	v_cvt_i32_f32_e32 v13, v14
	s_delay_alu instid0(VALU_DEP_4) | instskip(SKIP_4) | instid1(VALU_DEP_3)
	v_fma_f32 v19, 0x3fb8aa3b, v10, -v12
	v_rndne_f32_e32 v20, v12
	v_fmac_f32_e32 v17, 0x32a5705f, v9
	v_exp_f32_e32 v4, v4
	v_cvt_i32_f32_e32 v14, v18
	v_sub_f32_e32 v12, v12, v20
	s_delay_alu instid0(TRANS32_DEP_1) | instskip(SKIP_2) | instid1(VALU_DEP_3)
	v_ldexp_f32 v4, v4, v13
	v_fmac_f32_e32 v19, 0x32a5705f, v10
	v_cvt_i32_f32_e32 v13, v20
	v_cndmask_b32_e32 v4, 0, v4, vcc_lo
	s_delay_alu instid0(VALU_DEP_3) | instskip(SKIP_2) | instid1(VALU_DEP_3)
	v_dual_fmac_f32 v15, 0x32a5705f, v8 :: v_dual_add_f32 v12, v12, v19
	v_add_f32_e32 v11, v11, v17
	v_cmp_ngt_f32_e32 vcc_lo, 0xc2ce8ed0, v9
	v_add_f32_e32 v5, v5, v15
	v_cvt_i32_f32_e32 v15, v16
	s_delay_alu instid0(VALU_DEP_4) | instskip(SKIP_1) | instid1(VALU_DEP_2)
	v_exp_f32_e32 v11, v11
	v_exp_f32_e32 v12, v12
	;; [unrolled: 1-line block ×3, first 2 shown]
	s_delay_alu instid0(TRANS32_DEP_3) | instskip(NEXT) | instid1(TRANS32_DEP_2)
	v_ldexp_f32 v11, v11, v14
	v_ldexp_f32 v12, v12, v13
	s_delay_alu instid0(VALU_DEP_2) | instskip(SKIP_1) | instid1(TRANS32_DEP_1)
	v_cndmask_b32_e32 v11, 0, v11, vcc_lo
	v_cmp_nlt_f32_e32 vcc_lo, 0x42b17218, v3
	v_ldexp_f32 v3, v5, v15
	v_cndmask_b32_e32 v4, 0x7f800000, v4, vcc_lo
	v_cmp_nlt_f32_e32 vcc_lo, 0x42b17218, v9
	s_delay_alu instid0(VALU_DEP_2) | instskip(SKIP_2) | instid1(VALU_DEP_3)
	v_cvt_f16_f32_e32 v9, v4
	v_cndmask_b32_e32 v5, 0x7f800000, v11, vcc_lo
	v_cmp_ngt_f32_e32 vcc_lo, 0xc2ce8ed0, v8
	v_and_b32_e32 v13, 0xffff, v9
	v_cndmask_b32_e32 v3, 0, v3, vcc_lo
	v_cmp_ngt_f32_e32 vcc_lo, 0xc2ce8ed0, v10
	v_cndmask_b32_e32 v11, 0, v12, vcc_lo
	v_cvt_f16_f32_e32 v12, v5
	v_cmp_nlt_f32_e32 vcc_lo, 0x42b17218, v8
	v_cndmask_b32_e32 v8, 0x7f800000, v3, vcc_lo
	v_cmp_nlt_f32_e32 vcc_lo, 0x42b17218, v10
	s_delay_alu instid0(VALU_DEP_4) | instskip(SKIP_2) | instid1(VALU_DEP_3)
	v_and_b32_e32 v3, 0xffff, v12
	v_mul_u32_u24_e32 v10, 0x10001, v13
	v_cndmask_b32_e32 v9, 0x7f800000, v11, vcc_lo
	v_mul_u32_u24_e32 v3, 0x10001, v3
	s_delay_alu instid0(VALU_DEP_3)
	v_pk_mul_f16 v40, v40, v10
	v_pk_mul_f16 v43, v43, v10
	;; [unrolled: 1-line block ×3, first 2 shown]
	v_pk_fma_f32 v[0:1], v[0:1], v[4:5], v[8:9]
	v_pk_mul_f16 v41, v41, v10
	v_pk_mul_f16 v36, v36, v3
	;; [unrolled: 1-line block ×5, first 2 shown]
.LBB60_25:
	s_load_b32 s0, s[0:1], 0xd4
	v_mov_b32_e32 v4, 1.0
	s_wait_kmcnt 0x0
	s_cmp_lg_u32 s0, 1
	s_cselect_b32 s3, -1, 0
	s_cmp_eq_u32 s0, 1
	s_cselect_b32 s1, -1, 0
	s_and_b32 vcc_lo, exec_lo, s3
	s_cbranch_vccnz .LBB60_27
; %bb.26:
	v_div_scale_f32 v3, null, v0, v0, 1.0
	s_delay_alu instid0(VALU_DEP_1) | instskip(SKIP_1) | instid1(TRANS32_DEP_1)
	v_rcp_f32_e32 v4, v3
	v_nop
	v_fma_f32 v5, -v3, v4, 1.0
	s_delay_alu instid0(VALU_DEP_1) | instskip(SKIP_1) | instid1(VALU_DEP_1)
	v_fmac_f32_e32 v4, v5, v4
	v_div_scale_f32 v5, vcc_lo, 1.0, v0, 1.0
	v_mul_f32_e32 v6, v5, v4
	s_delay_alu instid0(VALU_DEP_1) | instskip(NEXT) | instid1(VALU_DEP_1)
	v_fma_f32 v7, -v3, v6, v5
	v_fmac_f32_e32 v6, v7, v4
	s_delay_alu instid0(VALU_DEP_1) | instskip(NEXT) | instid1(VALU_DEP_1)
	v_fma_f32 v3, -v3, v6, v5
	v_div_fmas_f32 v3, v3, v4, v6
	s_delay_alu instid0(VALU_DEP_1)
	v_div_fixup_f32 v4, v3, v0, 1.0
.LBB60_27:
	v_mad_u32 v3, s2, s22, v104
	v_dual_mov_b32 v13, 0 :: v_dual_lshrrev_b32 v5, 16, v43
	v_dual_lshrrev_b32 v11, 16, v42 :: v_dual_lshrrev_b32 v15, 16, v41
	v_cvt_f32_f16_e32 v6, v40
	v_cvt_f32_f16_e32 v8, v43
	s_delay_alu instid0(VALU_DEP_4)
	v_cvt_f32_f16_e32 v9, v5
	v_cvt_f32_f16_e32 v10, v42
	;; [unrolled: 1-line block ×4, first 2 shown]
	v_mad_u32 v2, v3, s23, v2
	v_lshrrev_b32_e32 v3, 16, v40
	v_cvt_f32_f16_e32 v15, v15
	v_cmp_eq_u32_e32 vcc_lo, 0, v65
	v_pk_mul_f32 v[8:9], v[4:5], v[8:9] op_sel_hi:[0,1]
	v_pk_mul_f32 v[10:11], v[4:5], v[10:11] op_sel_hi:[0,1]
	v_cvt_f32_f16_e32 v7, v3
	s_and_b32 s2, vcc_lo, s3
	s_delay_alu instid0(VALU_DEP_1) | instskip(SKIP_1) | instid1(VALU_DEP_1)
	v_pk_mul_f32 v[6:7], v[4:5], v[6:7] op_sel_hi:[0,1]
	v_mad_u32 v2, s0, v2, s29
	v_lshl_add_u32 v12, v2, 8, v105
	s_delay_alu instid0(VALU_DEP_1) | instskip(SKIP_1) | instid1(VALU_DEP_1)
	v_lshl_add_u64 v[16:17], v[12:13], 2, s[16:17]
	v_add_nc_u32_e32 v12, 0x80, v12
	v_lshl_add_u64 v[18:19], v[12:13], 2, s[16:17]
	v_pk_mul_f32 v[12:13], v[4:5], v[14:15] op_sel_hi:[0,1]
	s_clause 0x1
	global_store_b128 v[16:17], v[6:9], off
	global_store_b128 v[18:19], v[10:13], off
	s_wait_xcnt 0x0
	s_and_saveexec_b32 s3, s2
	s_cbranch_execz .LBB60_29
; %bb.28:
	v_dual_mov_b32 v4, v102 :: v_dual_mov_b32 v5, v0
	global_store_b64 v2, v[4:5], s[18:19] scale_offset
.LBB60_29:
	s_wait_xcnt 0x0
	s_or_b32 exec_lo, exec_lo, s3
	v_mov_b32_e32 v0, 1.0
	s_and_not1_b32 vcc_lo, exec_lo, s1
	s_cbranch_vccnz .LBB60_31
; %bb.30:
	v_div_scale_f32 v0, null, v1, v1, 1.0
	s_delay_alu instid0(VALU_DEP_1) | instskip(SKIP_1) | instid1(TRANS32_DEP_1)
	v_rcp_f32_e32 v3, v0
	v_nop
	v_fma_f32 v4, -v0, v3, 1.0
	s_delay_alu instid0(VALU_DEP_1) | instskip(SKIP_1) | instid1(VALU_DEP_1)
	v_fmac_f32_e32 v3, v4, v3
	v_div_scale_f32 v4, vcc_lo, 1.0, v1, 1.0
	v_mul_f32_e32 v5, v4, v3
	s_delay_alu instid0(VALU_DEP_1) | instskip(NEXT) | instid1(VALU_DEP_1)
	v_fma_f32 v6, -v0, v5, v4
	v_fmac_f32_e32 v5, v6, v3
	s_delay_alu instid0(VALU_DEP_1) | instskip(NEXT) | instid1(VALU_DEP_1)
	v_fma_f32 v0, -v0, v5, v4
	v_div_fmas_f32 v0, v0, v3, v5
	s_delay_alu instid0(VALU_DEP_1)
	v_div_fixup_f32 v0, v0, v1, 1.0
.LBB60_31:
	v_dual_mov_b32 v9, 0 :: v_dual_add_nc_u32 v2, s0, v2
	v_dual_lshrrev_b32 v3, 16, v36 :: v_dual_lshrrev_b32 v6, 16, v39
	v_dual_lshrrev_b32 v10, 16, v37 :: v_dual_lshrrev_b32 v14, 16, v38
	s_delay_alu instid0(VALU_DEP_3) | instskip(SKIP_1) | instid1(VALU_DEP_4)
	v_lshl_add_u32 v8, v2, 8, v105
	v_cvt_f32_f16_e32 v4, v36
	v_cvt_f32_f16_e32 v5, v3
	;; [unrolled: 1-line block ×4, first 2 shown]
	v_lshl_add_u64 v[12:13], v[8:9], 2, s[16:17]
	v_add_nc_u32_e32 v8, 0x80, v8
	v_cvt_f32_f16_e32 v11, v10
	v_cvt_f32_f16_e32 v10, v37
	;; [unrolled: 1-line block ×4, first 2 shown]
	v_pk_mul_f32 v[4:5], v[0:1], v[4:5] op_sel_hi:[0,1]
	v_pk_mul_f32 v[6:7], v[0:1], v[6:7] op_sel_hi:[0,1]
	v_lshl_add_u64 v[16:17], v[8:9], 2, s[16:17]
	v_pk_mul_f32 v[8:9], v[0:1], v[10:11] op_sel_hi:[0,1]
	v_pk_mul_f32 v[10:11], v[0:1], v[14:15] op_sel_hi:[0,1]
	s_clause 0x1
	global_store_b128 v[12:13], v[4:7], off
	global_store_b128 v[16:17], v[8:11], off
	s_wait_xcnt 0x0
	s_and_saveexec_b32 s0, s2
	s_cbranch_execz .LBB60_33
; %bb.32:
	v_mov_b32_e32 v0, v103
	global_store_b64 v2, v[0:1], s[18:19] scale_offset
.LBB60_33:
	s_sendmsg sendmsg(MSG_DEALLOC_VGPRS)
	s_endpgm
	.section	.rodata,"a",@progbits
	.p2align	6, 0x0
	.amdhsa_kernel _ZL15flash_attn_tileILi256ELi256ELi1ELi8ELb1EEvPKcS1_S1_S1_S1_PKiPfP15HIP_vector_typeIfLj2EEffffjfiS5_IjLj3EEiiiiiiiiiiiliiliiiiil
		.amdhsa_group_segment_fixed_size 21504
		.amdhsa_private_segment_fixed_size 0
		.amdhsa_kernarg_size 464
		.amdhsa_user_sgpr_count 2
		.amdhsa_user_sgpr_dispatch_ptr 0
		.amdhsa_user_sgpr_queue_ptr 0
		.amdhsa_user_sgpr_kernarg_segment_ptr 1
		.amdhsa_user_sgpr_dispatch_id 0
		.amdhsa_user_sgpr_kernarg_preload_length 0
		.amdhsa_user_sgpr_kernarg_preload_offset 0
		.amdhsa_user_sgpr_private_segment_size 0
		.amdhsa_wavefront_size32 1
		.amdhsa_uses_dynamic_stack 0
		.amdhsa_enable_private_segment 0
		.amdhsa_system_sgpr_workgroup_id_x 1
		.amdhsa_system_sgpr_workgroup_id_y 1
		.amdhsa_system_sgpr_workgroup_id_z 1
		.amdhsa_system_sgpr_workgroup_info 0
		.amdhsa_system_vgpr_workitem_id 1
		.amdhsa_next_free_vgpr 148
		.amdhsa_next_free_sgpr 42
		.amdhsa_named_barrier_count 0
		.amdhsa_reserve_vcc 1
		.amdhsa_float_round_mode_32 0
		.amdhsa_float_round_mode_16_64 0
		.amdhsa_float_denorm_mode_32 3
		.amdhsa_float_denorm_mode_16_64 3
		.amdhsa_fp16_overflow 0
		.amdhsa_memory_ordered 1
		.amdhsa_forward_progress 1
		.amdhsa_inst_pref_size 82
		.amdhsa_round_robin_scheduling 0
		.amdhsa_exception_fp_ieee_invalid_op 0
		.amdhsa_exception_fp_denorm_src 0
		.amdhsa_exception_fp_ieee_div_zero 0
		.amdhsa_exception_fp_ieee_overflow 0
		.amdhsa_exception_fp_ieee_underflow 0
		.amdhsa_exception_fp_ieee_inexact 0
		.amdhsa_exception_int_div_zero 0
	.end_amdhsa_kernel
	.section	.text._ZL15flash_attn_tileILi256ELi256ELi1ELi8ELb1EEvPKcS1_S1_S1_S1_PKiPfP15HIP_vector_typeIfLj2EEffffjfiS5_IjLj3EEiiiiiiiiiiiliiliiiiil,"axG",@progbits,_ZL15flash_attn_tileILi256ELi256ELi1ELi8ELb1EEvPKcS1_S1_S1_S1_PKiPfP15HIP_vector_typeIfLj2EEffffjfiS5_IjLj3EEiiiiiiiiiiiliiliiiiil,comdat
.Lfunc_end60:
	.size	_ZL15flash_attn_tileILi256ELi256ELi1ELi8ELb1EEvPKcS1_S1_S1_S1_PKiPfP15HIP_vector_typeIfLj2EEffffjfiS5_IjLj3EEiiiiiiiiiiiliiliiiiil, .Lfunc_end60-_ZL15flash_attn_tileILi256ELi256ELi1ELi8ELb1EEvPKcS1_S1_S1_S1_PKiPfP15HIP_vector_typeIfLj2EEffffjfiS5_IjLj3EEiiiiiiiiiiiliiliiiiil
                                        ; -- End function
	.set _ZL15flash_attn_tileILi256ELi256ELi1ELi8ELb1EEvPKcS1_S1_S1_S1_PKiPfP15HIP_vector_typeIfLj2EEffffjfiS5_IjLj3EEiiiiiiiiiiiliiliiiiil.num_vgpr, 148
	.set _ZL15flash_attn_tileILi256ELi256ELi1ELi8ELb1EEvPKcS1_S1_S1_S1_PKiPfP15HIP_vector_typeIfLj2EEffffjfiS5_IjLj3EEiiiiiiiiiiiliiliiiiil.num_agpr, 0
	.set _ZL15flash_attn_tileILi256ELi256ELi1ELi8ELb1EEvPKcS1_S1_S1_S1_PKiPfP15HIP_vector_typeIfLj2EEffffjfiS5_IjLj3EEiiiiiiiiiiiliiliiiiil.numbered_sgpr, 42
	.set _ZL15flash_attn_tileILi256ELi256ELi1ELi8ELb1EEvPKcS1_S1_S1_S1_PKiPfP15HIP_vector_typeIfLj2EEffffjfiS5_IjLj3EEiiiiiiiiiiiliiliiiiil.num_named_barrier, 0
	.set _ZL15flash_attn_tileILi256ELi256ELi1ELi8ELb1EEvPKcS1_S1_S1_S1_PKiPfP15HIP_vector_typeIfLj2EEffffjfiS5_IjLj3EEiiiiiiiiiiiliiliiiiil.private_seg_size, 0
	.set _ZL15flash_attn_tileILi256ELi256ELi1ELi8ELb1EEvPKcS1_S1_S1_S1_PKiPfP15HIP_vector_typeIfLj2EEffffjfiS5_IjLj3EEiiiiiiiiiiiliiliiiiil.uses_vcc, 1
	.set _ZL15flash_attn_tileILi256ELi256ELi1ELi8ELb1EEvPKcS1_S1_S1_S1_PKiPfP15HIP_vector_typeIfLj2EEffffjfiS5_IjLj3EEiiiiiiiiiiiliiliiiiil.uses_flat_scratch, 0
	.set _ZL15flash_attn_tileILi256ELi256ELi1ELi8ELb1EEvPKcS1_S1_S1_S1_PKiPfP15HIP_vector_typeIfLj2EEffffjfiS5_IjLj3EEiiiiiiiiiiiliiliiiiil.has_dyn_sized_stack, 0
	.set _ZL15flash_attn_tileILi256ELi256ELi1ELi8ELb1EEvPKcS1_S1_S1_S1_PKiPfP15HIP_vector_typeIfLj2EEffffjfiS5_IjLj3EEiiiiiiiiiiiliiliiiiil.has_recursion, 0
	.set _ZL15flash_attn_tileILi256ELi256ELi1ELi8ELb1EEvPKcS1_S1_S1_S1_PKiPfP15HIP_vector_typeIfLj2EEffffjfiS5_IjLj3EEiiiiiiiiiiiliiliiiiil.has_indirect_call, 0
	.section	.AMDGPU.csdata,"",@progbits
; Kernel info:
; codeLenInByte = 10428
; TotalNumSgprs: 44
; NumVgprs: 148
; ScratchSize: 0
; MemoryBound: 0
; FloatMode: 240
; IeeeMode: 1
; LDSByteSize: 21504 bytes/workgroup (compile time only)
; SGPRBlocks: 0
; VGPRBlocks: 9
; NumSGPRsForWavesPerEU: 44
; NumVGPRsForWavesPerEU: 148
; NamedBarCnt: 0
; Occupancy: 6
; WaveLimiterHint : 1
; COMPUTE_PGM_RSRC2:SCRATCH_EN: 0
; COMPUTE_PGM_RSRC2:USER_SGPR: 2
; COMPUTE_PGM_RSRC2:TRAP_HANDLER: 0
; COMPUTE_PGM_RSRC2:TGID_X_EN: 1
; COMPUTE_PGM_RSRC2:TGID_Y_EN: 1
; COMPUTE_PGM_RSRC2:TGID_Z_EN: 1
; COMPUTE_PGM_RSRC2:TIDIG_COMP_CNT: 1
	.section	.text._ZL15flash_attn_tileILi256ELi256ELi8ELi4ELb1EEvPKcS1_S1_S1_S1_PKiPfP15HIP_vector_typeIfLj2EEffffjfiS5_IjLj3EEiiiiiiiiiiiliiliiiiil,"axG",@progbits,_ZL15flash_attn_tileILi256ELi256ELi8ELi4ELb1EEvPKcS1_S1_S1_S1_PKiPfP15HIP_vector_typeIfLj2EEffffjfiS5_IjLj3EEiiiiiiiiiiiliiliiiiil,comdat
	.globl	_ZL15flash_attn_tileILi256ELi256ELi8ELi4ELb1EEvPKcS1_S1_S1_S1_PKiPfP15HIP_vector_typeIfLj2EEffffjfiS5_IjLj3EEiiiiiiiiiiiliiliiiiil ; -- Begin function _ZL15flash_attn_tileILi256ELi256ELi8ELi4ELb1EEvPKcS1_S1_S1_S1_PKiPfP15HIP_vector_typeIfLj2EEffffjfiS5_IjLj3EEiiiiiiiiiiiliiliiiiil
	.p2align	8
	.type	_ZL15flash_attn_tileILi256ELi256ELi8ELi4ELb1EEvPKcS1_S1_S1_S1_PKiPfP15HIP_vector_typeIfLj2EEffffjfiS5_IjLj3EEiiiiiiiiiiiliiliiiiil,@function
_ZL15flash_attn_tileILi256ELi256ELi8ELi4ELb1EEvPKcS1_S1_S1_S1_PKiPfP15HIP_vector_typeIfLj2EEffffjfiS5_IjLj3EEiiiiiiiiiiiliiliiiiil: ; @_ZL15flash_attn_tileILi256ELi256ELi8ELi4ELb1EEvPKcS1_S1_S1_S1_PKiPfP15HIP_vector_typeIfLj2EEffffjfiS5_IjLj3EEiiiiiiiiiiiliiliiiiil
; %bb.0:
	s_clause 0x1
	s_load_b128 s[20:23], s[0:1], 0x5c
	s_load_b64 s[30:31], s[0:1], 0x80
	s_bfe_u32 s5, ttmp6, 0x40014
	s_lshr_b32 s4, ttmp7, 16
	s_add_co_i32 s5, s5, 1
	s_bfe_u32 s6, ttmp6, 0x40008
	s_mul_i32 s5, s4, s5
	s_getreg_b32 s24, hwreg(HW_REG_IB_STS2, 6, 4)
	s_add_co_i32 s6, s6, s5
	s_load_b64 s[38:39], s[0:1], 0xb8
	s_mov_b32 s37, 0
	s_mov_b64 s[34:35], 0
	s_wait_kmcnt 0x0
	s_ashr_i32 s2, s23, 31
	s_delay_alu instid0(SALU_CYCLE_1) | instskip(NEXT) | instid1(SALU_CYCLE_1)
	s_lshr_b32 s2, s2, 30
	s_add_co_i32 s2, s23, s2
	s_delay_alu instid0(SALU_CYCLE_1) | instskip(NEXT) | instid1(SALU_CYCLE_1)
	s_ashr_i32 s2, s2, 2
	s_cvt_f32_u32 s3, s2
	s_sub_co_i32 s7, 0, s2
	s_delay_alu instid0(SALU_CYCLE_2) | instskip(SKIP_1) | instid1(TRANS32_DEP_1)
	v_rcp_iflag_f32_e32 v1, s3
	v_nop
	v_readfirstlane_b32 s3, v1
	s_mul_f32 s3, s3, 0x4f7ffffe
	s_delay_alu instid0(SALU_CYCLE_3) | instskip(NEXT) | instid1(SALU_CYCLE_3)
	s_cvt_u32_f32 s3, s3
	s_mul_i32 s7, s7, s3
	s_delay_alu instid0(SALU_CYCLE_1) | instskip(NEXT) | instid1(SALU_CYCLE_1)
	s_mul_hi_u32 s7, s3, s7
	s_add_co_i32 s3, s3, s7
	s_cmp_eq_u32 s24, 0
	s_cselect_b32 s4, s4, s6
	s_delay_alu instid0(SALU_CYCLE_1) | instskip(NEXT) | instid1(SALU_CYCLE_1)
	s_mul_hi_u32 s3, s4, s3
	s_mul_i32 s5, s3, s2
	s_add_co_i32 s6, s3, 1
	s_sub_co_i32 s5, s4, s5
	s_delay_alu instid0(SALU_CYCLE_1)
	s_sub_co_i32 s7, s5, s2
	s_cmp_ge_u32 s5, s2
	s_cselect_b32 s3, s6, s3
	s_cselect_b32 s5, s7, s5
	s_add_co_i32 s6, s3, 1
	s_cmp_ge_u32 s5, s2
	s_cselect_b32 s2, s6, s3
	s_abs_i32 s3, s31
	s_lshl_b32 s4, s4, 2
	s_cvt_f32_u32 s5, s3
	s_sub_co_i32 s6, 0, s3
	s_mul_i32 s7, s2, s23
	s_abs_i32 s8, s23
	v_rcp_iflag_f32_e32 v1, s5
	s_sub_co_i32 s28, s4, s7
	v_nop
	s_delay_alu instid0(TRANS32_DEP_1) | instskip(SKIP_1) | instid1(SALU_CYCLE_3)
	v_readfirstlane_b32 s5, v1
	s_mul_f32 s5, s5, 0x4f7ffffe
	s_cvt_u32_f32 s5, s5
	s_delay_alu instid0(SALU_CYCLE_3) | instskip(NEXT) | instid1(SALU_CYCLE_1)
	s_mul_i32 s6, s6, s5
	s_mul_hi_u32 s6, s5, s6
	s_delay_alu instid0(SALU_CYCLE_1) | instskip(NEXT) | instid1(SALU_CYCLE_1)
	s_add_co_i32 s5, s5, s6
	s_mul_hi_u32 s4, s8, s5
	s_xor_b32 s5, s23, s31
	s_mul_i32 s6, s4, s3
	s_ashr_i32 s25, s5, 31
	s_sub_co_i32 s5, s8, s6
	s_add_co_i32 s6, s4, 1
	s_sub_co_i32 s7, s5, s3
	s_cmp_ge_u32 s5, s3
	s_cselect_b32 s4, s6, s4
	s_cselect_b32 s5, s7, s5
	s_add_co_i32 s6, s4, 1
	s_cmp_ge_u32 s5, s3
	s_cselect_b32 s3, s6, s4
	s_load_b512 s[4:19], s[0:1], 0x0
	s_xor_b32 s3, s3, s25
	s_delay_alu instid0(SALU_CYCLE_1) | instskip(NEXT) | instid1(SALU_CYCLE_1)
	s_sub_co_i32 s3, s3, s25
	s_abs_i32 s29, s3
	s_delay_alu instid0(SALU_CYCLE_1) | instskip(NEXT) | instid1(SALU_CYCLE_3)
	s_cvt_f32_u32 s25, s29
	v_rcp_iflag_f32_e32 v1, s25
	v_nop
	s_delay_alu instid0(TRANS32_DEP_1)
	v_readfirstlane_b32 s25, v1
	s_wait_kmcnt 0x0
	s_cmp_eq_u64 s[10:11], 0
	s_cbranch_scc1 .LBB61_2
; %bb.1:
	s_abs_i32 s31, s38
	s_abs_i32 s33, s2
	s_cvt_f32_u32 s26, s31
	s_sub_co_i32 s27, 0, s31
	s_delay_alu instid0(SALU_CYCLE_2) | instskip(SKIP_1) | instid1(TRANS32_DEP_1)
	v_rcp_iflag_f32_e32 v1, s26
	v_nop
	v_readfirstlane_b32 s26, v1
	s_mul_f32 s26, s26, 0x4f7ffffe
	s_delay_alu instid0(SALU_CYCLE_3) | instskip(NEXT) | instid1(SALU_CYCLE_3)
	s_cvt_u32_f32 s26, s26
	s_mul_i32 s27, s27, s26
	s_delay_alu instid0(SALU_CYCLE_1) | instskip(NEXT) | instid1(SALU_CYCLE_1)
	s_mul_hi_u32 s27, s26, s27
	s_add_co_i32 s26, s26, s27
	s_delay_alu instid0(SALU_CYCLE_1) | instskip(SKIP_2) | instid1(SALU_CYCLE_1)
	s_mul_hi_u32 s34, s33, s26
	s_load_b64 s[26:27], s[0:1], 0xc8
	s_mul_i32 s34, s34, s31
	s_sub_co_i32 s33, s33, s34
	s_ashr_i32 s34, s2, 31
	s_sub_co_i32 s35, s33, s31
	s_cmp_ge_u32 s33, s31
	s_cselect_b32 s33, s35, s33
	s_delay_alu instid0(SALU_CYCLE_1) | instskip(SKIP_2) | instid1(SALU_CYCLE_1)
	s_sub_co_i32 s35, s33, s31
	s_cmp_ge_u32 s33, s31
	s_cselect_b32 s31, s35, s33
	s_xor_b32 s31, s31, s34
	s_delay_alu instid0(SALU_CYCLE_1) | instskip(NEXT) | instid1(SALU_CYCLE_1)
	s_sub_co_i32 s34, s31, s34
	s_ashr_i32 s35, s34, 31
	s_wait_kmcnt 0x0
	s_mul_u64 s[26:27], s[26:27], s[34:35]
	s_delay_alu instid0(SALU_CYCLE_1)
	s_add_nc_u64 s[34:35], s[10:11], s[26:27]
.LBB61_2:
	s_bfe_u32 s10, ttmp6, 0x4000c
	s_and_b32 s11, ttmp6, 15
	s_add_co_i32 s10, s10, 1
	v_bfe_u32 v1, v0, 10, 10
	s_mul_i32 s10, ttmp9, s10
	s_load_b96 s[40:42], s[0:1], 0x70
	s_add_co_i32 s11, s11, s10
	s_cmp_eq_u32 s24, 0
	v_and_b32_e32 v70, 0x3ff, v0
	s_cselect_b32 s26, ttmp9, s11
	v_lshl_add_u32 v71, v1, 11, 0x4400
	v_lshl_add_u32 v69, s26, 3, v1
	s_delay_alu instid0(VALU_DEP_3) | instskip(SKIP_1) | instid1(VALU_DEP_3)
	v_dual_mov_b32 v3, 0 :: v_dual_lshlrev_b32 v6, 4, v70
	v_lshlrev_b32_e32 v72, 3, v70
	v_mul_hi_u32 v2, s20, v69
	s_delay_alu instid0(VALU_DEP_3) | instskip(NEXT) | instid1(VALU_DEP_3)
	v_mov_b32_e32 v7, v3
	v_add_nc_u32_e32 v0, v71, v72
	s_wait_kmcnt 0x0
	s_mul_i32 s20, s28, s41
	s_ashr_i32 s11, s41, 31
	s_delay_alu instid0(VALU_DEP_3) | instskip(SKIP_2) | instid1(SALU_CYCLE_1)
	v_add_nc_u32_e32 v2, v69, v2
	s_mov_b32 s10, s41
	s_ashr_i32 s41, s40, 31
	s_lshr_b64 s[40:41], s[40:41], 2
	s_delay_alu instid0(VALU_DEP_1) | instskip(SKIP_1) | instid1(VALU_DEP_1)
	v_lshrrev_b32_e32 v2, s21, v2
	s_ashr_i32 s21, s20, 31
	v_mul_lo_u32 v2, v2, s22
	s_delay_alu instid0(VALU_DEP_1) | instskip(NEXT) | instid1(VALU_DEP_1)
	v_sub_nc_u32_e32 v2, v69, v2
	v_mul_u64_e32 v[4:5], s[40:41], v[2:3]
	s_mul_i32 s40, s2, s42
	s_delay_alu instid0(SALU_CYCLE_1) | instskip(NEXT) | instid1(SALU_CYCLE_1)
	s_ashr_i32 s41, s40, 31
	s_add_nc_u64 s[4:5], s[4:5], s[40:41]
	s_delay_alu instid0(SALU_CYCLE_1) | instskip(SKIP_1) | instid1(VALU_DEP_1)
	s_add_nc_u64 s[4:5], s[4:5], s[20:21]
	s_and_b64 s[20:21], s[10:11], -4
	v_lshl_add_u64 v[4:5], v[4:5], 2, s[4:5]
	s_lshr_b64 s[4:5], s[10:11], 2
	s_cmp_eq_u64 s[14:15], 0
	s_delay_alu instid0(VALU_DEP_1)
	v_add_nc_u64_e32 v[28:29], v[4:5], v[6:7]
	s_clause 0x1
	global_load_b128 v[4:7], v[28:29], off
	global_load_b128 v[8:11], v[28:29], off offset:512
	v_mad_nc_u64_u32 v[36:37], s4, 12, v[28:29]
	v_add_nc_u64_e32 v[32:33], s[20:21], v[28:29]
	v_lshl_add_u64 v[30:31], s[4:5], 3, v[28:29]
	s_load_b32 s4, s[0:1], 0x40
	s_clause 0x3
	global_load_b128 v[12:15], v[30:31], off
	global_load_b128 v[16:19], v[30:31], off offset:512
	global_load_b128 v[20:23], v[32:33], off
	global_load_b128 v[24:27], v[32:33], off offset:512
	v_mad_u32 v37, s11, 12, v37
	s_clause 0x1
	global_load_b128 v[28:31], v[36:37], off
	global_load_b128 v[32:35], v[36:37], off offset:512
	s_wait_loadcnt 0x7
	s_wait_kmcnt 0x0
	v_fma_mixlo_f16 v3, s4, v4, 0
	v_fma_mixlo_f16 v4, s4, v5, 0
	;; [unrolled: 1-line block ×4, first 2 shown]
	s_wait_loadcnt 0x6
	v_fma_mixlo_f16 v7, s4, v8, 0
	v_fma_mixlo_f16 v8, s4, v9, 0
	;; [unrolled: 1-line block ×4, first 2 shown]
	v_dual_lshlrev_b32 v4, 16, v4 :: v_dual_lshlrev_b32 v6, 16, v6
	v_and_b32_e32 v3, 0xffff, v3
	v_and_b32_e32 v5, 0xffff, v5
	s_delay_alu instid0(VALU_DEP_4)
	v_dual_lshlrev_b32 v8, 16, v8 :: v_dual_lshlrev_b32 v10, 16, v10
	v_and_b32_e32 v7, 0xffff, v7
	v_and_b32_e32 v9, 0xffff, v9
	s_wait_loadcnt 0x5
	v_fma_mixlo_f16 v11, s4, v12, 0
	v_fma_mixlo_f16 v12, s4, v13, 0
	v_fma_mixlo_f16 v13, s4, v14, 0
	v_fma_mixlo_f16 v14, s4, v15, 0
	s_wait_loadcnt 0x4
	v_fma_mixlo_f16 v15, s4, v16, 0
	v_fma_mixlo_f16 v16, s4, v17, 0
	v_fma_mixlo_f16 v17, s4, v18, 0
	v_fma_mixlo_f16 v18, s4, v19, 0
	;; [unrolled: 5-line block ×4, first 2 shown]
	v_or_b32_e32 v3, v4, v3
	v_or3_b32 v5, v6, v5, 0
	v_or_b32_e32 v6, v8, v7
	v_or3_b32 v7, v10, v9, 0
	v_lshlrev_b32_e32 v8, 16, v12
	v_and_b32_e32 v9, 0xffff, v11
	v_lshlrev_b32_e32 v10, 16, v14
	v_and_b32_e32 v11, 0xffff, v13
	v_dual_lshlrev_b32 v12, 16, v16 :: v_dual_lshlrev_b32 v14, 16, v18
	v_and_b32_e32 v13, 0xffff, v15
	v_and_b32_e32 v15, 0xffff, v17
	v_dual_lshlrev_b32 v16, 16, v20 :: v_dual_lshlrev_b32 v18, 16, v22
	v_and_b32_e32 v17, 0xffff, v19
	;; [unrolled: 3-line block ×3, first 2 shown]
	v_and_b32_e32 v23, 0xffff, v25
	v_or3_b32 v4, 0, 0, v3
	v_or_b32_e32 v3, v8, v9
	v_or3_b32 v9, v10, v11, 0
	v_or_b32_e32 v10, v12, v13
	v_or3_b32 v11, v14, v15, 0
	v_or3_b32 v15, v22, v23, 0
	s_wait_loadcnt 0x0
	v_fma_mixlo_f16 v22, s4, v35, 0
	v_or_b32_e32 v14, v20, v21
	v_fma_mixlo_f16 v20, s4, v33, 0
	v_or_b32_e32 v12, v16, v17
	v_fma_mixlo_f16 v16, s4, v29, 0
	v_or3_b32 v13, v18, v19, 0
	v_fma_mixlo_f16 v19, s4, v32, 0
	v_fma_mixlo_f16 v17, s4, v30, 0
	;; [unrolled: 1-line block ×3, first 2 shown]
	v_lshlrev_b32_e32 v16, 16, v16
	v_or3_b32 v8, 0, 0, v3
	v_fma_mixlo_f16 v3, s4, v28, 0
	v_fma_mixlo_f16 v21, s4, v34, 0
	v_lshlrev_b32_e32 v20, 16, v20
	v_and_b32_e32 v19, 0xffff, v19
	v_lshlrev_b32_e32 v18, 16, v18
	v_and_b32_e32 v3, 0xffff, v3
	v_and_b32_e32 v17, 0xffff, v17
	v_lshlrev_b32_e32 v22, 16, v22
	v_and_b32_e32 v21, 0xffff, v21
	v_or_b32_e32 v20, v20, v19
	v_or_b32_e32 v3, v16, v3
	v_or3_b32 v6, 0, 0, v6
	v_or3_b32 v10, 0, 0, v10
	v_or3_b32 v12, 0, 0, v12
	v_or3_b32 v14, 0, 0, v14
	v_or3_b32 v17, v18, v17, 0
	v_or3_b32 v19, v22, v21, 0
	v_or3_b32 v16, 0, 0, v3
	v_or3_b32 v18, 0, 0, v20
	ds_store_2addr_b64 v0, v[4:5], v[6:7] offset1:32
	ds_store_2addr_b64 v0, v[8:9], v[10:11] offset0:128 offset1:160
	ds_store_2addr_b64 v0, v[12:13], v[14:15] offset0:64 offset1:96
	;; [unrolled: 1-line block ×3, first 2 shown]
	s_wait_dscnt 0x0
	s_barrier_signal -1
	s_barrier_wait -1
	s_cbranch_scc1 .LBB61_4
; %bb.3:
	s_load_b32 s4, s[0:1], 0xd0
	s_wait_kmcnt 0x0
	s_mul_i32 s4, s4, s2
	s_delay_alu instid0(SALU_CYCLE_1)
	s_add_co_i32 s4, s4, s26
	s_load_b32 s30, s[14:15], s4 offset:0x0 scale_offset
.LBB61_4:
	s_wait_xcnt 0x0
	s_bfe_u32 s4, ttmp6, 0x40010
	s_and_b32 s5, ttmp7, 0xffff
	s_add_co_i32 s4, s4, 1
	s_bfe_u32 s10, ttmp6, 0x40004
	s_mul_i32 s4, s5, s4
	v_lshlrev_b32_e32 v68, 2, v70
	s_add_co_i32 s10, s10, s4
	s_cmp_eq_u32 s24, 0
	v_mbcnt_lo_u32_b32 v73, -1, 0
	s_cselect_b32 s31, s5, s10
	s_mov_b32 s5, 0
	s_lshl_b32 s4, s31, 6
	s_wait_kmcnt 0x0
	s_cmp_lt_i32 s4, s30
	s_cbranch_scc1 .LBB61_7
; %bb.5:
	v_mbcnt_lo_u32_b32 v4, -1, 0
	s_delay_alu instid0(VALU_DEP_1)
	v_dual_mov_b32 v74, 32 :: v_dual_bitop2_b32 v94, 16, v4 bitop3:0x14
	v_xor_b32_e32 v93, 8, v4
	v_xor_b32_e32 v92, 4, v4
	;; [unrolled: 1-line block ×4, first 2 shown]
	s_and_not1_b32 vcc_lo, exec_lo, s5
	s_cbranch_vccz .LBB61_8
; %bb.6:
	v_dual_mov_b32 v29, 0 :: v_dual_mov_b32 v33, 0
	v_dual_mov_b32 v3, 0xfeffffff :: v_dual_mov_b32 v2, 0xfeffffff
	;; [unrolled: 1-line block ×3, first 2 shown]
	s_delay_alu instid0(VALU_DEP_3)
	v_dual_mov_b32 v32, v33 :: v_dual_mov_b32 v35, v33
	v_dual_mov_b32 v34, v33 :: v_dual_mov_b32 v89, 0
	;; [unrolled: 1-line block ×9, first 2 shown]
	s_branch .LBB61_44
.LBB61_7:
                                        ; implicit-def: $vgpr4
                                        ; implicit-def: $vgpr74
                                        ; implicit-def: $vgpr94
                                        ; implicit-def: $vgpr93
                                        ; implicit-def: $vgpr92
                                        ; implicit-def: $vgpr91
                                        ; implicit-def: $vgpr90
.LBB61_8:
	s_mul_f32 s5, s25, 0x4f7ffffe
	s_clause 0x1
	s_load_b128 s[24:27], s[0:1], 0x98
	s_load_b64 s[14:15], s[0:1], 0x8c
	s_sub_co_i32 s10, 0, s29
	s_load_b64 s[20:21], s[0:1], 0xa8
	s_cvt_u32_f32 s5, s5
	s_ashr_i32 s38, s3, 31
	s_abs_i32 s36, s28
	s_mov_b32 s11, s37
	s_mul_i32 s10, s10, s5
	s_ashr_i32 s33, s28, 31
	s_mul_hi_u32 s3, s5, s10
	s_ashr_i32 s39, s39, 1
	s_add_co_i32 s10, s5, s3
	s_ashr_i32 s3, s2, 31
	s_mul_u64 s[10:11], s[36:37], s[10:11]
	s_xor_b32 s33, s33, s38
	s_mul_i32 s5, s11, s29
	v_mad_u32 v81, v2, s39, v70
	s_sub_co_i32 s5, s36, s5
	v_mul_u32_u24_e32 v79, 0x110, v70
	s_wait_kmcnt 0x0
	s_ashr_i32 s10, s26, 2
	s_ashr_i32 s14, s14, 2
	s_add_co_i32 s26, s11, 1
	s_sub_co_i32 s36, s5, s29
	s_cmp_ge_u32 s5, s29
	s_mul_u64 s[24:25], s[24:25], s[2:3]
	s_cselect_b32 s11, s26, s11
	s_cselect_b32 s5, s36, s5
	s_add_co_i32 s26, s11, 1
	s_cmp_ge_u32 s5, s29
	s_add_nc_u64 s[6:7], s[6:7], s[24:25]
	s_cselect_b32 s5, s26, s11
	s_load_b32 s24, s[0:1], 0x54
	s_mul_u64 s[20:21], s[20:21], s[2:3]
	s_lshl_b32 s3, s14, 4
	v_dual_mov_b32 v41, 0 :: v_dual_lshrrev_b32 v0, 4, v70
	s_xor_b32 s5, s5, s33
	v_mov_b32_e32 v27, 0
	s_sub_co_i32 s5, s5, s33
	s_delay_alu instid0(VALU_DEP_2)
	v_lshl_add_u32 v3, v1, 1, v0
	v_and_b32_e32 v0, 60, v68
	s_mul_i32 s36, s5, s15
	s_mul_i32 s26, s5, s27
	v_dual_mov_b32 v26, 0 :: v_dual_mov_b32 v20, 0
	v_mul_lo_u32 v36, s14, v3
	v_dual_lshlrev_b32 v46, 2, v0 :: v_dual_mov_b32 v30, 0
	v_dual_mov_b32 v31, 0 :: v_dual_mov_b32 v86, 0
	v_dual_mov_b32 v24, 0 :: v_dual_mov_b32 v87, 0
	;; [unrolled: 1-line block ×4, first 2 shown]
	v_dual_mov_b32 v57, 0xfeffffff :: v_dual_add_nc_u32 v38, s3, v36
	v_lshlrev_b32_e32 v4, 2, v0
	v_dual_ashrrev_i32 v37, 31, v36 :: v_dual_mov_b32 v47, v41
	s_delay_alu instid0(VALU_DEP_3) | instskip(NEXT) | instid1(VALU_DEP_3)
	v_dual_mov_b32 v74, 32 :: v_dual_add_nc_u32 v42, s3, v38
	v_mad_u32_u24 v75, 0x110, v3, v4
	v_mul_lo_u32 v4, s10, v1
	v_dual_ashrrev_i32 v39, 31, v38 :: v_dual_mov_b32 v23, 0
	s_delay_alu instid0(VALU_DEP_4)
	v_dual_ashrrev_i32 v43, 31, v42 :: v_dual_add_nc_u32 v44, s3, v42
	s_lshl_b32 s3, s10, 3
	v_lshlrev_b32_e32 v1, 9, v1
	v_add_nc_u32_e32 v76, 0x1100, v75
	v_add_nc_u32_e32 v77, 0x2200, v75
	;; [unrolled: 1-line block ×3, first 2 shown]
	v_dual_mov_b32 v22, 0 :: v_dual_add_nc_u32 v6, s3, v4
	v_ashrrev_i32_e32 v45, 31, v44
	v_ashrrev_i32_e32 v5, 31, v4
	v_lshl_add_u32 v80, v68, 2, v1
	v_mov_b32_e32 v56, 0xfeffffff
	v_dual_add_nc_u32 v8, s3, v6 :: v_dual_ashrrev_i32 v7, 31, v6
	s_delay_alu instid0(VALU_DEP_4) | instskip(SKIP_1) | instid1(VALU_DEP_3)
	v_lshlrev_b64_e32 v[48:49], 2, v[4:5]
	v_dual_mov_b32 v21, 0 :: v_dual_add_nc_u32 v82, 0x8400, v1
	v_dual_add_nc_u32 v2, s3, v8 :: v_dual_ashrrev_i32 v9, 31, v8
	s_delay_alu instid0(VALU_DEP_4) | instskip(SKIP_2) | instid1(VALU_DEP_4)
	v_lshlrev_b64_e32 v[50:51], 2, v[6:7]
	v_add_nc_u32_e32 v83, 0x1000, v80
	v_dual_mov_b32 v25, 0 :: v_dual_add_nc_u32 v84, 0x2000, v80
	v_ashrrev_i32_e32 v3, 31, v2
	v_lshlrev_b64_e32 v[52:53], 2, v[8:9]
	v_dual_mov_b32 v28, 0 :: v_dual_add_nc_u32 v85, 0x3000, v80
	v_dual_mov_b32 v59, 0xfeffffff :: v_dual_mov_b32 v34, v41
	s_delay_alu instid0(VALU_DEP_4)
	v_lshlrev_b64_e32 v[54:55], 2, v[2:3]
	v_dual_mov_b32 v35, v41 :: v_dual_mov_b32 v32, v41
	v_mov_b32_e32 v33, v41
	s_ashr_i32 s37, s36, 31
	s_add_nc_u64 s[8:9], s[8:9], s[20:21]
	s_ashr_i32 s27, s26, 31
	s_add_nc_u64 s[6:7], s[6:7], s[36:37]
	s_add_nc_u64 s[8:9], s[8:9], s[26:27]
	s_ashr_i32 s15, s14, 31
	s_ashr_i32 s11, s10, 31
	s_add_nc_u64 s[20:21], s[0:1], 0xd0
	s_mov_b32 s3, 0xbbbac73d
.LBB61_9:                               ; =>This Inner Loop Header: Depth=1
	s_ashr_i32 s5, s4, 31
	v_mov_b32_e32 v104, 0
	s_mul_u64 s[26:27], s[4:5], s[14:15]
	v_mov_b32_e32 v105, 0
	s_lshl_b64 s[26:27], s[26:27], 2
	s_delay_alu instid0(SALU_CYCLE_1) | instskip(NEXT) | instid1(SALU_CYCLE_1)
	s_add_nc_u64 s[26:27], s[6:7], s[26:27]
	v_lshl_add_u64 v[0:1], v[36:37], 2, s[26:27]
	v_lshl_add_u64 v[2:3], v[38:39], 2, s[26:27]
	;; [unrolled: 1-line block ×4, first 2 shown]
	s_delay_alu instid0(VALU_DEP_4) | instskip(NEXT) | instid1(VALU_DEP_4)
	v_add_nc_u64_e32 v[0:1], v[0:1], v[46:47]
	v_add_nc_u64_e32 v[2:3], v[2:3], v[46:47]
	s_delay_alu instid0(VALU_DEP_4) | instskip(NEXT) | instid1(VALU_DEP_4)
	v_add_nc_u64_e32 v[4:5], v[4:5], v[46:47]
	v_add_nc_u64_e32 v[6:7], v[6:7], v[46:47]
	s_clause 0x3
	global_load_b128 v[8:11], v[0:1], off
	global_load_b128 v[12:15], v[2:3], off
	global_load_b128 v[16:19], v[4:5], off
	global_load_b128 v[60:63], v[6:7], off
	s_wait_loadcnt 0x3
	ds_store_b128 v75, v[8:11]
	s_wait_loadcnt 0x2
	ds_store_b128 v76, v[12:15]
	;; [unrolled: 2-line block ×4, first 2 shown]
	s_wait_dscnt 0x0
	s_barrier_signal -1
	s_barrier_wait -1
	ds_load_b128 v[14:17], v79
	ds_load_b128 v[60:63], v71
	ds_load_b128 v[64:67], v71 offset:512
	ds_load_b128 v[90:93], v71 offset:1024
	v_dual_mov_b32 v12, 0 :: v_dual_mov_b32 v10, 0
	ds_load_b128 v[94:97], v71 offset:1536
	ds_load_b128 v[98:101], v79 offset:8704
	v_dual_mov_b32 v8, 0 :: v_dual_mov_b32 v13, 0
	v_dual_mov_b32 v11, 0 :: v_dual_mov_b32 v9, 0
	s_wait_dscnt 0x4
	;;#ASMSTART
	v_dot2_f32_f16 v12, v14, v60, v12
	;;#ASMEND
	;;#ASMSTART
	v_dot2_f32_f16 v12, v15, v61, v12
	;;#ASMEND
	;;#ASMSTART
	v_dot2_f32_f16 v12, v16, v62, v12
	;;#ASMEND
	;;#ASMSTART
	v_dot2_f32_f16 v12, v17, v63, v12
	;;#ASMEND
	s_wait_dscnt 0x3
	;;#ASMSTART
	v_dot2_f32_f16 v10, v14, v64, v10
	;;#ASMEND
	;;#ASMSTART
	v_dot2_f32_f16 v10, v15, v65, v10
	;;#ASMEND
	;;#ASMSTART
	v_dot2_f32_f16 v10, v16, v66, v10
	;;#ASMEND
	;;#ASMSTART
	v_dot2_f32_f16 v10, v17, v67, v10
	;;#ASMEND
	;; [unrolled: 13-line block ×5, first 2 shown]
	;;#ASMSTART
	v_dot2_f32_f16 v11, v98, v64, v11
	;;#ASMEND
	;;#ASMSTART
	v_dot2_f32_f16 v11, v99, v65, v11
	;;#ASMEND
	;; [unrolled: 3-line block ×12, first 2 shown]
	ds_load_b128 v[14:17], v79 offset:16
	ds_load_b128 v[60:63], v71 offset:16
	;; [unrolled: 1-line block ×6, first 2 shown]
	s_wait_dscnt 0x4
	;;#ASMSTART
	v_dot2_f32_f16 v12, v14, v60, v12
	;;#ASMEND
	;;#ASMSTART
	v_dot2_f32_f16 v12, v15, v61, v12
	;;#ASMEND
	;;#ASMSTART
	v_dot2_f32_f16 v12, v16, v62, v12
	;;#ASMEND
	;;#ASMSTART
	v_dot2_f32_f16 v12, v17, v63, v12
	;;#ASMEND
	s_wait_dscnt 0x3
	;;#ASMSTART
	v_dot2_f32_f16 v10, v14, v64, v10
	;;#ASMEND
	;;#ASMSTART
	v_dot2_f32_f16 v10, v15, v65, v10
	;;#ASMEND
	;;#ASMSTART
	v_dot2_f32_f16 v10, v16, v66, v10
	;;#ASMEND
	;;#ASMSTART
	v_dot2_f32_f16 v10, v17, v67, v10
	;;#ASMEND
	;; [unrolled: 13-line block ×5, first 2 shown]
	;;#ASMSTART
	v_dot2_f32_f16 v11, v98, v64, v11
	;;#ASMEND
	;;#ASMSTART
	v_dot2_f32_f16 v11, v99, v65, v11
	;;#ASMEND
	;; [unrolled: 3-line block ×12, first 2 shown]
	ds_load_b128 v[14:17], v79 offset:32
	ds_load_b128 v[60:63], v71 offset:32
	;; [unrolled: 1-line block ×6, first 2 shown]
	s_wait_dscnt 0x4
	;;#ASMSTART
	v_dot2_f32_f16 v12, v14, v60, v12
	;;#ASMEND
	;;#ASMSTART
	v_dot2_f32_f16 v12, v15, v61, v12
	;;#ASMEND
	;;#ASMSTART
	v_dot2_f32_f16 v12, v16, v62, v12
	;;#ASMEND
	;;#ASMSTART
	v_dot2_f32_f16 v12, v17, v63, v12
	;;#ASMEND
	s_wait_dscnt 0x3
	;;#ASMSTART
	v_dot2_f32_f16 v10, v14, v64, v10
	;;#ASMEND
	;;#ASMSTART
	v_dot2_f32_f16 v10, v15, v65, v10
	;;#ASMEND
	;;#ASMSTART
	v_dot2_f32_f16 v10, v16, v66, v10
	;;#ASMEND
	;;#ASMSTART
	v_dot2_f32_f16 v10, v17, v67, v10
	;;#ASMEND
	;; [unrolled: 13-line block ×5, first 2 shown]
	;;#ASMSTART
	v_dot2_f32_f16 v11, v98, v64, v11
	;;#ASMEND
	;;#ASMSTART
	v_dot2_f32_f16 v11, v99, v65, v11
	;;#ASMEND
	;; [unrolled: 3-line block ×12, first 2 shown]
	ds_load_b128 v[14:17], v79 offset:48
	ds_load_b128 v[60:63], v71 offset:48
	;; [unrolled: 1-line block ×6, first 2 shown]
	s_wait_dscnt 0x4
	;;#ASMSTART
	v_dot2_f32_f16 v12, v14, v60, v12
	;;#ASMEND
	;;#ASMSTART
	v_dot2_f32_f16 v12, v15, v61, v12
	;;#ASMEND
	;;#ASMSTART
	v_dot2_f32_f16 v12, v16, v62, v12
	;;#ASMEND
	;;#ASMSTART
	v_dot2_f32_f16 v12, v17, v63, v12
	;;#ASMEND
	s_wait_dscnt 0x3
	;;#ASMSTART
	v_dot2_f32_f16 v10, v14, v64, v10
	;;#ASMEND
	;;#ASMSTART
	v_dot2_f32_f16 v10, v15, v65, v10
	;;#ASMEND
	;;#ASMSTART
	v_dot2_f32_f16 v10, v16, v66, v10
	;;#ASMEND
	;;#ASMSTART
	v_dot2_f32_f16 v10, v17, v67, v10
	;;#ASMEND
	;; [unrolled: 13-line block ×5, first 2 shown]
	;;#ASMSTART
	v_dot2_f32_f16 v11, v98, v64, v11
	;;#ASMEND
	;;#ASMSTART
	v_dot2_f32_f16 v11, v99, v65, v11
	;;#ASMEND
	;; [unrolled: 3-line block ×12, first 2 shown]
	ds_load_b128 v[14:17], v79 offset:64
	ds_load_b128 v[60:63], v71 offset:64
	;; [unrolled: 1-line block ×6, first 2 shown]
	s_wait_dscnt 0x4
	;;#ASMSTART
	v_dot2_f32_f16 v12, v14, v60, v12
	;;#ASMEND
	;;#ASMSTART
	v_dot2_f32_f16 v12, v15, v61, v12
	;;#ASMEND
	;;#ASMSTART
	v_dot2_f32_f16 v12, v16, v62, v12
	;;#ASMEND
	;;#ASMSTART
	v_dot2_f32_f16 v12, v17, v63, v12
	;;#ASMEND
	s_wait_dscnt 0x3
	;;#ASMSTART
	v_dot2_f32_f16 v10, v14, v64, v10
	;;#ASMEND
	;;#ASMSTART
	v_dot2_f32_f16 v10, v15, v65, v10
	;;#ASMEND
	;;#ASMSTART
	v_dot2_f32_f16 v10, v16, v66, v10
	;;#ASMEND
	;;#ASMSTART
	v_dot2_f32_f16 v10, v17, v67, v10
	;;#ASMEND
	;; [unrolled: 13-line block ×5, first 2 shown]
	;;#ASMSTART
	v_dot2_f32_f16 v11, v98, v64, v11
	;;#ASMEND
	;;#ASMSTART
	v_dot2_f32_f16 v11, v99, v65, v11
	;;#ASMEND
	;; [unrolled: 3-line block ×12, first 2 shown]
	ds_load_b128 v[14:17], v79 offset:80
	ds_load_b128 v[60:63], v71 offset:80
	;; [unrolled: 1-line block ×6, first 2 shown]
	s_wait_dscnt 0x4
	;;#ASMSTART
	v_dot2_f32_f16 v12, v14, v60, v12
	;;#ASMEND
	;;#ASMSTART
	v_dot2_f32_f16 v12, v15, v61, v12
	;;#ASMEND
	;;#ASMSTART
	v_dot2_f32_f16 v12, v16, v62, v12
	;;#ASMEND
	;;#ASMSTART
	v_dot2_f32_f16 v12, v17, v63, v12
	;;#ASMEND
	s_wait_dscnt 0x3
	;;#ASMSTART
	v_dot2_f32_f16 v10, v14, v64, v10
	;;#ASMEND
	;;#ASMSTART
	v_dot2_f32_f16 v10, v15, v65, v10
	;;#ASMEND
	;;#ASMSTART
	v_dot2_f32_f16 v10, v16, v66, v10
	;;#ASMEND
	;;#ASMSTART
	v_dot2_f32_f16 v10, v17, v67, v10
	;;#ASMEND
	;; [unrolled: 13-line block ×5, first 2 shown]
	;;#ASMSTART
	v_dot2_f32_f16 v11, v98, v64, v11
	;;#ASMEND
	;;#ASMSTART
	v_dot2_f32_f16 v11, v99, v65, v11
	;;#ASMEND
	;; [unrolled: 3-line block ×12, first 2 shown]
	ds_load_b128 v[14:17], v79 offset:96
	ds_load_b128 v[60:63], v71 offset:96
	;; [unrolled: 1-line block ×6, first 2 shown]
	s_wait_dscnt 0x4
	;;#ASMSTART
	v_dot2_f32_f16 v12, v14, v60, v12
	;;#ASMEND
	;;#ASMSTART
	v_dot2_f32_f16 v12, v15, v61, v12
	;;#ASMEND
	;;#ASMSTART
	v_dot2_f32_f16 v12, v16, v62, v12
	;;#ASMEND
	;;#ASMSTART
	v_dot2_f32_f16 v12, v17, v63, v12
	;;#ASMEND
	s_wait_dscnt 0x3
	;;#ASMSTART
	v_dot2_f32_f16 v10, v14, v64, v10
	;;#ASMEND
	;;#ASMSTART
	v_dot2_f32_f16 v10, v15, v65, v10
	;;#ASMEND
	;;#ASMSTART
	v_dot2_f32_f16 v10, v16, v66, v10
	;;#ASMEND
	;;#ASMSTART
	v_dot2_f32_f16 v10, v17, v67, v10
	;;#ASMEND
	;; [unrolled: 13-line block ×5, first 2 shown]
	;;#ASMSTART
	v_dot2_f32_f16 v11, v98, v64, v11
	;;#ASMEND
	;;#ASMSTART
	v_dot2_f32_f16 v11, v99, v65, v11
	;;#ASMEND
	;; [unrolled: 3-line block ×12, first 2 shown]
	ds_load_b128 v[14:17], v79 offset:112
	ds_load_b128 v[60:63], v71 offset:112
	;; [unrolled: 1-line block ×6, first 2 shown]
	s_wait_dscnt 0x4
	;;#ASMSTART
	v_dot2_f32_f16 v12, v14, v60, v12
	;;#ASMEND
	;;#ASMSTART
	v_dot2_f32_f16 v12, v15, v61, v12
	;;#ASMEND
	;;#ASMSTART
	v_dot2_f32_f16 v12, v16, v62, v12
	;;#ASMEND
	;;#ASMSTART
	v_dot2_f32_f16 v12, v17, v63, v12
	;;#ASMEND
	s_wait_dscnt 0x3
	;;#ASMSTART
	v_dot2_f32_f16 v10, v14, v64, v10
	;;#ASMEND
	;;#ASMSTART
	v_dot2_f32_f16 v10, v15, v65, v10
	;;#ASMEND
	;;#ASMSTART
	v_dot2_f32_f16 v10, v16, v66, v10
	;;#ASMEND
	;;#ASMSTART
	v_dot2_f32_f16 v10, v17, v67, v10
	;;#ASMEND
	;; [unrolled: 13-line block ×5, first 2 shown]
	;;#ASMSTART
	v_dot2_f32_f16 v11, v98, v64, v11
	;;#ASMEND
	;;#ASMSTART
	v_dot2_f32_f16 v11, v99, v65, v11
	;;#ASMEND
	;; [unrolled: 3-line block ×12, first 2 shown]
	ds_load_b128 v[14:17], v79 offset:128
	ds_load_b128 v[60:63], v71 offset:128
	;; [unrolled: 1-line block ×6, first 2 shown]
	s_wait_dscnt 0x4
	;;#ASMSTART
	v_dot2_f32_f16 v12, v14, v60, v12
	;;#ASMEND
	;;#ASMSTART
	v_dot2_f32_f16 v12, v15, v61, v12
	;;#ASMEND
	;;#ASMSTART
	v_dot2_f32_f16 v12, v16, v62, v12
	;;#ASMEND
	;;#ASMSTART
	v_dot2_f32_f16 v12, v17, v63, v12
	;;#ASMEND
	s_wait_dscnt 0x3
	;;#ASMSTART
	v_dot2_f32_f16 v10, v14, v64, v10
	;;#ASMEND
	;;#ASMSTART
	v_dot2_f32_f16 v10, v15, v65, v10
	;;#ASMEND
	;;#ASMSTART
	v_dot2_f32_f16 v10, v16, v66, v10
	;;#ASMEND
	;;#ASMSTART
	v_dot2_f32_f16 v10, v17, v67, v10
	;;#ASMEND
	;; [unrolled: 13-line block ×5, first 2 shown]
	;;#ASMSTART
	v_dot2_f32_f16 v11, v98, v64, v11
	;;#ASMEND
	;;#ASMSTART
	v_dot2_f32_f16 v11, v99, v65, v11
	;;#ASMEND
	;; [unrolled: 3-line block ×12, first 2 shown]
	ds_load_b128 v[14:17], v79 offset:144
	ds_load_b128 v[60:63], v71 offset:144
	;; [unrolled: 1-line block ×6, first 2 shown]
	s_wait_dscnt 0x4
	;;#ASMSTART
	v_dot2_f32_f16 v12, v14, v60, v12
	;;#ASMEND
	;;#ASMSTART
	v_dot2_f32_f16 v12, v15, v61, v12
	;;#ASMEND
	;;#ASMSTART
	v_dot2_f32_f16 v12, v16, v62, v12
	;;#ASMEND
	;;#ASMSTART
	v_dot2_f32_f16 v12, v17, v63, v12
	;;#ASMEND
	s_wait_dscnt 0x3
	;;#ASMSTART
	v_dot2_f32_f16 v10, v14, v64, v10
	;;#ASMEND
	;;#ASMSTART
	v_dot2_f32_f16 v10, v15, v65, v10
	;;#ASMEND
	;;#ASMSTART
	v_dot2_f32_f16 v10, v16, v66, v10
	;;#ASMEND
	;;#ASMSTART
	v_dot2_f32_f16 v10, v17, v67, v10
	;;#ASMEND
	;; [unrolled: 13-line block ×5, first 2 shown]
	;;#ASMSTART
	v_dot2_f32_f16 v11, v98, v64, v11
	;;#ASMEND
	;;#ASMSTART
	v_dot2_f32_f16 v11, v99, v65, v11
	;;#ASMEND
	;; [unrolled: 3-line block ×12, first 2 shown]
	ds_load_b128 v[14:17], v79 offset:160
	ds_load_b128 v[60:63], v71 offset:160
	;; [unrolled: 1-line block ×6, first 2 shown]
	s_wait_dscnt 0x4
	;;#ASMSTART
	v_dot2_f32_f16 v12, v14, v60, v12
	;;#ASMEND
	;;#ASMSTART
	v_dot2_f32_f16 v12, v15, v61, v12
	;;#ASMEND
	;;#ASMSTART
	v_dot2_f32_f16 v12, v16, v62, v12
	;;#ASMEND
	;;#ASMSTART
	v_dot2_f32_f16 v12, v17, v63, v12
	;;#ASMEND
	s_wait_dscnt 0x3
	;;#ASMSTART
	v_dot2_f32_f16 v10, v14, v64, v10
	;;#ASMEND
	;;#ASMSTART
	v_dot2_f32_f16 v10, v15, v65, v10
	;;#ASMEND
	;;#ASMSTART
	v_dot2_f32_f16 v10, v16, v66, v10
	;;#ASMEND
	;;#ASMSTART
	v_dot2_f32_f16 v10, v17, v67, v10
	;;#ASMEND
	;; [unrolled: 13-line block ×5, first 2 shown]
	;;#ASMSTART
	v_dot2_f32_f16 v11, v98, v64, v11
	;;#ASMEND
	;;#ASMSTART
	v_dot2_f32_f16 v11, v99, v65, v11
	;;#ASMEND
	;; [unrolled: 3-line block ×12, first 2 shown]
	ds_load_b128 v[14:17], v79 offset:176
	ds_load_b128 v[60:63], v71 offset:176
	;; [unrolled: 1-line block ×6, first 2 shown]
	s_wait_dscnt 0x4
	;;#ASMSTART
	v_dot2_f32_f16 v12, v14, v60, v12
	;;#ASMEND
	;;#ASMSTART
	v_dot2_f32_f16 v12, v15, v61, v12
	;;#ASMEND
	;;#ASMSTART
	v_dot2_f32_f16 v12, v16, v62, v12
	;;#ASMEND
	;;#ASMSTART
	v_dot2_f32_f16 v12, v17, v63, v12
	;;#ASMEND
	s_wait_dscnt 0x3
	;;#ASMSTART
	v_dot2_f32_f16 v10, v14, v64, v10
	;;#ASMEND
	;;#ASMSTART
	v_dot2_f32_f16 v10, v15, v65, v10
	;;#ASMEND
	;;#ASMSTART
	v_dot2_f32_f16 v10, v16, v66, v10
	;;#ASMEND
	;;#ASMSTART
	v_dot2_f32_f16 v10, v17, v67, v10
	;;#ASMEND
	;; [unrolled: 13-line block ×5, first 2 shown]
	;;#ASMSTART
	v_dot2_f32_f16 v11, v98, v64, v11
	;;#ASMEND
	;;#ASMSTART
	v_dot2_f32_f16 v11, v99, v65, v11
	;;#ASMEND
	;; [unrolled: 3-line block ×12, first 2 shown]
	ds_load_b128 v[14:17], v79 offset:192
	ds_load_b128 v[60:63], v71 offset:192
	;; [unrolled: 1-line block ×6, first 2 shown]
	s_wait_dscnt 0x4
	;;#ASMSTART
	v_dot2_f32_f16 v12, v14, v60, v12
	;;#ASMEND
	;;#ASMSTART
	v_dot2_f32_f16 v12, v15, v61, v12
	;;#ASMEND
	;;#ASMSTART
	v_dot2_f32_f16 v12, v16, v62, v12
	;;#ASMEND
	;;#ASMSTART
	v_dot2_f32_f16 v12, v17, v63, v12
	;;#ASMEND
	s_wait_dscnt 0x3
	;;#ASMSTART
	v_dot2_f32_f16 v10, v14, v64, v10
	;;#ASMEND
	;;#ASMSTART
	v_dot2_f32_f16 v10, v15, v65, v10
	;;#ASMEND
	;;#ASMSTART
	v_dot2_f32_f16 v10, v16, v66, v10
	;;#ASMEND
	;;#ASMSTART
	v_dot2_f32_f16 v10, v17, v67, v10
	;;#ASMEND
	;; [unrolled: 13-line block ×5, first 2 shown]
	;;#ASMSTART
	v_dot2_f32_f16 v11, v98, v64, v11
	;;#ASMEND
	;;#ASMSTART
	v_dot2_f32_f16 v11, v99, v65, v11
	;;#ASMEND
	;; [unrolled: 3-line block ×12, first 2 shown]
	ds_load_b128 v[14:17], v79 offset:208
	ds_load_b128 v[60:63], v71 offset:208
	ds_load_b128 v[64:67], v71 offset:720
	ds_load_b128 v[90:93], v71 offset:1232
	ds_load_b128 v[94:97], v71 offset:1744
	ds_load_b128 v[98:101], v79 offset:8912
	s_wait_dscnt 0x4
	;;#ASMSTART
	v_dot2_f32_f16 v12, v14, v60, v12
	;;#ASMEND
	;;#ASMSTART
	v_dot2_f32_f16 v12, v15, v61, v12
	;;#ASMEND
	;;#ASMSTART
	v_dot2_f32_f16 v12, v16, v62, v12
	;;#ASMEND
	;;#ASMSTART
	v_dot2_f32_f16 v12, v17, v63, v12
	;;#ASMEND
	s_wait_dscnt 0x3
	;;#ASMSTART
	v_dot2_f32_f16 v10, v14, v64, v10
	;;#ASMEND
	;;#ASMSTART
	v_dot2_f32_f16 v10, v15, v65, v10
	;;#ASMEND
	;;#ASMSTART
	v_dot2_f32_f16 v10, v16, v66, v10
	;;#ASMEND
	;;#ASMSTART
	v_dot2_f32_f16 v10, v17, v67, v10
	;;#ASMEND
	s_wait_dscnt 0x2
	;;#ASMSTART
	v_dot2_f32_f16 v8, v14, v90, v8
	;;#ASMEND
	;;#ASMSTART
	v_dot2_f32_f16 v8, v15, v91, v8
	;;#ASMEND
	;;#ASMSTART
	v_dot2_f32_f16 v8, v16, v92, v8
	;;#ASMEND
	;;#ASMSTART
	v_dot2_f32_f16 v8, v17, v93, v8
	;;#ASMEND
	s_wait_dscnt 0x1
	;;#ASMSTART
	v_dot2_f32_f16 v104, v14, v94, v104
	;;#ASMEND
	;;#ASMSTART
	v_dot2_f32_f16 v104, v15, v95, v104
	;;#ASMEND
	;;#ASMSTART
	v_dot2_f32_f16 v104, v16, v96, v104
	;;#ASMEND
	;;#ASMSTART
	v_dot2_f32_f16 v104, v17, v97, v104
	;;#ASMEND
	s_wait_dscnt 0x0
	;;#ASMSTART
	v_dot2_f32_f16 v13, v98, v60, v13
	;;#ASMEND
	;;#ASMSTART
	v_dot2_f32_f16 v13, v99, v61, v13
	;;#ASMEND
	;;#ASMSTART
	v_dot2_f32_f16 v13, v100, v62, v13
	;;#ASMEND
	;;#ASMSTART
	v_dot2_f32_f16 v13, v101, v63, v13
	;;#ASMEND
	;;#ASMSTART
	v_dot2_f32_f16 v11, v98, v64, v11
	;;#ASMEND
	;;#ASMSTART
	v_dot2_f32_f16 v11, v99, v65, v11
	;;#ASMEND
	;; [unrolled: 3-line block ×12, first 2 shown]
	ds_load_b128 v[14:17], v79 offset:224
	ds_load_b128 v[60:63], v71 offset:224
	;; [unrolled: 1-line block ×6, first 2 shown]
	s_wait_dscnt 0x4
	;;#ASMSTART
	v_dot2_f32_f16 v12, v14, v60, v12
	;;#ASMEND
	;;#ASMSTART
	v_dot2_f32_f16 v12, v15, v61, v12
	;;#ASMEND
	;;#ASMSTART
	v_dot2_f32_f16 v12, v16, v62, v12
	;;#ASMEND
	;;#ASMSTART
	v_dot2_f32_f16 v12, v17, v63, v12
	;;#ASMEND
	s_wait_dscnt 0x3
	;;#ASMSTART
	v_dot2_f32_f16 v10, v14, v64, v10
	;;#ASMEND
	;;#ASMSTART
	v_dot2_f32_f16 v10, v15, v65, v10
	;;#ASMEND
	;;#ASMSTART
	v_dot2_f32_f16 v10, v16, v66, v10
	;;#ASMEND
	;;#ASMSTART
	v_dot2_f32_f16 v10, v17, v67, v10
	;;#ASMEND
	;; [unrolled: 13-line block ×5, first 2 shown]
	;;#ASMSTART
	v_dot2_f32_f16 v11, v98, v64, v11
	;;#ASMEND
	;;#ASMSTART
	v_dot2_f32_f16 v11, v99, v65, v11
	;;#ASMEND
	;; [unrolled: 3-line block ×12, first 2 shown]
	ds_load_b128 v[14:17], v79 offset:240
	ds_load_b128 v[60:63], v71 offset:240
	;; [unrolled: 1-line block ×6, first 2 shown]
	s_wait_dscnt 0x4
	;;#ASMSTART
	v_dot2_f32_f16 v12, v14, v60, v12
	;;#ASMEND
	;;#ASMSTART
	v_dot2_f32_f16 v12, v15, v61, v12
	;;#ASMEND
	;;#ASMSTART
	v_dot2_f32_f16 v12, v16, v62, v12
	;;#ASMEND
	;;#ASMSTART
	v_dot2_f32_f16 v12, v17, v63, v12
	;;#ASMEND
	s_wait_dscnt 0x3
	;;#ASMSTART
	v_dot2_f32_f16 v10, v14, v64, v10
	;;#ASMEND
	;;#ASMSTART
	v_dot2_f32_f16 v10, v15, v65, v10
	;;#ASMEND
	;;#ASMSTART
	v_dot2_f32_f16 v10, v16, v66, v10
	;;#ASMEND
	;;#ASMSTART
	v_dot2_f32_f16 v10, v17, v67, v10
	;;#ASMEND
	;; [unrolled: 13-line block ×5, first 2 shown]
	;;#ASMSTART
	v_dot2_f32_f16 v11, v98, v64, v11
	;;#ASMEND
	;;#ASMSTART
	v_dot2_f32_f16 v11, v99, v65, v11
	;;#ASMEND
	;; [unrolled: 3-line block ×12, first 2 shown]
	s_barrier_signal -1
	s_barrier_wait -1
	s_clause 0x3
	global_load_b128 v[14:17], v[0:1], off offset:256
	global_load_b128 v[60:63], v[2:3], off offset:256
	;; [unrolled: 1-line block ×4, first 2 shown]
	s_wait_loadcnt 0x3
	ds_store_b128 v75, v[14:17]
	s_wait_loadcnt 0x2
	ds_store_b128 v76, v[60:63]
	;; [unrolled: 2-line block ×4, first 2 shown]
	s_wait_dscnt 0x0
	s_barrier_signal -1
	s_barrier_wait -1
	ds_load_b128 v[0:3], v79
	ds_load_b128 v[4:7], v71 offset:256
	ds_load_b128 v[14:17], v71 offset:768
	;; [unrolled: 1-line block ×5, first 2 shown]
	s_wait_dscnt 0x4
	;;#ASMSTART
	v_dot2_f32_f16 v12, v0, v4, v12
	;;#ASMEND
	;;#ASMSTART
	v_dot2_f32_f16 v12, v1, v5, v12
	;;#ASMEND
	;;#ASMSTART
	v_dot2_f32_f16 v12, v2, v6, v12
	;;#ASMEND
	;;#ASMSTART
	v_dot2_f32_f16 v12, v3, v7, v12
	;;#ASMEND
	s_wait_dscnt 0x3
	;;#ASMSTART
	v_dot2_f32_f16 v10, v0, v14, v10
	;;#ASMEND
	;;#ASMSTART
	v_dot2_f32_f16 v10, v1, v15, v10
	;;#ASMEND
	;;#ASMSTART
	v_dot2_f32_f16 v10, v2, v16, v10
	;;#ASMEND
	;;#ASMSTART
	v_dot2_f32_f16 v10, v3, v17, v10
	;;#ASMEND
	;; [unrolled: 13-line block ×5, first 2 shown]
	;;#ASMSTART
	v_dot2_f32_f16 v11, v90, v14, v11
	;;#ASMEND
	;;#ASMSTART
	v_dot2_f32_f16 v11, v91, v15, v11
	;;#ASMEND
	;;#ASMSTART
	v_dot2_f32_f16 v11, v92, v16, v11
	;;#ASMEND
	;;#ASMSTART
	v_dot2_f32_f16 v11, v93, v17, v11
	;;#ASMEND
	;;#ASMSTART
	v_dot2_f32_f16 v9, v90, v60, v9
	;;#ASMEND
	;;#ASMSTART
	v_dot2_f32_f16 v9, v91, v61, v9
	;;#ASMEND
	;;#ASMSTART
	v_dot2_f32_f16 v9, v92, v62, v9
	;;#ASMEND
	;;#ASMSTART
	v_dot2_f32_f16 v9, v93, v63, v9
	;;#ASMEND
	;;#ASMSTART
	v_dot2_f32_f16 v105, v90, v64, v105
	;;#ASMEND
	;;#ASMSTART
	v_dot2_f32_f16 v105, v91, v65, v105
	;;#ASMEND
	;;#ASMSTART
	v_dot2_f32_f16 v105, v92, v66, v105
	;;#ASMEND
	;;#ASMSTART
	v_dot2_f32_f16 v105, v93, v67, v105
	;;#ASMEND
	ds_load_b128 v[0:3], v79 offset:16
	ds_load_b128 v[4:7], v71 offset:272
	;; [unrolled: 1-line block ×6, first 2 shown]
	s_wait_dscnt 0x4
	;;#ASMSTART
	v_dot2_f32_f16 v12, v0, v4, v12
	;;#ASMEND
	;;#ASMSTART
	v_dot2_f32_f16 v12, v1, v5, v12
	;;#ASMEND
	;;#ASMSTART
	v_dot2_f32_f16 v12, v2, v6, v12
	;;#ASMEND
	;;#ASMSTART
	v_dot2_f32_f16 v12, v3, v7, v12
	;;#ASMEND
	s_wait_dscnt 0x3
	;;#ASMSTART
	v_dot2_f32_f16 v10, v0, v14, v10
	;;#ASMEND
	;;#ASMSTART
	v_dot2_f32_f16 v10, v1, v15, v10
	;;#ASMEND
	;;#ASMSTART
	v_dot2_f32_f16 v10, v2, v16, v10
	;;#ASMEND
	;;#ASMSTART
	v_dot2_f32_f16 v10, v3, v17, v10
	;;#ASMEND
	;; [unrolled: 13-line block ×5, first 2 shown]
	;;#ASMSTART
	v_dot2_f32_f16 v11, v90, v14, v11
	;;#ASMEND
	;;#ASMSTART
	v_dot2_f32_f16 v11, v91, v15, v11
	;;#ASMEND
	;; [unrolled: 3-line block ×12, first 2 shown]
	ds_load_b128 v[0:3], v79 offset:32
	ds_load_b128 v[4:7], v71 offset:288
	;; [unrolled: 1-line block ×6, first 2 shown]
	s_wait_dscnt 0x4
	;;#ASMSTART
	v_dot2_f32_f16 v12, v0, v4, v12
	;;#ASMEND
	;;#ASMSTART
	v_dot2_f32_f16 v12, v1, v5, v12
	;;#ASMEND
	;;#ASMSTART
	v_dot2_f32_f16 v12, v2, v6, v12
	;;#ASMEND
	;;#ASMSTART
	v_dot2_f32_f16 v12, v3, v7, v12
	;;#ASMEND
	s_wait_dscnt 0x3
	;;#ASMSTART
	v_dot2_f32_f16 v10, v0, v14, v10
	;;#ASMEND
	;;#ASMSTART
	v_dot2_f32_f16 v10, v1, v15, v10
	;;#ASMEND
	;;#ASMSTART
	v_dot2_f32_f16 v10, v2, v16, v10
	;;#ASMEND
	;;#ASMSTART
	v_dot2_f32_f16 v10, v3, v17, v10
	;;#ASMEND
	;; [unrolled: 13-line block ×5, first 2 shown]
	;;#ASMSTART
	v_dot2_f32_f16 v11, v90, v14, v11
	;;#ASMEND
	;;#ASMSTART
	v_dot2_f32_f16 v11, v91, v15, v11
	;;#ASMEND
	;; [unrolled: 3-line block ×12, first 2 shown]
	ds_load_b128 v[0:3], v79 offset:48
	ds_load_b128 v[4:7], v71 offset:304
	ds_load_b128 v[14:17], v71 offset:816
	ds_load_b128 v[60:63], v71 offset:1328
	ds_load_b128 v[64:67], v71 offset:1840
	ds_load_b128 v[90:93], v79 offset:8752
	s_wait_dscnt 0x4
	;;#ASMSTART
	v_dot2_f32_f16 v12, v0, v4, v12
	;;#ASMEND
	;;#ASMSTART
	v_dot2_f32_f16 v12, v1, v5, v12
	;;#ASMEND
	;;#ASMSTART
	v_dot2_f32_f16 v12, v2, v6, v12
	;;#ASMEND
	;;#ASMSTART
	v_dot2_f32_f16 v12, v3, v7, v12
	;;#ASMEND
	s_wait_dscnt 0x3
	;;#ASMSTART
	v_dot2_f32_f16 v10, v0, v14, v10
	;;#ASMEND
	;;#ASMSTART
	v_dot2_f32_f16 v10, v1, v15, v10
	;;#ASMEND
	;;#ASMSTART
	v_dot2_f32_f16 v10, v2, v16, v10
	;;#ASMEND
	;;#ASMSTART
	v_dot2_f32_f16 v10, v3, v17, v10
	;;#ASMEND
	;; [unrolled: 13-line block ×5, first 2 shown]
	;;#ASMSTART
	v_dot2_f32_f16 v11, v90, v14, v11
	;;#ASMEND
	;;#ASMSTART
	v_dot2_f32_f16 v11, v91, v15, v11
	;;#ASMEND
	;; [unrolled: 3-line block ×12, first 2 shown]
	ds_load_b128 v[0:3], v79 offset:64
	ds_load_b128 v[4:7], v71 offset:320
	;; [unrolled: 1-line block ×6, first 2 shown]
	s_wait_dscnt 0x4
	;;#ASMSTART
	v_dot2_f32_f16 v12, v0, v4, v12
	;;#ASMEND
	;;#ASMSTART
	v_dot2_f32_f16 v12, v1, v5, v12
	;;#ASMEND
	;;#ASMSTART
	v_dot2_f32_f16 v12, v2, v6, v12
	;;#ASMEND
	;;#ASMSTART
	v_dot2_f32_f16 v12, v3, v7, v12
	;;#ASMEND
	s_wait_dscnt 0x3
	;;#ASMSTART
	v_dot2_f32_f16 v10, v0, v14, v10
	;;#ASMEND
	;;#ASMSTART
	v_dot2_f32_f16 v10, v1, v15, v10
	;;#ASMEND
	;;#ASMSTART
	v_dot2_f32_f16 v10, v2, v16, v10
	;;#ASMEND
	;;#ASMSTART
	v_dot2_f32_f16 v10, v3, v17, v10
	;;#ASMEND
	;; [unrolled: 13-line block ×5, first 2 shown]
	;;#ASMSTART
	v_dot2_f32_f16 v11, v90, v14, v11
	;;#ASMEND
	;;#ASMSTART
	v_dot2_f32_f16 v11, v91, v15, v11
	;;#ASMEND
	;; [unrolled: 3-line block ×12, first 2 shown]
	ds_load_b128 v[0:3], v79 offset:80
	ds_load_b128 v[4:7], v71 offset:336
	;; [unrolled: 1-line block ×6, first 2 shown]
	s_wait_dscnt 0x4
	;;#ASMSTART
	v_dot2_f32_f16 v12, v0, v4, v12
	;;#ASMEND
	;;#ASMSTART
	v_dot2_f32_f16 v12, v1, v5, v12
	;;#ASMEND
	;;#ASMSTART
	v_dot2_f32_f16 v12, v2, v6, v12
	;;#ASMEND
	;;#ASMSTART
	v_dot2_f32_f16 v12, v3, v7, v12
	;;#ASMEND
	s_wait_dscnt 0x3
	;;#ASMSTART
	v_dot2_f32_f16 v10, v0, v14, v10
	;;#ASMEND
	;;#ASMSTART
	v_dot2_f32_f16 v10, v1, v15, v10
	;;#ASMEND
	;;#ASMSTART
	v_dot2_f32_f16 v10, v2, v16, v10
	;;#ASMEND
	;;#ASMSTART
	v_dot2_f32_f16 v10, v3, v17, v10
	;;#ASMEND
	;; [unrolled: 13-line block ×5, first 2 shown]
	;;#ASMSTART
	v_dot2_f32_f16 v11, v90, v14, v11
	;;#ASMEND
	;;#ASMSTART
	v_dot2_f32_f16 v11, v91, v15, v11
	;;#ASMEND
	;; [unrolled: 3-line block ×12, first 2 shown]
	ds_load_b128 v[0:3], v79 offset:96
	ds_load_b128 v[4:7], v71 offset:352
	;; [unrolled: 1-line block ×6, first 2 shown]
	s_wait_dscnt 0x4
	;;#ASMSTART
	v_dot2_f32_f16 v12, v0, v4, v12
	;;#ASMEND
	;;#ASMSTART
	v_dot2_f32_f16 v12, v1, v5, v12
	;;#ASMEND
	;;#ASMSTART
	v_dot2_f32_f16 v12, v2, v6, v12
	;;#ASMEND
	;;#ASMSTART
	v_dot2_f32_f16 v12, v3, v7, v12
	;;#ASMEND
	s_wait_dscnt 0x3
	;;#ASMSTART
	v_dot2_f32_f16 v10, v0, v14, v10
	;;#ASMEND
	;;#ASMSTART
	v_dot2_f32_f16 v10, v1, v15, v10
	;;#ASMEND
	;;#ASMSTART
	v_dot2_f32_f16 v10, v2, v16, v10
	;;#ASMEND
	;;#ASMSTART
	v_dot2_f32_f16 v10, v3, v17, v10
	;;#ASMEND
	;; [unrolled: 13-line block ×5, first 2 shown]
	;;#ASMSTART
	v_dot2_f32_f16 v11, v90, v14, v11
	;;#ASMEND
	;;#ASMSTART
	v_dot2_f32_f16 v11, v91, v15, v11
	;;#ASMEND
	;; [unrolled: 3-line block ×12, first 2 shown]
	ds_load_b128 v[0:3], v79 offset:112
	ds_load_b128 v[4:7], v71 offset:368
	;; [unrolled: 1-line block ×6, first 2 shown]
	s_wait_dscnt 0x4
	;;#ASMSTART
	v_dot2_f32_f16 v12, v0, v4, v12
	;;#ASMEND
	;;#ASMSTART
	v_dot2_f32_f16 v12, v1, v5, v12
	;;#ASMEND
	;;#ASMSTART
	v_dot2_f32_f16 v12, v2, v6, v12
	;;#ASMEND
	;;#ASMSTART
	v_dot2_f32_f16 v12, v3, v7, v12
	;;#ASMEND
	s_wait_dscnt 0x3
	;;#ASMSTART
	v_dot2_f32_f16 v10, v0, v14, v10
	;;#ASMEND
	;;#ASMSTART
	v_dot2_f32_f16 v10, v1, v15, v10
	;;#ASMEND
	;;#ASMSTART
	v_dot2_f32_f16 v10, v2, v16, v10
	;;#ASMEND
	;;#ASMSTART
	v_dot2_f32_f16 v10, v3, v17, v10
	;;#ASMEND
	;; [unrolled: 13-line block ×5, first 2 shown]
	;;#ASMSTART
	v_dot2_f32_f16 v11, v90, v14, v11
	;;#ASMEND
	;;#ASMSTART
	v_dot2_f32_f16 v11, v91, v15, v11
	;;#ASMEND
	;; [unrolled: 3-line block ×12, first 2 shown]
	ds_load_b128 v[0:3], v79 offset:128
	ds_load_b128 v[4:7], v71 offset:384
	;; [unrolled: 1-line block ×6, first 2 shown]
	s_wait_dscnt 0x4
	;;#ASMSTART
	v_dot2_f32_f16 v12, v0, v4, v12
	;;#ASMEND
	;;#ASMSTART
	v_dot2_f32_f16 v12, v1, v5, v12
	;;#ASMEND
	;;#ASMSTART
	v_dot2_f32_f16 v12, v2, v6, v12
	;;#ASMEND
	;;#ASMSTART
	v_dot2_f32_f16 v12, v3, v7, v12
	;;#ASMEND
	s_wait_dscnt 0x3
	;;#ASMSTART
	v_dot2_f32_f16 v10, v0, v14, v10
	;;#ASMEND
	;;#ASMSTART
	v_dot2_f32_f16 v10, v1, v15, v10
	;;#ASMEND
	;;#ASMSTART
	v_dot2_f32_f16 v10, v2, v16, v10
	;;#ASMEND
	;;#ASMSTART
	v_dot2_f32_f16 v10, v3, v17, v10
	;;#ASMEND
	;; [unrolled: 13-line block ×5, first 2 shown]
	;;#ASMSTART
	v_dot2_f32_f16 v11, v90, v14, v11
	;;#ASMEND
	;;#ASMSTART
	v_dot2_f32_f16 v11, v91, v15, v11
	;;#ASMEND
	;;#ASMSTART
	v_dot2_f32_f16 v11, v92, v16, v11
	;;#ASMEND
	;;#ASMSTART
	v_dot2_f32_f16 v11, v93, v17, v11
	;;#ASMEND
	;;#ASMSTART
	v_dot2_f32_f16 v9, v90, v60, v9
	;;#ASMEND
	;;#ASMSTART
	v_dot2_f32_f16 v9, v91, v61, v9
	;;#ASMEND
	;;#ASMSTART
	v_dot2_f32_f16 v9, v92, v62, v9
	;;#ASMEND
	;;#ASMSTART
	v_dot2_f32_f16 v9, v93, v63, v9
	;;#ASMEND
	;;#ASMSTART
	v_dot2_f32_f16 v105, v90, v64, v105
	;;#ASMEND
	;;#ASMSTART
	v_dot2_f32_f16 v105, v91, v65, v105
	;;#ASMEND
	;;#ASMSTART
	v_dot2_f32_f16 v105, v92, v66, v105
	;;#ASMEND
	;;#ASMSTART
	v_dot2_f32_f16 v105, v93, v67, v105
	;;#ASMEND
	ds_load_b128 v[0:3], v79 offset:144
	ds_load_b128 v[4:7], v71 offset:400
	;; [unrolled: 1-line block ×6, first 2 shown]
	s_wait_dscnt 0x4
	;;#ASMSTART
	v_dot2_f32_f16 v12, v0, v4, v12
	;;#ASMEND
	;;#ASMSTART
	v_dot2_f32_f16 v12, v1, v5, v12
	;;#ASMEND
	;;#ASMSTART
	v_dot2_f32_f16 v12, v2, v6, v12
	;;#ASMEND
	;;#ASMSTART
	v_dot2_f32_f16 v12, v3, v7, v12
	;;#ASMEND
	s_wait_dscnt 0x3
	;;#ASMSTART
	v_dot2_f32_f16 v10, v0, v14, v10
	;;#ASMEND
	;;#ASMSTART
	v_dot2_f32_f16 v10, v1, v15, v10
	;;#ASMEND
	;;#ASMSTART
	v_dot2_f32_f16 v10, v2, v16, v10
	;;#ASMEND
	;;#ASMSTART
	v_dot2_f32_f16 v10, v3, v17, v10
	;;#ASMEND
	;; [unrolled: 13-line block ×5, first 2 shown]
	;;#ASMSTART
	v_dot2_f32_f16 v11, v90, v14, v11
	;;#ASMEND
	;;#ASMSTART
	v_dot2_f32_f16 v11, v91, v15, v11
	;;#ASMEND
	;;#ASMSTART
	v_dot2_f32_f16 v11, v92, v16, v11
	;;#ASMEND
	;;#ASMSTART
	v_dot2_f32_f16 v11, v93, v17, v11
	;;#ASMEND
	;;#ASMSTART
	v_dot2_f32_f16 v9, v90, v60, v9
	;;#ASMEND
	;;#ASMSTART
	v_dot2_f32_f16 v9, v91, v61, v9
	;;#ASMEND
	;;#ASMSTART
	v_dot2_f32_f16 v9, v92, v62, v9
	;;#ASMEND
	;;#ASMSTART
	v_dot2_f32_f16 v9, v93, v63, v9
	;;#ASMEND
	;;#ASMSTART
	v_dot2_f32_f16 v105, v90, v64, v105
	;;#ASMEND
	;;#ASMSTART
	v_dot2_f32_f16 v105, v91, v65, v105
	;;#ASMEND
	;;#ASMSTART
	v_dot2_f32_f16 v105, v92, v66, v105
	;;#ASMEND
	;;#ASMSTART
	v_dot2_f32_f16 v105, v93, v67, v105
	;;#ASMEND
	ds_load_b128 v[0:3], v79 offset:160
	ds_load_b128 v[4:7], v71 offset:416
	;; [unrolled: 1-line block ×6, first 2 shown]
	s_wait_dscnt 0x4
	;;#ASMSTART
	v_dot2_f32_f16 v12, v0, v4, v12
	;;#ASMEND
	;;#ASMSTART
	v_dot2_f32_f16 v12, v1, v5, v12
	;;#ASMEND
	;;#ASMSTART
	v_dot2_f32_f16 v12, v2, v6, v12
	;;#ASMEND
	;;#ASMSTART
	v_dot2_f32_f16 v12, v3, v7, v12
	;;#ASMEND
	s_wait_dscnt 0x3
	;;#ASMSTART
	v_dot2_f32_f16 v10, v0, v14, v10
	;;#ASMEND
	;;#ASMSTART
	v_dot2_f32_f16 v10, v1, v15, v10
	;;#ASMEND
	;;#ASMSTART
	v_dot2_f32_f16 v10, v2, v16, v10
	;;#ASMEND
	;;#ASMSTART
	v_dot2_f32_f16 v10, v3, v17, v10
	;;#ASMEND
	s_wait_dscnt 0x2
	;;#ASMSTART
	v_dot2_f32_f16 v8, v0, v60, v8
	;;#ASMEND
	;;#ASMSTART
	v_dot2_f32_f16 v8, v1, v61, v8
	;;#ASMEND
	;;#ASMSTART
	v_dot2_f32_f16 v8, v2, v62, v8
	;;#ASMEND
	;;#ASMSTART
	v_dot2_f32_f16 v8, v3, v63, v8
	;;#ASMEND
	s_wait_dscnt 0x1
	;;#ASMSTART
	v_dot2_f32_f16 v104, v0, v64, v104
	;;#ASMEND
	;;#ASMSTART
	v_dot2_f32_f16 v104, v1, v65, v104
	;;#ASMEND
	;;#ASMSTART
	v_dot2_f32_f16 v104, v2, v66, v104
	;;#ASMEND
	;;#ASMSTART
	v_dot2_f32_f16 v104, v3, v67, v104
	;;#ASMEND
	s_wait_dscnt 0x0
	;;#ASMSTART
	v_dot2_f32_f16 v13, v90, v4, v13
	;;#ASMEND
	;;#ASMSTART
	v_dot2_f32_f16 v13, v91, v5, v13
	;;#ASMEND
	;;#ASMSTART
	v_dot2_f32_f16 v13, v92, v6, v13
	;;#ASMEND
	;;#ASMSTART
	v_dot2_f32_f16 v13, v93, v7, v13
	;;#ASMEND
	;;#ASMSTART
	v_dot2_f32_f16 v11, v90, v14, v11
	;;#ASMEND
	;;#ASMSTART
	v_dot2_f32_f16 v11, v91, v15, v11
	;;#ASMEND
	;; [unrolled: 3-line block ×12, first 2 shown]
	ds_load_b128 v[0:3], v79 offset:176
	ds_load_b128 v[4:7], v71 offset:432
	;; [unrolled: 1-line block ×6, first 2 shown]
	s_wait_dscnt 0x4
	;;#ASMSTART
	v_dot2_f32_f16 v12, v0, v4, v12
	;;#ASMEND
	;;#ASMSTART
	v_dot2_f32_f16 v12, v1, v5, v12
	;;#ASMEND
	;;#ASMSTART
	v_dot2_f32_f16 v12, v2, v6, v12
	;;#ASMEND
	;;#ASMSTART
	v_dot2_f32_f16 v12, v3, v7, v12
	;;#ASMEND
	s_wait_dscnt 0x3
	;;#ASMSTART
	v_dot2_f32_f16 v10, v0, v14, v10
	;;#ASMEND
	;;#ASMSTART
	v_dot2_f32_f16 v10, v1, v15, v10
	;;#ASMEND
	;;#ASMSTART
	v_dot2_f32_f16 v10, v2, v16, v10
	;;#ASMEND
	;;#ASMSTART
	v_dot2_f32_f16 v10, v3, v17, v10
	;;#ASMEND
	;; [unrolled: 13-line block ×5, first 2 shown]
	;;#ASMSTART
	v_dot2_f32_f16 v11, v90, v14, v11
	;;#ASMEND
	;;#ASMSTART
	v_dot2_f32_f16 v11, v91, v15, v11
	;;#ASMEND
	;; [unrolled: 3-line block ×12, first 2 shown]
	ds_load_b128 v[0:3], v79 offset:192
	ds_load_b128 v[4:7], v71 offset:448
	ds_load_b128 v[14:17], v71 offset:960
	ds_load_b128 v[60:63], v71 offset:1472
	ds_load_b128 v[64:67], v71 offset:1984
	ds_load_b128 v[90:93], v79 offset:8896
	s_wait_dscnt 0x4
	;;#ASMSTART
	v_dot2_f32_f16 v12, v0, v4, v12
	;;#ASMEND
	;;#ASMSTART
	v_dot2_f32_f16 v12, v1, v5, v12
	;;#ASMEND
	;;#ASMSTART
	v_dot2_f32_f16 v12, v2, v6, v12
	;;#ASMEND
	;;#ASMSTART
	v_dot2_f32_f16 v12, v3, v7, v12
	;;#ASMEND
	s_wait_dscnt 0x3
	;;#ASMSTART
	v_dot2_f32_f16 v10, v0, v14, v10
	;;#ASMEND
	;;#ASMSTART
	v_dot2_f32_f16 v10, v1, v15, v10
	;;#ASMEND
	;;#ASMSTART
	v_dot2_f32_f16 v10, v2, v16, v10
	;;#ASMEND
	;;#ASMSTART
	v_dot2_f32_f16 v10, v3, v17, v10
	;;#ASMEND
	;; [unrolled: 13-line block ×5, first 2 shown]
	;;#ASMSTART
	v_dot2_f32_f16 v11, v90, v14, v11
	;;#ASMEND
	;;#ASMSTART
	v_dot2_f32_f16 v11, v91, v15, v11
	;;#ASMEND
	;; [unrolled: 3-line block ×12, first 2 shown]
	ds_load_b128 v[0:3], v79 offset:208
	ds_load_b128 v[4:7], v71 offset:464
	;; [unrolled: 1-line block ×6, first 2 shown]
	s_wait_dscnt 0x4
	;;#ASMSTART
	v_dot2_f32_f16 v12, v0, v4, v12
	;;#ASMEND
	;;#ASMSTART
	v_dot2_f32_f16 v12, v1, v5, v12
	;;#ASMEND
	;;#ASMSTART
	v_dot2_f32_f16 v12, v2, v6, v12
	;;#ASMEND
	;;#ASMSTART
	v_dot2_f32_f16 v12, v3, v7, v12
	;;#ASMEND
	s_wait_dscnt 0x3
	;;#ASMSTART
	v_dot2_f32_f16 v10, v0, v14, v10
	;;#ASMEND
	;;#ASMSTART
	v_dot2_f32_f16 v10, v1, v15, v10
	;;#ASMEND
	;;#ASMSTART
	v_dot2_f32_f16 v10, v2, v16, v10
	;;#ASMEND
	;;#ASMSTART
	v_dot2_f32_f16 v10, v3, v17, v10
	;;#ASMEND
	;; [unrolled: 13-line block ×5, first 2 shown]
	;;#ASMSTART
	v_dot2_f32_f16 v11, v90, v14, v11
	;;#ASMEND
	;;#ASMSTART
	v_dot2_f32_f16 v11, v91, v15, v11
	;;#ASMEND
	;;#ASMSTART
	v_dot2_f32_f16 v11, v92, v16, v11
	;;#ASMEND
	;;#ASMSTART
	v_dot2_f32_f16 v11, v93, v17, v11
	;;#ASMEND
	;;#ASMSTART
	v_dot2_f32_f16 v9, v90, v60, v9
	;;#ASMEND
	;;#ASMSTART
	v_dot2_f32_f16 v9, v91, v61, v9
	;;#ASMEND
	;;#ASMSTART
	v_dot2_f32_f16 v9, v92, v62, v9
	;;#ASMEND
	;;#ASMSTART
	v_dot2_f32_f16 v9, v93, v63, v9
	;;#ASMEND
	;;#ASMSTART
	v_dot2_f32_f16 v105, v90, v64, v105
	;;#ASMEND
	;;#ASMSTART
	v_dot2_f32_f16 v105, v91, v65, v105
	;;#ASMEND
	;;#ASMSTART
	v_dot2_f32_f16 v105, v92, v66, v105
	;;#ASMEND
	;;#ASMSTART
	v_dot2_f32_f16 v105, v93, v67, v105
	;;#ASMEND
	ds_load_b128 v[0:3], v79 offset:224
	ds_load_b128 v[4:7], v71 offset:480
	;; [unrolled: 1-line block ×6, first 2 shown]
	s_wait_dscnt 0x4
	;;#ASMSTART
	v_dot2_f32_f16 v12, v0, v4, v12
	;;#ASMEND
	;;#ASMSTART
	v_dot2_f32_f16 v12, v1, v5, v12
	;;#ASMEND
	;;#ASMSTART
	v_dot2_f32_f16 v12, v2, v6, v12
	;;#ASMEND
	;;#ASMSTART
	v_dot2_f32_f16 v12, v3, v7, v12
	;;#ASMEND
	s_wait_dscnt 0x3
	;;#ASMSTART
	v_dot2_f32_f16 v10, v0, v14, v10
	;;#ASMEND
	;;#ASMSTART
	v_dot2_f32_f16 v10, v1, v15, v10
	;;#ASMEND
	;;#ASMSTART
	v_dot2_f32_f16 v10, v2, v16, v10
	;;#ASMEND
	;;#ASMSTART
	v_dot2_f32_f16 v10, v3, v17, v10
	;;#ASMEND
	s_wait_dscnt 0x2
	;;#ASMSTART
	v_dot2_f32_f16 v8, v0, v60, v8
	;;#ASMEND
	;;#ASMSTART
	v_dot2_f32_f16 v8, v1, v61, v8
	;;#ASMEND
	;;#ASMSTART
	v_dot2_f32_f16 v8, v2, v62, v8
	;;#ASMEND
	;;#ASMSTART
	v_dot2_f32_f16 v8, v3, v63, v8
	;;#ASMEND
	s_wait_dscnt 0x1
	;;#ASMSTART
	v_dot2_f32_f16 v104, v0, v64, v104
	;;#ASMEND
	;;#ASMSTART
	v_dot2_f32_f16 v104, v1, v65, v104
	;;#ASMEND
	;;#ASMSTART
	v_dot2_f32_f16 v104, v2, v66, v104
	;;#ASMEND
	;;#ASMSTART
	v_dot2_f32_f16 v104, v3, v67, v104
	;;#ASMEND
	s_wait_dscnt 0x0
	;;#ASMSTART
	v_dot2_f32_f16 v13, v90, v4, v13
	;;#ASMEND
	;;#ASMSTART
	v_dot2_f32_f16 v13, v91, v5, v13
	;;#ASMEND
	;;#ASMSTART
	v_dot2_f32_f16 v13, v92, v6, v13
	;;#ASMEND
	;;#ASMSTART
	v_dot2_f32_f16 v13, v93, v7, v13
	;;#ASMEND
	;;#ASMSTART
	v_dot2_f32_f16 v11, v90, v14, v11
	;;#ASMEND
	;;#ASMSTART
	v_dot2_f32_f16 v11, v91, v15, v11
	;;#ASMEND
	;; [unrolled: 3-line block ×12, first 2 shown]
	ds_load_b128 v[0:3], v79 offset:240
	ds_load_b128 v[4:7], v71 offset:496
	;; [unrolled: 1-line block ×6, first 2 shown]
	s_wait_dscnt 0x4
	;;#ASMSTART
	v_dot2_f32_f16 v12, v0, v4, v12
	;;#ASMEND
	;;#ASMSTART
	v_dot2_f32_f16 v12, v1, v5, v12
	;;#ASMEND
	;;#ASMSTART
	v_dot2_f32_f16 v12, v2, v6, v12
	;;#ASMEND
	;;#ASMSTART
	v_dot2_f32_f16 v12, v3, v7, v12
	;;#ASMEND
	s_wait_dscnt 0x3
	;;#ASMSTART
	v_dot2_f32_f16 v10, v0, v14, v10
	;;#ASMEND
	;;#ASMSTART
	v_dot2_f32_f16 v10, v1, v15, v10
	;;#ASMEND
	;;#ASMSTART
	v_dot2_f32_f16 v10, v2, v16, v10
	;;#ASMEND
	;;#ASMSTART
	v_dot2_f32_f16 v10, v3, v17, v10
	;;#ASMEND
	;; [unrolled: 13-line block ×5, first 2 shown]
	;;#ASMSTART
	v_dot2_f32_f16 v11, v90, v14, v11
	;;#ASMEND
	;;#ASMSTART
	v_dot2_f32_f16 v11, v91, v15, v11
	;;#ASMEND
	;;#ASMSTART
	v_dot2_f32_f16 v11, v92, v16, v11
	;;#ASMEND
	;;#ASMSTART
	v_dot2_f32_f16 v11, v93, v17, v11
	;;#ASMEND
	;;#ASMSTART
	v_dot2_f32_f16 v9, v90, v60, v9
	;;#ASMEND
	v_cmp_ngt_f32_e64 s25, 0x3f200000, |v12|
	;;#ASMSTART
	v_dot2_f32_f16 v9, v91, v61, v9
	;;#ASMEND
	;;#ASMSTART
	v_dot2_f32_f16 v9, v92, v62, v9
	;;#ASMEND
	;; [unrolled: 3-line block ×7, first 2 shown]
                                        ; implicit-def: $vgpr2
	s_and_saveexec_b32 s26, s25
	s_delay_alu instid0(SALU_CYCLE_1)
	s_xor_b32 s25, exec_lo, s26
	s_cbranch_execz .LBB61_11
; %bb.10:                               ;   in Loop: Header=BB61_9 Depth=1
	v_add_f32_e64 v0, |v12|, |v12|
	s_delay_alu instid0(VALU_DEP_1) | instskip(SKIP_1) | instid1(VALU_DEP_2)
	v_mul_f32_e32 v1, 0x3fb8aa3b, v0
	v_cmp_ngt_f32_e32 vcc_lo, 0xc2ce8ed0, v0
	v_rndne_f32_e32 v2, v1
	v_fma_f32 v3, 0x3fb8aa3b, v0, -v1
	s_delay_alu instid0(VALU_DEP_2) | instskip(NEXT) | instid1(VALU_DEP_2)
	v_sub_f32_e32 v1, v1, v2
	v_fmac_f32_e32 v3, 0x32a5705f, v0
	v_cvt_i32_f32_e32 v2, v2
	s_delay_alu instid0(VALU_DEP_2) | instskip(NEXT) | instid1(VALU_DEP_1)
	v_add_f32_e32 v1, v1, v3
	v_exp_f32_e32 v1, v1
	v_nop
	s_delay_alu instid0(TRANS32_DEP_1) | instskip(NEXT) | instid1(VALU_DEP_1)
	v_ldexp_f32 v1, v1, v2
	v_cndmask_b32_e32 v1, 0, v1, vcc_lo
	v_cmp_nlt_f32_e32 vcc_lo, 0x42b17218, v0
	s_delay_alu instid0(VALU_DEP_2) | instskip(NEXT) | instid1(VALU_DEP_1)
	v_cndmask_b32_e32 v0, 0x7f800000, v1, vcc_lo
	v_add_f32_e32 v0, 1.0, v0
	s_delay_alu instid0(VALU_DEP_1) | instskip(SKIP_1) | instid1(TRANS32_DEP_1)
	v_rcp_f32_e32 v0, v0
	v_nop
	v_fma_f32 v2, v0, -2.0, 1.0
.LBB61_11:                              ;   in Loop: Header=BB61_9 Depth=1
	s_and_not1_saveexec_b32 s25, s25
	s_cbranch_execz .LBB61_13
; %bb.12:                               ;   in Loop: Header=BB61_9 Depth=1
	v_mul_f32_e32 v0, v12, v12
	s_delay_alu instid0(VALU_DEP_1) | instskip(NEXT) | instid1(VALU_DEP_1)
	v_fmaak_f32 v1, s3, v0, 0x3ca908c9
	v_fmaak_f32 v1, v0, v1, 0xbd5c1c4e
	s_delay_alu instid0(VALU_DEP_1) | instskip(NEXT) | instid1(VALU_DEP_1)
	v_fmaak_f32 v1, v0, v1, 0x3e088382
	v_fmaak_f32 v1, v0, v1, 0xbeaaaa99
	s_delay_alu instid0(VALU_DEP_1) | instskip(NEXT) | instid1(VALU_DEP_1)
	v_mul_f32_e64 v1, |v12|, v1
	v_fma_f32 v2, v0, v1, |v12|
.LBB61_13:                              ;   in Loop: Header=BB61_9 Depth=1
	s_or_b32 exec_lo, exec_lo, s25
	v_add_nc_u32_e32 v0, s4, v81
	v_cmp_ngt_f32_e64 s25, 0x3f200000, |v13|
                                        ; implicit-def: $vgpr3
	global_load_u16 v4, v0, s[34:35] scale_offset
	s_wait_xcnt 0x0
	s_and_saveexec_b32 s26, s25
	s_delay_alu instid0(SALU_CYCLE_1)
	s_xor_b32 s25, exec_lo, s26
	s_cbranch_execz .LBB61_15
; %bb.14:                               ;   in Loop: Header=BB61_9 Depth=1
	v_add_f32_e64 v1, |v13|, |v13|
	s_delay_alu instid0(VALU_DEP_1) | instskip(SKIP_1) | instid1(VALU_DEP_2)
	v_mul_f32_e32 v3, 0x3fb8aa3b, v1
	v_cmp_ngt_f32_e32 vcc_lo, 0xc2ce8ed0, v1
	v_rndne_f32_e32 v5, v3
	v_fma_f32 v6, 0x3fb8aa3b, v1, -v3
	s_delay_alu instid0(VALU_DEP_2) | instskip(NEXT) | instid1(VALU_DEP_2)
	v_sub_f32_e32 v3, v3, v5
	v_fmac_f32_e32 v6, 0x32a5705f, v1
	v_cvt_i32_f32_e32 v5, v5
	s_delay_alu instid0(VALU_DEP_2) | instskip(NEXT) | instid1(VALU_DEP_1)
	v_add_f32_e32 v3, v3, v6
	v_exp_f32_e32 v3, v3
	v_nop
	s_delay_alu instid0(TRANS32_DEP_1) | instskip(NEXT) | instid1(VALU_DEP_1)
	v_ldexp_f32 v3, v3, v5
	v_cndmask_b32_e32 v3, 0, v3, vcc_lo
	v_cmp_nlt_f32_e32 vcc_lo, 0x42b17218, v1
	s_delay_alu instid0(VALU_DEP_2) | instskip(NEXT) | instid1(VALU_DEP_1)
	v_cndmask_b32_e32 v1, 0x7f800000, v3, vcc_lo
	v_add_f32_e32 v1, 1.0, v1
	s_delay_alu instid0(VALU_DEP_1) | instskip(SKIP_1) | instid1(TRANS32_DEP_1)
	v_rcp_f32_e32 v1, v1
	v_nop
	v_fma_f32 v3, v1, -2.0, 1.0
.LBB61_15:                              ;   in Loop: Header=BB61_9 Depth=1
	s_and_not1_saveexec_b32 s25, s25
	s_cbranch_execz .LBB61_17
; %bb.16:                               ;   in Loop: Header=BB61_9 Depth=1
	v_mul_f32_e32 v1, v13, v13
	s_delay_alu instid0(VALU_DEP_1) | instskip(NEXT) | instid1(VALU_DEP_1)
	v_fmaak_f32 v3, s3, v1, 0x3ca908c9
	v_fmaak_f32 v3, v1, v3, 0xbd5c1c4e
	s_delay_alu instid0(VALU_DEP_1) | instskip(NEXT) | instid1(VALU_DEP_1)
	v_fmaak_f32 v3, v1, v3, 0x3e088382
	v_fmaak_f32 v3, v1, v3, 0xbeaaaa99
	s_delay_alu instid0(VALU_DEP_1) | instskip(NEXT) | instid1(VALU_DEP_1)
	v_mul_f32_e64 v3, |v13|, v3
	v_fma_f32 v3, v1, v3, |v13|
.LBB61_17:                              ;   in Loop: Header=BB61_9 Depth=1
	s_or_b32 exec_lo, exec_lo, s25
	v_dual_ashrrev_i32 v1, 31, v0 :: v_dual_bitop2_b32 v94, 16, v73 bitop3:0x14
	v_cmp_ngt_f32_e64 s25, 0x3f200000, |v10|
                                        ; implicit-def: $vgpr6
	v_xor_b32_e32 v93, 8, v73
	v_xor_b32_e32 v92, 4, v73
	s_delay_alu instid0(VALU_DEP_4)
	v_lshl_add_u64 v[0:1], v[0:1], 1, s[34:35]
	v_cmp_gt_i32_e32 vcc_lo, 32, v94
	v_xor_b32_e32 v90, 1, v73
	global_load_u16 v5, v[0:1], off offset:64
	s_wait_xcnt 0x0
	v_bfi_b32 v0, 0x7fffffff, v2, v12
	v_bfi_b32 v1, 0x7fffffff, v3, v13
	s_wait_loadcnt 0x1
	s_wait_kmcnt 0x0
	s_delay_alu instid0(VALU_DEP_2) | instskip(SKIP_2) | instid1(VALU_DEP_2)
	v_fma_mix_f32 v63, s24, v0, v4 op_sel_hi:[0,0,1]
	v_cndmask_b32_e32 v0, v73, v94, vcc_lo
	v_cmp_gt_i32_e32 vcc_lo, 32, v93
	v_dual_cndmask_b32 v3, v73, v93 :: v_dual_lshlrev_b32 v0, 2, v0
	v_cmp_gt_i32_e32 vcc_lo, 32, v92
	s_delay_alu instid0(VALU_DEP_2) | instskip(SKIP_2) | instid1(VALU_DEP_1)
	v_lshlrev_b32_e32 v62, 2, v3
	s_wait_loadcnt 0x0
	v_fma_mix_f32 v64, s24, v1, v5 op_sel_hi:[0,0,1]
	v_dual_add_f32 v1, 0x40051340, v63 :: v_dual_add_f32 v2, 0x40051340, v64
	s_delay_alu instid0(VALU_DEP_1) | instskip(SKIP_3) | instid1(VALU_DEP_1)
	v_max3_num_f32 v1, v56, v1, v2
	ds_bpermute_b32 v2, v0, v1
	s_wait_dscnt 0x0
	v_max_num_f32_e32 v2, v2, v2
	v_max_num_f32_e32 v1, v1, v2
	ds_bpermute_b32 v2, v62, v1
	s_wait_dscnt 0x0
	v_dual_cndmask_b32 v3, v73, v92 :: v_dual_max_num_f32 v2, v2, v2
	s_delay_alu instid0(VALU_DEP_1) | instskip(SKIP_3) | instid1(VALU_DEP_1)
	v_dual_lshlrev_b32 v61, 2, v3 :: v_dual_max_num_f32 v1, v1, v2
	ds_bpermute_b32 v2, v61, v1
	s_wait_dscnt 0x0
	v_dual_max_num_f32 v2, v2, v2 :: v_dual_bitop2_b32 v91, 2, v73 bitop3:0x14
	v_cmp_gt_i32_e32 vcc_lo, 32, v91
	s_delay_alu instid0(VALU_DEP_2) | instskip(SKIP_2) | instid1(VALU_DEP_2)
	v_max_num_f32_e32 v1, v1, v2
	v_cndmask_b32_e32 v3, v73, v91, vcc_lo
	v_cmp_gt_i32_e32 vcc_lo, 32, v90
	v_dual_cndmask_b32 v3, v73, v90 :: v_dual_lshlrev_b32 v60, 2, v3
	ds_bpermute_b32 v2, v60, v1
	s_wait_dscnt 0x0
	v_dual_max_num_f32 v2, v2, v2 :: v_dual_lshlrev_b32 v3, 2, v3
	s_delay_alu instid0(VALU_DEP_1) | instskip(SKIP_2) | instid1(SALU_CYCLE_1)
	v_max_num_f32_e32 v1, v1, v2
	ds_bpermute_b32 v2, v3, v1
	s_and_saveexec_b32 s26, s25
	s_xor_b32 s25, exec_lo, s26
	s_cbranch_execz .LBB61_19
; %bb.18:                               ;   in Loop: Header=BB61_9 Depth=1
	v_add_f32_e64 v6, |v10|, |v10|
	s_delay_alu instid0(VALU_DEP_1) | instskip(SKIP_1) | instid1(VALU_DEP_2)
	v_mul_f32_e32 v7, 0x3fb8aa3b, v6
	v_cmp_ngt_f32_e32 vcc_lo, 0xc2ce8ed0, v6
	v_rndne_f32_e32 v12, v7
	v_fma_f32 v13, 0x3fb8aa3b, v6, -v7
	s_delay_alu instid0(VALU_DEP_2) | instskip(NEXT) | instid1(VALU_DEP_2)
	v_sub_f32_e32 v7, v7, v12
	v_fmac_f32_e32 v13, 0x32a5705f, v6
	v_cvt_i32_f32_e32 v12, v12
	s_delay_alu instid0(VALU_DEP_2) | instskip(NEXT) | instid1(VALU_DEP_1)
	v_add_f32_e32 v7, v7, v13
	v_exp_f32_e32 v7, v7
	v_nop
	s_delay_alu instid0(TRANS32_DEP_1) | instskip(NEXT) | instid1(VALU_DEP_1)
	v_ldexp_f32 v7, v7, v12
	v_cndmask_b32_e32 v7, 0, v7, vcc_lo
	v_cmp_nlt_f32_e32 vcc_lo, 0x42b17218, v6
	s_delay_alu instid0(VALU_DEP_2) | instskip(NEXT) | instid1(VALU_DEP_1)
	v_cndmask_b32_e32 v6, 0x7f800000, v7, vcc_lo
	v_add_f32_e32 v6, 1.0, v6
	s_delay_alu instid0(VALU_DEP_1) | instskip(SKIP_1) | instid1(TRANS32_DEP_1)
	v_rcp_f32_e32 v6, v6
	v_nop
	v_fma_f32 v6, v6, -2.0, 1.0
.LBB61_19:                              ;   in Loop: Header=BB61_9 Depth=1
	s_and_not1_saveexec_b32 s25, s25
	s_cbranch_execz .LBB61_21
; %bb.20:                               ;   in Loop: Header=BB61_9 Depth=1
	v_mul_f32_e32 v6, v10, v10
	s_delay_alu instid0(VALU_DEP_1) | instskip(NEXT) | instid1(VALU_DEP_1)
	v_fmaak_f32 v7, s3, v6, 0x3ca908c9
	v_fmaak_f32 v7, v6, v7, 0xbd5c1c4e
	s_delay_alu instid0(VALU_DEP_1) | instskip(NEXT) | instid1(VALU_DEP_1)
	v_fmaak_f32 v7, v6, v7, 0x3e088382
	v_fmaak_f32 v7, v6, v7, 0xbeaaaa99
	s_delay_alu instid0(VALU_DEP_1) | instskip(NEXT) | instid1(VALU_DEP_1)
	v_mul_f32_e64 v7, |v10|, v7
	v_fma_f32 v6, v6, v7, |v10|
.LBB61_21:                              ;   in Loop: Header=BB61_9 Depth=1
	s_or_b32 exec_lo, exec_lo, s25
	v_cmp_ngt_f32_e64 s25, 0x3f200000, |v11|
                                        ; implicit-def: $vgpr7
	s_and_saveexec_b32 s26, s25
	s_delay_alu instid0(SALU_CYCLE_1)
	s_xor_b32 s25, exec_lo, s26
	s_cbranch_execz .LBB61_23
; %bb.22:                               ;   in Loop: Header=BB61_9 Depth=1
	v_add_f32_e64 v7, |v11|, |v11|
	s_delay_alu instid0(VALU_DEP_1) | instskip(SKIP_1) | instid1(VALU_DEP_2)
	v_mul_f32_e32 v12, 0x3fb8aa3b, v7
	v_cmp_ngt_f32_e32 vcc_lo, 0xc2ce8ed0, v7
	v_rndne_f32_e32 v13, v12
	v_fma_f32 v14, 0x3fb8aa3b, v7, -v12
	s_delay_alu instid0(VALU_DEP_2) | instskip(NEXT) | instid1(VALU_DEP_2)
	v_sub_f32_e32 v12, v12, v13
	v_fmac_f32_e32 v14, 0x32a5705f, v7
	v_cvt_i32_f32_e32 v13, v13
	s_delay_alu instid0(VALU_DEP_2) | instskip(NEXT) | instid1(VALU_DEP_1)
	v_add_f32_e32 v12, v12, v14
	v_exp_f32_e32 v12, v12
	v_nop
	s_delay_alu instid0(TRANS32_DEP_1) | instskip(NEXT) | instid1(VALU_DEP_1)
	v_ldexp_f32 v12, v12, v13
	v_cndmask_b32_e32 v12, 0, v12, vcc_lo
	v_cmp_nlt_f32_e32 vcc_lo, 0x42b17218, v7
	s_delay_alu instid0(VALU_DEP_2) | instskip(NEXT) | instid1(VALU_DEP_1)
	v_cndmask_b32_e32 v7, 0x7f800000, v12, vcc_lo
	v_add_f32_e32 v7, 1.0, v7
	s_delay_alu instid0(VALU_DEP_1) | instskip(SKIP_1) | instid1(TRANS32_DEP_1)
	v_rcp_f32_e32 v7, v7
	v_nop
	v_fma_f32 v7, v7, -2.0, 1.0
.LBB61_23:                              ;   in Loop: Header=BB61_9 Depth=1
	s_and_not1_saveexec_b32 s25, s25
	s_cbranch_execz .LBB61_25
; %bb.24:                               ;   in Loop: Header=BB61_9 Depth=1
	v_mul_f32_e32 v7, v11, v11
	s_delay_alu instid0(VALU_DEP_1) | instskip(NEXT) | instid1(VALU_DEP_1)
	v_fmaak_f32 v12, s3, v7, 0x3ca908c9
	v_fmaak_f32 v12, v7, v12, 0xbd5c1c4e
	s_delay_alu instid0(VALU_DEP_1) | instskip(NEXT) | instid1(VALU_DEP_1)
	v_fmaak_f32 v12, v7, v12, 0x3e088382
	v_fmaak_f32 v12, v7, v12, 0xbeaaaa99
	s_delay_alu instid0(VALU_DEP_1) | instskip(NEXT) | instid1(VALU_DEP_1)
	v_mul_f32_e64 v12, |v11|, v12
	v_fma_f32 v7, v7, v12, |v11|
.LBB61_25:                              ;   in Loop: Header=BB61_9 Depth=1
	s_or_b32 exec_lo, exec_lo, s25
	v_cvt_f32_f16_e32 v67, v4
	v_cvt_f32_f16_e32 v65, v5
	v_bfi_b32 v4, 0x7fffffff, v6, v10
	v_bfi_b32 v5, 0x7fffffff, v7, v11
	v_cmp_ngt_f32_e64 s25, 0x3f200000, |v8|
	s_delay_alu instid0(VALU_DEP_2) | instskip(NEXT) | instid1(VALU_DEP_1)
	v_dual_fma_f32 v66, s24, v4, v67 :: v_dual_fma_f32 v96, s24, v5, v65
	v_dual_add_f32 v4, 0x40051340, v66 :: v_dual_add_f32 v5, 0x40051340, v96
	s_delay_alu instid0(VALU_DEP_1) | instskip(SKIP_3) | instid1(VALU_DEP_1)
	v_max3_num_f32 v4, v58, v4, v5
	ds_bpermute_b32 v5, v0, v4
	s_wait_dscnt 0x0
	v_max_num_f32_e32 v5, v5, v5
	v_max_num_f32_e32 v4, v4, v5
	ds_bpermute_b32 v5, v62, v4
	s_wait_dscnt 0x0
	v_max_num_f32_e32 v5, v5, v5
	s_delay_alu instid0(VALU_DEP_1) | instskip(SKIP_3) | instid1(VALU_DEP_1)
	v_max_num_f32_e32 v4, v4, v5
	ds_bpermute_b32 v5, v61, v4
	s_wait_dscnt 0x0
	v_max_num_f32_e32 v5, v5, v5
	v_max_num_f32_e32 v4, v4, v5
	ds_bpermute_b32 v5, v60, v4
	s_wait_dscnt 0x0
	v_max_num_f32_e32 v5, v5, v5
	s_delay_alu instid0(VALU_DEP_1) | instskip(SKIP_2) | instid1(SALU_CYCLE_1)
	v_max_num_f32_e32 v95, v4, v5
                                        ; implicit-def: $vgpr4
	ds_bpermute_b32 v99, v3, v95
	s_and_saveexec_b32 s26, s25
	s_xor_b32 s25, exec_lo, s26
	s_cbranch_execz .LBB61_27
; %bb.26:                               ;   in Loop: Header=BB61_9 Depth=1
	v_add_f32_e64 v4, |v8|, |v8|
	s_delay_alu instid0(VALU_DEP_1) | instskip(SKIP_1) | instid1(VALU_DEP_2)
	v_mul_f32_e32 v5, 0x3fb8aa3b, v4
	v_cmp_ngt_f32_e32 vcc_lo, 0xc2ce8ed0, v4
	v_rndne_f32_e32 v6, v5
	v_fma_f32 v7, 0x3fb8aa3b, v4, -v5
	s_delay_alu instid0(VALU_DEP_2) | instskip(NEXT) | instid1(VALU_DEP_2)
	v_sub_f32_e32 v5, v5, v6
	v_fmac_f32_e32 v7, 0x32a5705f, v4
	v_cvt_i32_f32_e32 v6, v6
	s_delay_alu instid0(VALU_DEP_2) | instskip(NEXT) | instid1(VALU_DEP_1)
	v_add_f32_e32 v5, v5, v7
	v_exp_f32_e32 v5, v5
	v_nop
	s_delay_alu instid0(TRANS32_DEP_1) | instskip(NEXT) | instid1(VALU_DEP_1)
	v_ldexp_f32 v5, v5, v6
	v_cndmask_b32_e32 v5, 0, v5, vcc_lo
	v_cmp_nlt_f32_e32 vcc_lo, 0x42b17218, v4
	s_delay_alu instid0(VALU_DEP_2) | instskip(NEXT) | instid1(VALU_DEP_1)
	v_cndmask_b32_e32 v4, 0x7f800000, v5, vcc_lo
	v_add_f32_e32 v4, 1.0, v4
	s_delay_alu instid0(VALU_DEP_1) | instskip(SKIP_1) | instid1(TRANS32_DEP_1)
	v_rcp_f32_e32 v4, v4
	v_nop
	v_fma_f32 v4, v4, -2.0, 1.0
.LBB61_27:                              ;   in Loop: Header=BB61_9 Depth=1
	s_and_not1_saveexec_b32 s25, s25
	s_cbranch_execz .LBB61_29
; %bb.28:                               ;   in Loop: Header=BB61_9 Depth=1
	v_mul_f32_e32 v4, v8, v8
	s_delay_alu instid0(VALU_DEP_1) | instskip(NEXT) | instid1(VALU_DEP_1)
	v_fmaak_f32 v5, s3, v4, 0x3ca908c9
	v_fmaak_f32 v5, v4, v5, 0xbd5c1c4e
	s_delay_alu instid0(VALU_DEP_1) | instskip(NEXT) | instid1(VALU_DEP_1)
	v_fmaak_f32 v5, v4, v5, 0x3e088382
	v_fmaak_f32 v5, v4, v5, 0xbeaaaa99
	s_delay_alu instid0(VALU_DEP_1) | instskip(NEXT) | instid1(VALU_DEP_1)
	v_mul_f32_e64 v5, |v8|, v5
	v_fma_f32 v4, v4, v5, |v8|
.LBB61_29:                              ;   in Loop: Header=BB61_9 Depth=1
	s_or_b32 exec_lo, exec_lo, s25
	v_cmp_ngt_f32_e64 s25, 0x3f200000, |v9|
                                        ; implicit-def: $vgpr5
	s_and_saveexec_b32 s26, s25
	s_delay_alu instid0(SALU_CYCLE_1)
	s_xor_b32 s25, exec_lo, s26
	s_cbranch_execz .LBB61_31
; %bb.30:                               ;   in Loop: Header=BB61_9 Depth=1
	v_add_f32_e64 v5, |v9|, |v9|
	s_delay_alu instid0(VALU_DEP_1) | instskip(SKIP_1) | instid1(VALU_DEP_2)
	v_mul_f32_e32 v6, 0x3fb8aa3b, v5
	v_cmp_ngt_f32_e32 vcc_lo, 0xc2ce8ed0, v5
	v_rndne_f32_e32 v7, v6
	v_fma_f32 v10, 0x3fb8aa3b, v5, -v6
	s_delay_alu instid0(VALU_DEP_2) | instskip(NEXT) | instid1(VALU_DEP_2)
	v_sub_f32_e32 v6, v6, v7
	v_fmac_f32_e32 v10, 0x32a5705f, v5
	v_cvt_i32_f32_e32 v7, v7
	s_delay_alu instid0(VALU_DEP_2) | instskip(NEXT) | instid1(VALU_DEP_1)
	v_add_f32_e32 v6, v6, v10
	v_exp_f32_e32 v6, v6
	v_nop
	s_delay_alu instid0(TRANS32_DEP_1) | instskip(NEXT) | instid1(VALU_DEP_1)
	v_ldexp_f32 v6, v6, v7
	v_cndmask_b32_e32 v6, 0, v6, vcc_lo
	v_cmp_nlt_f32_e32 vcc_lo, 0x42b17218, v5
	s_delay_alu instid0(VALU_DEP_2) | instskip(NEXT) | instid1(VALU_DEP_1)
	v_cndmask_b32_e32 v5, 0x7f800000, v6, vcc_lo
	v_add_f32_e32 v5, 1.0, v5
	s_delay_alu instid0(VALU_DEP_1) | instskip(SKIP_1) | instid1(TRANS32_DEP_1)
	v_rcp_f32_e32 v5, v5
	v_nop
	v_fma_f32 v5, v5, -2.0, 1.0
.LBB61_31:                              ;   in Loop: Header=BB61_9 Depth=1
	s_and_not1_saveexec_b32 s25, s25
	s_cbranch_execz .LBB61_33
; %bb.32:                               ;   in Loop: Header=BB61_9 Depth=1
	v_mul_f32_e32 v5, v9, v9
	s_delay_alu instid0(VALU_DEP_1) | instskip(NEXT) | instid1(VALU_DEP_1)
	v_fmaak_f32 v6, s3, v5, 0x3ca908c9
	v_fmaak_f32 v6, v5, v6, 0xbd5c1c4e
	s_delay_alu instid0(VALU_DEP_1) | instskip(NEXT) | instid1(VALU_DEP_1)
	v_fmaak_f32 v6, v5, v6, 0x3e088382
	v_fmaak_f32 v6, v5, v6, 0xbeaaaa99
	s_delay_alu instid0(VALU_DEP_1) | instskip(NEXT) | instid1(VALU_DEP_1)
	v_mul_f32_e64 v6, |v9|, v6
	v_fma_f32 v5, v5, v6, |v9|
.LBB61_33:                              ;   in Loop: Header=BB61_9 Depth=1
	s_or_b32 exec_lo, exec_lo, s25
	v_bfi_b32 v4, 0x7fffffff, v4, v8
	s_delay_alu instid0(VALU_DEP_2) | instskip(SKIP_1) | instid1(VALU_DEP_2)
	v_bfi_b32 v5, 0x7fffffff, v5, v9
	v_cmp_ngt_f32_e64 s25, 0x3f200000, |v104|
                                        ; implicit-def: $vgpr102
	v_dual_fma_f32 v97, s24, v4, v67 :: v_dual_fma_f32 v98, s24, v5, v65
	s_delay_alu instid0(VALU_DEP_1) | instskip(NEXT) | instid1(VALU_DEP_1)
	v_dual_add_f32 v4, 0x40051340, v97 :: v_dual_add_f32 v5, 0x40051340, v98
	v_max3_num_f32 v4, v57, v4, v5
	ds_bpermute_b32 v5, v0, v4
	s_wait_dscnt 0x0
	v_max_num_f32_e32 v5, v5, v5
	s_delay_alu instid0(VALU_DEP_1) | instskip(SKIP_3) | instid1(VALU_DEP_1)
	v_max_num_f32_e32 v4, v4, v5
	ds_bpermute_b32 v5, v62, v4
	s_wait_dscnt 0x0
	v_max_num_f32_e32 v5, v5, v5
	v_max_num_f32_e32 v4, v4, v5
	ds_bpermute_b32 v5, v61, v4
	s_wait_dscnt 0x0
	v_max_num_f32_e32 v5, v5, v5
	s_delay_alu instid0(VALU_DEP_1) | instskip(SKIP_3) | instid1(VALU_DEP_1)
	v_max_num_f32_e32 v4, v4, v5
	ds_bpermute_b32 v5, v60, v4
	s_wait_dscnt 0x0
	v_max_num_f32_e32 v5, v5, v5
	v_max_num_f32_e32 v100, v4, v5
	ds_bpermute_b32 v101, v3, v100
	s_and_saveexec_b32 s26, s25
	s_delay_alu instid0(SALU_CYCLE_1)
	s_xor_b32 s25, exec_lo, s26
	s_cbranch_execz .LBB61_35
; %bb.34:                               ;   in Loop: Header=BB61_9 Depth=1
	v_add_f32_e64 v4, |v104|, |v104|
	s_delay_alu instid0(VALU_DEP_1) | instskip(SKIP_1) | instid1(VALU_DEP_2)
	v_mul_f32_e32 v5, 0x3fb8aa3b, v4
	v_cmp_ngt_f32_e32 vcc_lo, 0xc2ce8ed0, v4
	v_rndne_f32_e32 v6, v5
	v_fma_f32 v7, 0x3fb8aa3b, v4, -v5
	s_delay_alu instid0(VALU_DEP_2) | instskip(NEXT) | instid1(VALU_DEP_2)
	v_sub_f32_e32 v5, v5, v6
	v_fmac_f32_e32 v7, 0x32a5705f, v4
	v_cvt_i32_f32_e32 v6, v6
	s_delay_alu instid0(VALU_DEP_2) | instskip(NEXT) | instid1(VALU_DEP_1)
	v_add_f32_e32 v5, v5, v7
	v_exp_f32_e32 v5, v5
	v_nop
	s_delay_alu instid0(TRANS32_DEP_1) | instskip(NEXT) | instid1(VALU_DEP_1)
	v_ldexp_f32 v5, v5, v6
	v_cndmask_b32_e32 v5, 0, v5, vcc_lo
	v_cmp_nlt_f32_e32 vcc_lo, 0x42b17218, v4
	s_delay_alu instid0(VALU_DEP_2) | instskip(NEXT) | instid1(VALU_DEP_1)
	v_cndmask_b32_e32 v4, 0x7f800000, v5, vcc_lo
	v_add_f32_e32 v4, 1.0, v4
	s_delay_alu instid0(VALU_DEP_1) | instskip(SKIP_1) | instid1(TRANS32_DEP_1)
	v_rcp_f32_e32 v4, v4
	v_nop
	v_fma_f32 v102, v4, -2.0, 1.0
.LBB61_35:                              ;   in Loop: Header=BB61_9 Depth=1
	s_and_not1_saveexec_b32 s25, s25
	s_cbranch_execz .LBB61_37
; %bb.36:                               ;   in Loop: Header=BB61_9 Depth=1
	v_mul_f32_e32 v4, v104, v104
	s_delay_alu instid0(VALU_DEP_1) | instskip(NEXT) | instid1(VALU_DEP_1)
	v_fmaak_f32 v5, s3, v4, 0x3ca908c9
	v_fmaak_f32 v5, v4, v5, 0xbd5c1c4e
	s_delay_alu instid0(VALU_DEP_1) | instskip(NEXT) | instid1(VALU_DEP_1)
	v_fmaak_f32 v5, v4, v5, 0x3e088382
	v_fmaak_f32 v5, v4, v5, 0xbeaaaa99
	s_delay_alu instid0(VALU_DEP_1) | instskip(NEXT) | instid1(VALU_DEP_1)
	v_mul_f32_e64 v5, |v104|, v5
	v_fma_f32 v102, v4, v5, |v104|
.LBB61_37:                              ;   in Loop: Header=BB61_9 Depth=1
	s_or_b32 exec_lo, exec_lo, s25
	v_cmp_ngt_f32_e64 s25, 0x3f200000, |v105|
                                        ; implicit-def: $vgpr103
	s_and_saveexec_b32 s26, s25
	s_delay_alu instid0(SALU_CYCLE_1)
	s_xor_b32 s25, exec_lo, s26
	s_cbranch_execz .LBB61_39
; %bb.38:                               ;   in Loop: Header=BB61_9 Depth=1
	v_add_f32_e64 v4, |v105|, |v105|
	s_delay_alu instid0(VALU_DEP_1) | instskip(SKIP_1) | instid1(VALU_DEP_2)
	v_mul_f32_e32 v5, 0x3fb8aa3b, v4
	v_cmp_ngt_f32_e32 vcc_lo, 0xc2ce8ed0, v4
	v_rndne_f32_e32 v6, v5
	v_fma_f32 v7, 0x3fb8aa3b, v4, -v5
	s_delay_alu instid0(VALU_DEP_2) | instskip(NEXT) | instid1(VALU_DEP_2)
	v_sub_f32_e32 v5, v5, v6
	v_fmac_f32_e32 v7, 0x32a5705f, v4
	v_cvt_i32_f32_e32 v6, v6
	s_delay_alu instid0(VALU_DEP_2) | instskip(NEXT) | instid1(VALU_DEP_1)
	v_add_f32_e32 v5, v5, v7
	v_exp_f32_e32 v5, v5
	v_nop
	s_delay_alu instid0(TRANS32_DEP_1) | instskip(NEXT) | instid1(VALU_DEP_1)
	v_ldexp_f32 v5, v5, v6
	v_cndmask_b32_e32 v5, 0, v5, vcc_lo
	v_cmp_nlt_f32_e32 vcc_lo, 0x42b17218, v4
	s_delay_alu instid0(VALU_DEP_2) | instskip(NEXT) | instid1(VALU_DEP_1)
	v_cndmask_b32_e32 v4, 0x7f800000, v5, vcc_lo
	v_add_f32_e32 v4, 1.0, v4
	s_delay_alu instid0(VALU_DEP_1) | instskip(SKIP_1) | instid1(TRANS32_DEP_1)
	v_rcp_f32_e32 v4, v4
	v_nop
	v_fma_f32 v103, v4, -2.0, 1.0
.LBB61_39:                              ;   in Loop: Header=BB61_9 Depth=1
	s_and_not1_saveexec_b32 s25, s25
	s_cbranch_execz .LBB61_41
; %bb.40:                               ;   in Loop: Header=BB61_9 Depth=1
	v_mul_f32_e32 v4, v105, v105
	s_delay_alu instid0(VALU_DEP_1) | instskip(NEXT) | instid1(VALU_DEP_1)
	v_fmaak_f32 v5, s3, v4, 0x3ca908c9
	v_fmaak_f32 v5, v4, v5, 0xbd5c1c4e
	s_delay_alu instid0(VALU_DEP_1) | instskip(NEXT) | instid1(VALU_DEP_1)
	v_fmaak_f32 v5, v4, v5, 0x3e088382
	v_fmaak_f32 v5, v4, v5, 0xbeaaaa99
	s_delay_alu instid0(VALU_DEP_1) | instskip(NEXT) | instid1(VALU_DEP_1)
	v_mul_f32_e64 v5, |v105|, v5
	v_fma_f32 v103, v4, v5, |v105|
.LBB61_41:                              ;   in Loop: Header=BB61_9 Depth=1
	s_or_b32 exec_lo, exec_lo, s25
	s_mul_u64 s[26:27], s[4:5], s[10:11]
	v_bfi_b32 v102, 0x7fffffff, v102, v104
	s_lshl_b64 s[26:27], s[26:27], 2
	v_lshlrev_b32_e32 v40, 2, v68
	s_add_nc_u64 s[26:27], s[8:9], s[26:27]
	s_wait_dscnt 0x0
	v_add_nc_u64_e32 v[4:5], s[26:27], v[48:49]
	v_add_nc_u64_e32 v[6:7], s[26:27], v[50:51]
	;; [unrolled: 1-line block ×4, first 2 shown]
	v_fmac_f32_e32 v67, s24, v102
	s_barrier_signal -1
	s_barrier_wait -1
	v_add_nc_u64_e32 v[106:107], v[4:5], v[40:41]
	v_add_nc_u64_e32 v[108:109], v[6:7], v[40:41]
	;; [unrolled: 1-line block ×4, first 2 shown]
	v_bfi_b32 v103, 0x7fffffff, v103, v105
	v_max_num_f32_e32 v2, v2, v2
	s_clause 0x3
	global_load_b128 v[4:7], v[106:107], off
	global_load_b128 v[8:11], v[108:109], off
	global_load_b128 v[12:15], v[110:111], off
	global_load_b128 v[16:19], v[112:113], off
	v_max_num_f32_e32 v101, v101, v101
	s_or_b32 s26, s4, 32
	v_fmac_f32_e32 v65, s24, v103
	v_add_f32_e32 v102, 0x40051340, v67
	v_add_nc_u32_e32 v104, v82, v72
	s_ashr_i32 s27, s26, 31
	s_delay_alu instid0(VALU_DEP_3) | instskip(SKIP_1) | instid1(SALU_CYCLE_1)
	v_add_f32_e32 v103, 0x40051340, v65
	s_mul_u64 s[26:27], s[26:27], s[10:11]
	s_lshl_b64 s[26:27], s[26:27], 2
	s_delay_alu instid0(VALU_DEP_1) | instskip(SKIP_4) | instid1(VALU_DEP_1)
	v_max3_num_f32 v102, v59, v102, v103
	s_add_nc_u64 s[26:27], s[8:9], s[26:27]
	ds_bpermute_b32 v103, v0, v102
	v_dual_max_num_f32 v0, v1, v1 :: v_dual_max_num_f32 v1, v99, v99
	v_dual_max_num_f32 v99, v95, v95 :: v_dual_max_num_f32 v100, v100, v100
	;; [unrolled: 1-line block ×3, first 2 shown]
	s_delay_alu instid0(VALU_DEP_2) | instskip(NEXT) | instid1(VALU_DEP_2)
	v_dual_max_num_f32 v2, v100, v101 :: v_dual_add_nc_u32 v95, 0x800, v72
	v_dual_sub_f32 v56, v56, v0 :: v_dual_sub_f32 v63, v63, v0
	s_delay_alu instid0(VALU_DEP_3) | instskip(NEXT) | instid1(VALU_DEP_3)
	v_dual_sub_f32 v64, v64, v0 :: v_dual_sub_f32 v58, v58, v1
	v_dual_sub_f32 v99, v57, v2 :: v_dual_sub_f32 v98, v98, v2
	s_delay_alu instid0(VALU_DEP_3) | instskip(NEXT) | instid1(VALU_DEP_3)
	v_dual_sub_f32 v97, v97, v2 :: v_dual_mul_f32 v100, 0x3fb8aa3b, v63
	v_mul_f32_e32 v101, 0x3fb8aa3b, v64
	s_wait_dscnt 0x0
	s_wait_xcnt 0x2
	v_dual_max_num_f32 v57, v103, v103 :: v_dual_mul_f32 v108, 0x3fb8aa3b, v98
	v_dual_sub_f32 v66, v66, v1 :: v_dual_sub_f32 v96, v96, v1
	s_wait_xcnt 0x1
	v_fma_f32 v110, 0x3fb8aa3b, v63, -v100
	s_delay_alu instid0(VALU_DEP_3)
	v_max_num_f32_e32 v57, v102, v57
	v_dual_mul_f32 v103, 0x3fb8aa3b, v56 :: v_dual_mul_f32 v106, 0x3fb8aa3b, v58
	v_dual_mul_f32 v105, 0x3fb8aa3b, v66 :: v_dual_mul_f32 v102, 0x3fb8aa3b, v96
	ds_bpermute_b32 v62, v62, v57
	v_mul_f32_e32 v107, 0x3fb8aa3b, v97
	v_rndne_f32_e32 v111, v100
	v_fma_f32 v124, 0x3fb8aa3b, v98, -v108
	v_fma_f32 v118, 0x3fb8aa3b, v96, -v102
	s_wait_xcnt 0x0
	v_fma_f32 v112, 0x3fb8aa3b, v64, -v101
	v_rndne_f32_e32 v113, v101
	v_mul_f32_e32 v109, 0x3fb8aa3b, v99
	v_fma_f32 v114, 0x3fb8aa3b, v56, -v103
	v_rndne_f32_e32 v115, v103
	v_fma_f32 v116, 0x3fb8aa3b, v66, -v105
	v_rndne_f32_e32 v117, v105
	v_rndne_f32_e32 v121, v106
	v_sub_f32_e32 v100, v100, v111
	v_rndne_f32_e32 v119, v102
	v_fma_f32 v120, 0x3fb8aa3b, v58, -v106
	v_dual_fmac_f32 v112, 0x32a5705f, v64 :: v_dual_sub_f32 v103, v103, v115
	v_sub_f32_e32 v105, v105, v117
	v_rndne_f32_e32 v125, v108
	s_wait_dscnt 0x0
	v_max_num_f32_e32 v62, v62, v62
	v_fmac_f32_e32 v110, 0x32a5705f, v63
	v_fma_f32 v122, 0x3fb8aa3b, v97, -v107
	v_rndne_f32_e32 v123, v107
	s_delay_alu instid0(VALU_DEP_4)
	v_dual_fmac_f32 v114, 0x32a5705f, v56 :: v_dual_max_num_f32 v57, v57, v62
	v_sub_f32_e32 v62, v101, v113
	v_rndne_f32_e32 v127, v109
	v_fmac_f32_e32 v116, 0x32a5705f, v66
	v_dual_sub_f32 v106, v106, v121 :: v_dual_add_f32 v100, v100, v110
	ds_bpermute_b32 v61, v61, v57
	v_fmac_f32_e32 v118, 0x32a5705f, v96
	v_fma_f32 v126, 0x3fb8aa3b, v99, -v109
	v_dual_sub_f32 v102, v102, v119 :: v_dual_sub_f32 v108, v108, v125
	v_dual_sub_f32 v107, v107, v123 :: v_dual_fmac_f32 v122, 0x32a5705f, v97
	v_dual_add_f32 v103, v103, v114 :: v_dual_sub_f32 v109, v109, v127
	v_dual_fmac_f32 v120, 0x32a5705f, v58 :: v_dual_add_f32 v105, v105, v116
	v_add_f32_e32 v62, v62, v112
	v_exp_f32_e32 v100, v100
	v_cvt_i32_f32_e32 v111, v111
	v_fmac_f32_e32 v126, 0x32a5705f, v99
	v_exp_f32_e32 v103, v103
	v_exp_f32_e32 v105, v105
	v_cvt_i32_f32_e32 v101, v113
	v_cvt_i32_f32_e32 v113, v115
	;; [unrolled: 1-line block ×3, first 2 shown]
	s_wait_dscnt 0x0
	v_dual_max_num_f32 v61, v61, v61 :: v_dual_fmac_f32 v124, 0x32a5705f, v98
	v_ldexp_f32 v100, v100, v111
	v_cmp_ngt_f32_e32 vcc_lo, 0xc2ce8ed0, v63
	v_cvt_i32_f32_e32 v117, v119
	s_delay_alu instid0(VALU_DEP_4)
	v_dual_max_num_f32 v57, v57, v61 :: v_dual_add_f32 v61, v102, v118
	v_dual_add_f32 v102, v106, v120 :: v_dual_add_f32 v106, v107, v122
	v_exp_f32_e32 v62, v62
	ds_bpermute_b32 v60, v60, v57
	v_exp_f32_e32 v61, v61
	v_cvt_i32_f32_e32 v119, v121
	v_exp_f32_e32 v106, v106
	v_cvt_i32_f32_e32 v121, v123
	v_cvt_i32_f32_e32 v123, v125
	v_ldexp_f32 v62, v62, v101
	v_ldexp_f32 v101, v103, v113
	;; [unrolled: 1-line block ×3, first 2 shown]
	v_cndmask_b32_e32 v100, 0, v100, vcc_lo
	v_cmp_ngt_f32_e32 vcc_lo, 0xc2ce8ed0, v64
	v_dual_add_f32 v107, v108, v124 :: v_dual_add_f32 v108, v109, v126
	v_cvt_i32_f32_e32 v125, v127
	v_ldexp_f32 v61, v61, v117
	v_cndmask_b32_e32 v62, 0, v62, vcc_lo
	s_delay_alu instid0(VALU_DEP_4)
	v_exp_f32_e32 v107, v107
	v_exp_f32_e32 v108, v108
	v_cmp_ngt_f32_e32 vcc_lo, 0xc2ce8ed0, v56
	v_ldexp_f32 v105, v106, v121
	s_wait_dscnt 0x0
	v_max_num_f32_e32 v60, v60, v60
	v_exp_f32_e32 v102, v102
	v_ldexp_f32 v106, v107, v123
	v_ldexp_f32 v107, v108, v125
	s_delay_alu instid0(VALU_DEP_3) | instskip(SKIP_1) | instid1(TRANS32_DEP_1)
	v_dual_max_num_f32 v108, v57, v60 :: v_dual_cndmask_b32 v57, 0, v101
	v_cmp_ngt_f32_e32 vcc_lo, 0xc2ce8ed0, v66
	v_ldexp_f32 v102, v102, v119
	v_cndmask_b32_e32 v101, 0, v103, vcc_lo
	v_cmp_ngt_f32_e32 vcc_lo, 0xc2ce8ed0, v96
	v_cndmask_b32_e32 v103, 0, v61, vcc_lo
	v_cmp_ngt_f32_e32 vcc_lo, 0xc2ce8ed0, v58
	ds_bpermute_b32 v3, v3, v108
	v_cndmask_b32_e32 v102, 0, v102, vcc_lo
	v_cmp_ngt_f32_e32 vcc_lo, 0xc2ce8ed0, v97
	v_cndmask_b32_e32 v105, 0, v105, vcc_lo
	v_cmp_ngt_f32_e32 vcc_lo, 0xc2ce8ed0, v98
	v_cndmask_b32_e32 v106, 0, v106, vcc_lo
	v_cmp_ngt_f32_e32 vcc_lo, 0xc2ce8ed0, v99
	s_wait_dscnt 0x0
	v_max_num_f32_e32 v3, v3, v3
	v_cndmask_b32_e32 v107, 0, v107, vcc_lo
	v_cmp_nlt_f32_e32 vcc_lo, 0x42b17218, v63
	s_delay_alu instid0(VALU_DEP_3) | instskip(SKIP_1) | instid1(VALU_DEP_2)
	v_dual_max_num_f32 v3, v108, v3 :: v_dual_cndmask_b32 v60, 0x7f800000, v100
	v_cmp_nlt_f32_e32 vcc_lo, 0x42b17218, v64
	v_sub_f32_e32 v67, v67, v3
	v_dual_sub_f32 v59, v59, v3 :: v_dual_cndmask_b32 v62, 0x7f800000, v62
	v_cmp_nlt_f32_e32 vcc_lo, 0x42b17218, v56
	v_cndmask_b32_e32 v56, 0x7f800000, v57, vcc_lo
	v_cmp_nlt_f32_e32 vcc_lo, 0x42b17218, v66
	v_cndmask_b32_e32 v61, 0x7f800000, v101, vcc_lo
	v_cmp_nlt_f32_e32 vcc_lo, 0x42b17218, v96
	v_sub_f32_e32 v101, v65, v3
	v_mul_f32_e32 v65, 0x3fb8aa3b, v67
	v_cndmask_b32_e32 v63, 0x7f800000, v103, vcc_lo
	v_cmp_nlt_f32_e32 vcc_lo, 0x42b17218, v58
	s_delay_alu instid0(VALU_DEP_4)
	v_mul_f32_e32 v103, 0x3fb8aa3b, v101
	v_cndmask_b32_e32 v57, 0x7f800000, v102, vcc_lo
	v_cmp_nlt_f32_e32 vcc_lo, 0x42b17218, v97
	v_mul_f32_e32 v102, 0x3fb8aa3b, v59
	v_cvt_f16_f32_e32 v97, v56
	v_fma_f32 v109, 0x3fb8aa3b, v101, -v103
	v_rndne_f32_e32 v110, v103
	v_cndmask_b32_e32 v64, 0x7f800000, v105, vcc_lo
	v_cmp_nlt_f32_e32 vcc_lo, 0x42b17218, v99
	v_fma_f32 v105, 0x3fb8aa3b, v67, -v65
	v_rndne_f32_e32 v108, v102
	v_and_b32_e32 v97, 0xffff, v97
	v_dual_sub_f32 v103, v103, v110 :: v_dual_cndmask_b32 v58, 0x7f800000, v107
	v_cmp_nlt_f32_e32 vcc_lo, 0x42b17218, v98
	v_fma_f32 v107, 0x3fb8aa3b, v59, -v102
	v_dual_fmac_f32 v105, 0x32a5705f, v67 :: v_dual_sub_f32 v102, v102, v108
	v_mul_u32_u24_e32 v116, 0x10001, v97
	v_cndmask_b32_e32 v66, 0x7f800000, v106, vcc_lo
	v_rndne_f32_e32 v106, v65
	v_fmac_f32_e32 v107, 0x32a5705f, v59
	v_cmp_ngt_f32_e32 vcc_lo, 0xc2ce8ed0, v59
	v_fmac_f32_e32 v109, 0x32a5705f, v101
	v_cvt_pk_f16_f32 v96, v60, v61
	s_delay_alu instid0(VALU_DEP_4) | instskip(SKIP_3) | instid1(VALU_DEP_4)
	v_dual_sub_f32 v65, v65, v106 :: v_dual_add_f32 v102, v102, v107
	v_cvt_i32_f32_e32 v106, v106
	v_cvt_f16_f32_e32 v99, v57
	v_cvt_i32_f32_e32 v107, v110
	v_add_f32_e32 v65, v65, v105
	v_exp_f32_e32 v102, v102
	v_cvt_i32_f32_e32 v105, v108
	v_and_b32_e32 v99, 0xffff, v99
	v_cvt_pk_f16_f32 v98, v62, v63
	v_exp_f32_e32 v65, v65
	v_pk_mul_f16 v119, v89, v116
	v_cvt_f16_f32_e32 v100, v58
	v_ldexp_f32 v97, v102, v105
	v_mul_u32_u24_e32 v117, 0x10001, v99
	v_pk_mul_f16 v120, v88, v116
	v_pk_mul_f16 v121, v87, v116
	v_ldexp_f32 v65, v65, v106
	v_cndmask_b32_e32 v97, 0, v97, vcc_lo
	v_cmp_ngt_f32_e32 vcc_lo, 0xc2ce8ed0, v67
	v_pk_mul_f16 v122, v86, v117
	v_and_b32_e32 v100, 0xffff, v100
	v_pk_mul_f16 v31, v31, v117
	v_pk_mul_f16 v30, v30, v117
	v_cndmask_b32_e32 v65, 0, v65, vcc_lo
	v_cmp_ngt_f32_e32 vcc_lo, 0xc2ce8ed0, v101
	v_add_f32_e32 v103, v103, v109
	v_mul_u32_u24_e32 v118, 0x10001, v100
	s_delay_alu instid0(VALU_DEP_2) | instskip(NEXT) | instid1(VALU_DEP_1)
	v_exp_f32_e32 v103, v103
	v_pk_mul_f16 v26, v26, v118
	v_pk_mul_f16 v27, v27, v118
	;; [unrolled: 1-line block ×3, first 2 shown]
	s_delay_alu instid0(TRANS32_DEP_1) | instskip(NEXT) | instid1(VALU_DEP_1)
	v_ldexp_f32 v99, v103, v107
	v_cndmask_b32_e32 v99, 0, v99, vcc_lo
	v_cmp_nlt_f32_e32 vcc_lo, 0x42b17218, v59
	v_cndmask_b32_e32 v59, 0x7f800000, v97, vcc_lo
	v_cmp_nlt_f32_e32 vcc_lo, 0x42b17218, v67
	;; [unrolled: 2-line block ×3, first 2 shown]
	s_delay_alu instid0(VALU_DEP_2) | instskip(SKIP_1) | instid1(VALU_DEP_1)
	v_cvt_pk_f16_f32 v97, v64, v65
	v_cndmask_b32_e32 v67, 0x7f800000, v99, vcc_lo
	v_cvt_pk_f16_f32 v99, v66, v67
	ds_store_2addr_b64 v104, v[96:97], v[98:99] offset1:32
	s_wait_loadcnt 0x3
	ds_store_b128 v80, v[4:7]
	s_wait_loadcnt 0x2
	ds_store_b128 v83, v[8:11]
	;; [unrolled: 2-line block ×4, first 2 shown]
	s_wait_dscnt 0x0
	s_barrier_signal -1
	s_barrier_wait -1
	ds_load_b128 v[4:7], v82
	ds_load_b128 v[8:11], v82 offset:16
	s_wait_dscnt 0x0
	v_dual_lshrrev_b32 v123, 16, v4 :: v_dual_lshrrev_b32 v130, 16, v11
	v_cvt_f16_f32_e32 v89, v59
	v_lshrrev_b32_e32 v124, 16, v5
	v_and_b32_e32 v4, 0xffff, v4
	v_and_b32_e32 v5, 0xffff, v5
	v_mul_u32_u24_e32 v123, 0x10001, v123
	v_and_b32_e32 v86, 0xffff, v89
	v_lshrrev_b32_e32 v125, 16, v6
	v_mul_u32_u24_e32 v4, 0x10001, v4
	v_mul_u32_u24_e32 v5, 0x10001, v5
	v_lshrrev_b32_e32 v126, 16, v7
	v_mul_u32_u24_e32 v12, 0x10001, v86
	v_and_b32_e32 v6, 0xffff, v6
	v_and_b32_e32 v7, 0xffff, v7
	v_mul_u32_u24_e32 v124, 0x10001, v124
	v_dual_lshrrev_b32 v127, 16, v8 :: v_dual_lshrrev_b32 v129, 16, v10
	v_pk_mul_f16 v25, v25, v12
	v_pk_mul_f16 v21, v21, v12
	;; [unrolled: 1-line block ×4, first 2 shown]
	ds_load_2addr_b64 v[12:15], v72 offset1:32
	ds_load_b128 v[16:19], v82 offset:32
	ds_load_b128 v[86:89], v82 offset:48
	ds_load_2addr_b64 v[96:99], v72 offset0:64 offset1:96
	ds_load_2addr_b64 v[100:103], v72 offset0:128 offset1:160
	;; [unrolled: 1-line block ×3, first 2 shown]
	ds_load_2addr_b64 v[108:111], v95 offset1:32
	ds_load_2addr_b64 v[112:115], v95 offset0:64 offset1:96
	v_lshrrev_b32_e32 v128, 16, v9
	v_and_b32_e32 v8, 0xffff, v8
	v_and_b32_e32 v9, 0xffff, v9
	v_mul_u32_u24_e32 v6, 0x10001, v6
	v_mul_u32_u24_e32 v125, 0x10001, v125
	;; [unrolled: 1-line block ×4, first 2 shown]
	v_and_b32_e32 v10, 0xffff, v10
	v_and_b32_e32 v11, 0xffff, v11
	v_mul_u32_u24_e32 v8, 0x10001, v8
	v_mul_u32_u24_e32 v127, 0x10001, v127
	;; [unrolled: 1-line block ×3, first 2 shown]
	s_wait_dscnt 0x7
	v_pk_mul_f16 v135, v12, v4
	v_pk_mul_f16 v136, v12, v123
	;; [unrolled: 1-line block ×3, first 2 shown]
	v_pk_fma_f16 v12, v12, v124, v25
	v_pk_fma_f16 v25, v13, v4, v119
	;; [unrolled: 1-line block ×16, first 2 shown]
	v_mul_u32_u24_e32 v128, 0x10001, v128
	s_wait_dscnt 0x4
	v_pk_fma_f16 v12, v96, v126, v12
	v_pk_fma_f16 v25, v97, v6, v25
	;; [unrolled: 1-line block ×12, first 2 shown]
	v_dual_lshrrev_b32 v131, 16, v16 :: v_dual_lshrrev_b32 v133, 16, v18
	v_lshrrev_b32_e32 v132, 16, v17
	v_and_b32_e32 v16, 0xffff, v16
	v_and_b32_e32 v17, 0xffff, v17
	v_mul_u32_u24_e32 v10, 0x10001, v10
	v_mul_u32_u24_e32 v129, 0x10001, v129
	;; [unrolled: 1-line block ×4, first 2 shown]
	s_wait_dscnt 0x3
	v_pk_fma_f16 v12, v100, v128, v12
	v_pk_fma_f16 v20, v101, v8, v25
	;; [unrolled: 1-line block ×10, first 2 shown]
	v_lshrrev_b32_e32 v134, 16, v19
	v_and_b32_e32 v18, 0xffff, v18
	v_and_b32_e32 v19, 0xffff, v19
	v_mul_u32_u24_e32 v16, 0x10001, v16
	v_mul_u32_u24_e32 v131, 0x10001, v131
	;; [unrolled: 1-line block ×3, first 2 shown]
	v_pk_fma_f16 v27, v102, v9, v27
	v_pk_fma_f16 v5, v103, v9, v5
	s_wait_dscnt 0x2
	v_pk_fma_f16 v9, v104, v130, v12
	v_pk_fma_f16 v12, v105, v10, v20
	;; [unrolled: 1-line block ×9, first 2 shown]
	v_mul_u32_u24_e32 v18, 0x10001, v18
	v_mul_u32_u24_e32 v133, 0x10001, v133
	;; [unrolled: 1-line block ×3, first 2 shown]
	v_pk_fma_f16 v13, v97, v126, v13
	v_pk_fma_f16 v23, v105, v11, v25
	;; [unrolled: 1-line block ×4, first 2 shown]
	s_wait_dscnt 0x1
	v_pk_fma_f16 v11, v109, v131, v20
	v_pk_fma_f16 v20, v110, v16, v21
	;; [unrolled: 1-line block ×15, first 2 shown]
	s_wait_dscnt 0x0
	v_pk_fma_f16 v16, v112, v18, v4
	v_pk_fma_f16 v17, v112, v133, v6
	;; [unrolled: 1-line block ×3, first 2 shown]
	ds_load_2addr_b64 v[4:7], v95 offset0:128 offset1:160
	v_mul_u32_u24_e32 v132, 0x10001, v132
	v_pk_fma_f16 v14, v102, v128, v14
	v_pk_fma_f16 v22, v103, v127, v22
	;; [unrolled: 1-line block ×4, first 2 shown]
	v_mul_u32_u24_e32 v134, 0x10001, v134
	v_pk_fma_f16 v14, v106, v130, v14
	v_pk_fma_f16 v22, v107, v129, v22
	;; [unrolled: 1-line block ×8, first 2 shown]
	v_and_b32_e32 v24, 0xffff, v86
	v_lshrrev_b32_e32 v26, 16, v86
	v_and_b32_e32 v27, 0xffff, v87
	v_lshrrev_b32_e32 v28, 16, v87
	v_pk_fma_f16 v14, v110, v132, v14
	v_pk_fma_f16 v22, v111, v131, v22
	;; [unrolled: 1-line block ×7, first 2 shown]
	v_mul_u32_u24_e32 v24, 0x10001, v24
	v_mul_u32_u24_e32 v26, 0x10001, v26
	;; [unrolled: 1-line block ×4, first 2 shown]
	v_pk_fma_f16 v21, v114, v133, v21
	v_pk_fma_f16 v23, v114, v19, v23
	;; [unrolled: 1-line block ×6, first 2 shown]
	s_wait_dscnt 0x0
	v_pk_fma_f16 v16, v4, v24, v16
	v_pk_fma_f16 v17, v4, v26, v17
	;; [unrolled: 1-line block ×8, first 2 shown]
	v_and_b32_e32 v4, 0xffff, v88
	v_lshrrev_b32_e32 v5, 16, v88
	ds_load_2addr_b64 v[8:11], v95 offset0:192 offset1:224
	v_pk_fma_f16 v20, v6, v24, v20
	v_pk_fma_f16 v21, v6, v26, v21
	;; [unrolled: 1-line block ×8, first 2 shown]
	v_mul_u32_u24_e32 v19, 0x10001, v4
	v_mul_u32_u24_e32 v27, 0x10001, v5
	ds_load_b128 v[4:7], v82 offset:64
	v_and_b32_e32 v12, 0xffff, v89
	v_lshrrev_b32_e32 v13, 16, v89
	v_add_nc_u32_e32 v87, 0x1000, v72
	v_add_nc_u64_e32 v[130:131], s[26:27], v[48:49]
	v_add_nc_u64_e32 v[132:133], s[26:27], v[50:51]
	v_mul_u32_u24_e32 v28, 0x10001, v12
	v_mul_u32_u24_e32 v88, 0x10001, v13
	ds_load_2addr_b64 v[12:15], v87 offset1:32
	s_wait_dscnt 0x2
	v_pk_fma_f16 v89, v8, v19, v16
	v_pk_fma_f16 v98, v8, v27, v17
	;; [unrolled: 1-line block ×13, first 2 shown]
	ds_load_b128 v[16:19], v82 offset:80
	s_wait_dscnt 0x2
	v_and_b32_e32 v9, 0xffff, v4
	v_lshrrev_b32_e32 v4, 16, v4
	v_and_b32_e32 v10, 0xffff, v5
	v_lshrrev_b32_e32 v5, 16, v5
	v_pk_fma_f16 v22, v11, v27, v22
	v_pk_fma_f16 v24, v11, v28, v24
	v_mul_u32_u24_e32 v27, 0x10001, v9
	v_mul_u32_u24_e32 v4, 0x10001, v4
	;; [unrolled: 1-line block ×4, first 2 shown]
	v_pk_fma_f16 v26, v11, v88, v26
	s_wait_dscnt 0x1
	v_pk_fma_f16 v88, v12, v27, v89
	v_pk_fma_f16 v89, v12, v4, v98
	;; [unrolled: 1-line block ×4, first 2 shown]
	ds_load_2addr_b64 v[8:11], v87 offset0:64 offset1:96
	v_pk_fma_f16 v29, v13, v27, v29
	v_pk_fma_f16 v30, v13, v4, v30
	;; [unrolled: 1-line block ×6, first 2 shown]
	v_and_b32_e32 v4, 0xffff, v6
	v_lshrrev_b32_e32 v6, 16, v6
	v_and_b32_e32 v86, 0xffff, v7
	v_lshrrev_b32_e32 v7, 16, v7
	v_pk_fma_f16 v20, v14, v27, v20
	v_pk_fma_f16 v23, v14, v28, v23
	;; [unrolled: 1-line block ×5, first 2 shown]
	v_mul_u32_u24_e32 v28, 0x10001, v4
	v_mul_u32_u24_e32 v96, 0x10001, v6
	v_mul_u32_u24_e32 v97, 0x10001, v7
	v_pk_fma_f16 v15, v15, v5, v26
	ds_load_2addr_b64 v[4:7], v87 offset0:128 offset1:160
	v_mul_u32_u24_e32 v86, 0x10001, v86
	s_wait_dscnt 0x1
	v_pk_fma_f16 v26, v8, v28, v88
	v_pk_fma_f16 v88, v8, v96, v89
	v_pk_fma_f16 v13, v9, v97, v13
	v_pk_fma_f16 v20, v10, v28, v20
	v_pk_fma_f16 v25, v8, v86, v25
	v_pk_fma_f16 v8, v8, v97, v12
	v_pk_fma_f16 v12, v9, v28, v29
	v_pk_fma_f16 v29, v9, v96, v30
	v_pk_fma_f16 v30, v9, v86, v31
	v_pk_fma_f16 v21, v10, v96, v21
	v_pk_fma_f16 v23, v10, v86, v23
	v_pk_fma_f16 v14, v10, v97, v14
	v_and_b32_e32 v9, 0xffff, v16
	v_lshrrev_b32_e32 v10, 16, v16
	v_and_b32_e32 v16, 0xffff, v17
	v_lshrrev_b32_e32 v17, 16, v17
	v_pk_fma_f16 v27, v11, v28, v27
	v_pk_fma_f16 v22, v11, v96, v22
	;; [unrolled: 1-line block ×3, first 2 shown]
	v_mul_u32_u24_e32 v28, 0x10001, v9
	v_mul_u32_u24_e32 v17, 0x10001, v17
	;; [unrolled: 1-line block ×4, first 2 shown]
	v_pk_fma_f16 v15, v11, v97, v15
	s_wait_dscnt 0x0
	v_pk_fma_f16 v26, v4, v28, v26
	v_pk_fma_f16 v89, v4, v17, v8
	ds_load_2addr_b64 v[8:11], v87 offset0:192 offset1:224
	v_pk_fma_f16 v86, v4, v31, v88
	v_pk_fma_f16 v25, v4, v16, v25
	;; [unrolled: 1-line block ×6, first 2 shown]
	v_and_b32_e32 v4, 0xffff, v18
	v_lshrrev_b32_e32 v5, 16, v18
	v_pk_fma_f16 v20, v6, v28, v20
	v_pk_fma_f16 v21, v6, v31, v21
	;; [unrolled: 1-line block ×8, first 2 shown]
	v_and_b32_e32 v13, 0xffff, v19
	v_lshrrev_b32_e32 v14, 16, v19
	v_mul_u32_u24_e32 v16, 0x10001, v4
	v_mul_u32_u24_e32 v17, 0x10001, v5
	ds_load_b128 v[4:7], v82 offset:96
	v_mul_u32_u24_e32 v31, 0x10001, v13
	v_mul_u32_u24_e32 v98, 0x10001, v14
	v_add_nc_u32_e32 v88, 0x1800, v72
	s_wait_dscnt 0x1
	v_pk_fma_f16 v26, v8, v16, v26
	v_pk_fma_f16 v86, v8, v17, v86
	;; [unrolled: 1-line block ×5, first 2 shown]
	ds_load_2addr_b64 v[12:15], v88 offset1:32
	v_pk_fma_f16 v29, v9, v17, v29
	v_pk_fma_f16 v30, v9, v31, v30
	;; [unrolled: 1-line block ×9, first 2 shown]
	ds_load_b128 v[16:19], v82 offset:112
	s_wait_dscnt 0x2
	v_and_b32_e32 v9, 0xffff, v4
	v_lshrrev_b32_e32 v4, 16, v4
	v_and_b32_e32 v10, 0xffff, v5
	v_lshrrev_b32_e32 v5, 16, v5
	v_pk_fma_f16 v24, v11, v31, v24
	v_mul_u32_u24_e32 v31, 0x10001, v9
	v_mul_u32_u24_e32 v4, 0x10001, v4
	;; [unrolled: 1-line block ×4, first 2 shown]
	v_pk_fma_f16 v28, v11, v98, v28
	s_wait_dscnt 0x1
	v_pk_fma_f16 v26, v12, v31, v26
	v_pk_fma_f16 v86, v12, v4, v86
	;; [unrolled: 1-line block ×4, first 2 shown]
	ds_load_2addr_b64 v[8:11], v88 offset0:64 offset1:96
	v_pk_fma_f16 v89, v13, v31, v89
	v_pk_fma_f16 v29, v13, v4, v29
	;; [unrolled: 1-line block ×6, first 2 shown]
	v_and_b32_e32 v4, 0xffff, v6
	v_lshrrev_b32_e32 v6, 16, v6
	v_and_b32_e32 v31, 0xffff, v7
	v_lshrrev_b32_e32 v7, 16, v7
	v_pk_fma_f16 v30, v13, v99, v30
	v_pk_fma_f16 v13, v13, v5, v96
	;; [unrolled: 1-line block ×5, first 2 shown]
	v_mul_u32_u24_e32 v96, 0x10001, v4
	v_mul_u32_u24_e32 v97, 0x10001, v6
	;; [unrolled: 1-line block ×3, first 2 shown]
	v_pk_fma_f16 v15, v15, v5, v28
	ds_load_2addr_b64 v[4:7], v88 offset0:128 offset1:160
	v_mul_u32_u24_e32 v31, 0x10001, v31
	s_wait_dscnt 0x1
	v_pk_fma_f16 v26, v8, v96, v26
	v_pk_fma_f16 v28, v8, v97, v86
	;; [unrolled: 1-line block ×12, first 2 shown]
	v_and_b32_e32 v9, 0xffff, v16
	v_lshrrev_b32_e32 v10, 16, v16
	v_and_b32_e32 v16, 0xffff, v17
	v_lshrrev_b32_e32 v17, 16, v17
	v_pk_fma_f16 v27, v11, v96, v27
	v_pk_fma_f16 v22, v11, v97, v22
	;; [unrolled: 1-line block ×3, first 2 shown]
	v_mul_u32_u24_e32 v31, 0x10001, v9
	v_mul_u32_u24_e32 v17, 0x10001, v17
	;; [unrolled: 1-line block ×4, first 2 shown]
	v_pk_fma_f16 v15, v11, v98, v15
	s_wait_dscnt 0x0
	v_pk_fma_f16 v26, v4, v31, v26
	v_pk_fma_f16 v96, v4, v17, v8
	ds_load_2addr_b64 v[8:11], v88 offset0:192 offset1:224
	v_pk_fma_f16 v28, v4, v86, v28
	v_pk_fma_f16 v25, v4, v16, v25
	;; [unrolled: 1-line block ×6, first 2 shown]
	v_and_b32_e32 v4, 0xffff, v18
	v_lshrrev_b32_e32 v5, 16, v18
	v_pk_fma_f16 v20, v6, v31, v20
	v_pk_fma_f16 v21, v6, v86, v21
	v_pk_fma_f16 v23, v6, v16, v23
	v_pk_fma_f16 v98, v6, v17, v14
	v_pk_fma_f16 v27, v7, v31, v27
	v_pk_fma_f16 v22, v7, v86, v22
	v_pk_fma_f16 v24, v7, v16, v24
	v_pk_fma_f16 v31, v7, v17, v15
	v_and_b32_e32 v13, 0xffff, v19
	v_lshrrev_b32_e32 v14, 16, v19
	v_mul_u32_u24_e32 v16, 0x10001, v4
	v_mul_u32_u24_e32 v17, 0x10001, v5
	ds_load_b128 v[4:7], v82 offset:128
	v_mul_u32_u24_e32 v86, 0x10001, v13
	v_mul_u32_u24_e32 v99, 0x10001, v14
	v_add_nc_u32_e32 v89, 0x2000, v72
	s_wait_dscnt 0x1
	v_pk_fma_f16 v26, v8, v16, v26
	v_pk_fma_f16 v28, v8, v17, v28
	;; [unrolled: 1-line block ×5, first 2 shown]
	ds_load_2addr_b64 v[12:15], v89 offset1:32
	v_pk_fma_f16 v29, v9, v17, v29
	v_pk_fma_f16 v30, v9, v86, v30
	;; [unrolled: 1-line block ×9, first 2 shown]
	ds_load_b128 v[16:19], v82 offset:144
	s_wait_dscnt 0x2
	v_and_b32_e32 v9, 0xffff, v4
	v_lshrrev_b32_e32 v4, 16, v4
	v_and_b32_e32 v10, 0xffff, v5
	v_lshrrev_b32_e32 v5, 16, v5
	v_pk_fma_f16 v24, v11, v86, v24
	v_mul_u32_u24_e32 v86, 0x10001, v9
	v_mul_u32_u24_e32 v4, 0x10001, v4
	v_mul_u32_u24_e32 v100, 0x10001, v10
	v_mul_u32_u24_e32 v5, 0x10001, v5
	v_pk_fma_f16 v31, v11, v99, v31
	s_wait_dscnt 0x1
	v_pk_fma_f16 v26, v12, v86, v26
	v_pk_fma_f16 v28, v12, v4, v28
	v_pk_fma_f16 v25, v12, v100, v25
	v_pk_fma_f16 v12, v12, v5, v8
	ds_load_2addr_b64 v[8:11], v89 offset0:64 offset1:96
	v_pk_fma_f16 v96, v13, v86, v96
	v_pk_fma_f16 v29, v13, v4, v29
	;; [unrolled: 1-line block ×6, first 2 shown]
	v_and_b32_e32 v4, 0xffff, v6
	v_lshrrev_b32_e32 v6, 16, v6
	v_and_b32_e32 v86, 0xffff, v7
	v_lshrrev_b32_e32 v7, 16, v7
	v_pk_fma_f16 v30, v13, v100, v30
	v_pk_fma_f16 v13, v13, v5, v97
	;; [unrolled: 1-line block ×5, first 2 shown]
	v_mul_u32_u24_e32 v97, 0x10001, v4
	v_mul_u32_u24_e32 v98, 0x10001, v6
	;; [unrolled: 1-line block ×3, first 2 shown]
	v_pk_fma_f16 v15, v15, v5, v31
	ds_load_2addr_b64 v[4:7], v89 offset0:128 offset1:160
	v_mul_u32_u24_e32 v86, 0x10001, v86
	s_wait_dscnt 0x1
	v_pk_fma_f16 v26, v8, v97, v26
	v_pk_fma_f16 v28, v8, v98, v28
	;; [unrolled: 1-line block ×12, first 2 shown]
	v_and_b32_e32 v9, 0xffff, v16
	v_lshrrev_b32_e32 v10, 16, v16
	v_and_b32_e32 v16, 0xffff, v17
	v_lshrrev_b32_e32 v17, 16, v17
	v_pk_fma_f16 v24, v11, v86, v24
	v_mul_u32_u24_e32 v31, 0x10001, v9
	v_mul_u32_u24_e32 v86, 0x10001, v10
	;; [unrolled: 1-line block ×4, first 2 shown]
	v_pk_fma_f16 v27, v11, v97, v27
	v_pk_fma_f16 v22, v11, v98, v22
	;; [unrolled: 1-line block ×3, first 2 shown]
	s_wait_dscnt 0x0
	v_pk_fma_f16 v97, v5, v31, v12
	v_pk_fma_f16 v29, v5, v86, v29
	;; [unrolled: 1-line block ×4, first 2 shown]
	v_and_b32_e32 v12, 0xffff, v18
	v_lshrrev_b32_e32 v13, 16, v18
	v_pk_fma_f16 v26, v4, v31, v26
	v_pk_fma_f16 v28, v4, v86, v28
	;; [unrolled: 1-line block ×4, first 2 shown]
	ds_load_2addr_b64 v[8:11], v89 offset0:192 offset1:224
	v_pk_fma_f16 v20, v6, v31, v20
	v_pk_fma_f16 v21, v6, v86, v21
	;; [unrolled: 1-line block ×8, first 2 shown]
	v_lshrrev_b32_e32 v16, 16, v19
	v_mul_u32_u24_e32 v86, 0x10001, v12
	v_mul_u32_u24_e32 v98, 0x10001, v13
	ds_load_b128 v[12:15], v82 offset:160
	v_and_b32_e32 v7, 0xffff, v19
	v_add_nc_u32_e32 v96, 0x2800, v72
	v_mul_u32_u24_e32 v100, 0x10001, v16
	v_add_nc_u64_e32 v[134:135], s[26:27], v[52:53]
	v_add_nc_u64_e32 v[136:137], s[26:27], v[54:55]
	v_mul_u32_u24_e32 v99, 0x10001, v7
	ds_load_2addr_b64 v[16:19], v96 offset1:32
	s_wait_dscnt 0x2
	v_pk_fma_f16 v26, v8, v86, v26
	v_pk_fma_f16 v28, v8, v98, v28
	;; [unrolled: 1-line block ×12, first 2 shown]
	ds_load_b128 v[4:7], v82 offset:176
	s_wait_dscnt 0x2
	v_and_b32_e32 v20, 0xffff, v12
	v_and_b32_e32 v21, 0xffff, v13
	v_pk_fma_f16 v27, v11, v86, v27
	v_pk_fma_f16 v86, v11, v98, v22
	v_dual_lshrrev_b32 v12, 16, v12 :: v_dual_lshrrev_b32 v13, 16, v13
	v_pk_fma_f16 v24, v11, v99, v24
	v_mul_u32_u24_e32 v98, 0x10001, v20
	v_mul_u32_u24_e32 v99, 0x10001, v21
	ds_load_2addr_b64 v[20:23], v96 offset0:64 offset1:96
	v_mul_u32_u24_e32 v12, 0x10001, v12
	v_mul_u32_u24_e32 v13, 0x10001, v13
	v_pk_fma_f16 v11, v11, v100, v31
	s_wait_dscnt 0x2
	v_pk_fma_f16 v26, v16, v98, v26
	v_pk_fma_f16 v25, v16, v99, v25
	;; [unrolled: 1-line block ×12, first 2 shown]
	v_and_b32_e32 v9, 0xffff, v14
	v_lshrrev_b32_e32 v10, 16, v14
	v_pk_fma_f16 v27, v19, v98, v27
	v_pk_fma_f16 v12, v19, v12, v86
	v_and_b32_e32 v14, 0xffff, v15
	v_lshrrev_b32_e32 v15, 16, v15
	v_mul_u32_u24_e32 v86, 0x10001, v9
	v_mul_u32_u24_e32 v98, 0x10001, v10
	v_add_nc_u64_e32 v[142:143], v[130:131], v[40:41]
	v_add_nc_u64_e32 v[144:145], v[132:133], v[40:41]
	v_pk_fma_f16 v24, v19, v99, v24
	v_mul_u32_u24_e32 v14, 0x10001, v14
	v_mul_u32_u24_e32 v15, 0x10001, v15
	v_pk_fma_f16 v13, v19, v13, v11
	s_wait_dscnt 0x0
	v_pk_fma_f16 v150, v20, v86, v26
	v_pk_fma_f16 v154, v21, v86, v16
	;; [unrolled: 1-line block ×5, first 2 shown]
	v_add_nc_u32_e32 v97, 0x3000, v72
	v_add_nc_u32_e32 v86, 0x3800, v72
	v_add_nc_u64_e32 v[146:147], v[134:135], v[40:41]
	v_add_nc_u64_e32 v[148:149], v[136:137], v[40:41]
	v_pk_fma_f16 v151, v20, v98, v28
	v_pk_fma_f16 v152, v20, v14, v25
	;; [unrolled: 1-line block ×3, first 2 shown]
	ds_load_2addr_b64 v[8:11], v96 offset0:128 offset1:160
	v_pk_fma_f16 v155, v21, v98, v29
	v_pk_fma_f16 v156, v21, v14, v30
	;; [unrolled: 1-line block ×8, first 2 shown]
	ds_load_2addr_b64 v[24:27], v96 offset0:192 offset1:224
	ds_load_2addr_b64 v[12:15], v97 offset1:32
	ds_load_b128 v[16:19], v82 offset:192
	ds_load_b128 v[20:23], v82 offset:208
	ds_load_2addr_b64 v[28:31], v97 offset0:64 offset1:96
	ds_load_2addr_b64 v[98:101], v97 offset0:128 offset1:160
	ds_load_2addr_b64 v[102:105], v97 offset0:192 offset1:224
	ds_load_2addr_b64 v[106:109], v86 offset1:32
	ds_load_2addr_b64 v[110:113], v86 offset0:64 offset1:96
	ds_load_2addr_b64 v[114:117], v86 offset0:128 offset1:160
	ds_load_b128 v[118:121], v82 offset:224
	ds_load_b128 v[122:125], v82 offset:240
	ds_load_2addr_b64 v[126:129], v86 offset0:192 offset1:224
	s_wait_dscnt 0x0
	s_barrier_signal -1
	s_barrier_wait -1
	s_clause 0x3
	global_load_b128 v[130:133], v[142:143], off
	global_load_b128 v[134:137], v[144:145], off
	;; [unrolled: 1-line block ×3, first 2 shown]
	; meta instruction
	; meta instruction
	;; [unrolled: 1-line block ×3, first 2 shown]
	global_load_b128 v[142:145], v[148:149], off
	v_and_b32_e32 v40, 0xffff, v4
	s_wait_xcnt 0x0
	v_dual_lshrrev_b32 v146, 16, v4 :: v_dual_lshrrev_b32 v148, 16, v5
	v_and_b32_e32 v147, 0xffff, v5
	v_pk_add_f32 v[4:5], v[60:61], v[62:63]
	v_mul_u32_u24_e32 v40, 0x10001, v40
	s_delay_alu instid0(VALU_DEP_4)
	v_mul_u32_u24_e32 v62, 0x10001, v146
	v_mul_u32_u24_e32 v146, 0x10001, v148
	;; [unrolled: 1-line block ×3, first 2 shown]
	v_pk_add_f32 v[60:61], v[64:65], v[66:67]
	v_pk_fma_f16 v64, v8, v40, v150
	v_pk_fma_f16 v65, v8, v62, v151
	;; [unrolled: 1-line block ×5, first 2 shown]
	v_and_b32_e32 v152, 0xffff, v6
	v_lshrrev_b32_e32 v6, 16, v6
	v_and_b32_e32 v153, 0xffff, v7
	v_lshrrev_b32_e32 v7, 16, v7
	v_pk_fma_f16 v147, v9, v62, v155
	v_pk_fma_f16 v148, v9, v63, v156
	;; [unrolled: 1-line block ×9, first 2 shown]
	v_mul_u32_u24_e32 v152, 0x10001, v152
	v_mul_u32_u24_e32 v6, 0x10001, v6
	v_mul_u32_u24_e32 v153, 0x10001, v153
	v_mul_u32_u24_e32 v7, 0x10001, v7
	v_pk_fma_f16 v63, v11, v63, v164
	v_pk_fma_f16 v11, v11, v146, v165
	;; [unrolled: 1-line block ×16, first 2 shown]
	v_and_b32_e32 v40, 0xffff, v16
	v_lshrrev_b32_e32 v16, 16, v16
	v_and_b32_e32 v62, 0xffff, v17
	v_lshrrev_b32_e32 v17, 16, v17
	v_pk_fma_f16 v63, v27, v153, v63
	v_mul_u32_u24_e32 v40, 0x10001, v40
	v_mul_u32_u24_e32 v16, 0x10001, v16
	;; [unrolled: 1-line block ×4, first 2 shown]
	v_pk_fma_f16 v7, v27, v7, v11
	v_pk_fma_f16 v11, v12, v40, v64
	;; [unrolled: 1-line block ×15, first 2 shown]
	v_and_b32_e32 v16, 0xffff, v18
	v_lshrrev_b32_e32 v18, 16, v18
	v_and_b32_e32 v26, 0xffff, v19
	v_lshrrev_b32_e32 v19, 16, v19
	v_pk_fma_f16 v7, v15, v17, v7
	v_pk_fma_f16 v40, v15, v62, v63
	v_mul_u32_u24_e32 v18, 0x10001, v18
	v_mul_u32_u24_e32 v16, 0x10001, v16
	;; [unrolled: 1-line block ×4, first 2 shown]
	v_pk_fma_f32 v[34:35], v[34:35], v[56:57], v[4:5]
	v_pk_fma_f16 v15, v28, v18, v27
	v_pk_fma_f16 v24, v29, v18, v24
	;; [unrolled: 1-line block ×8, first 2 shown]
	v_and_b32_e32 v18, 0xffff, v20
	v_lshrrev_b32_e32 v19, 16, v20
	v_pk_fma_f16 v11, v28, v16, v11
	v_pk_fma_f16 v12, v29, v16, v12
	;; [unrolled: 1-line block ×4, first 2 shown]
	v_and_b32_e32 v20, 0xffff, v21
	v_lshrrev_b32_e32 v21, 16, v21
	v_mul_u32_u24_e32 v18, 0x10001, v18
	v_mul_u32_u24_e32 v19, 0x10001, v19
	v_pk_fma_f16 v17, v28, v26, v64
	v_pk_fma_f16 v27, v29, v26, v65
	;; [unrolled: 1-line block ×11, first 2 shown]
	v_and_b32_e32 v18, 0xffff, v22
	v_lshrrev_b32_e32 v19, 16, v22
	v_pk_fma_f16 v16, v31, v26, v40
	v_mul_u32_u24_e32 v20, 0x10001, v20
	v_mul_u32_u24_e32 v21, 0x10001, v21
	v_and_b32_e32 v22, 0xffff, v23
	v_lshrrev_b32_e32 v23, 16, v23
	v_mul_u32_u24_e32 v18, 0x10001, v18
	v_mul_u32_u24_e32 v19, 0x10001, v19
	v_pk_fma_f16 v11, v98, v20, v17
	v_pk_fma_f16 v8, v98, v21, v8
	;; [unrolled: 1-line block ×7, first 2 shown]
	v_mul_u32_u24_e32 v20, 0x10001, v22
	v_pk_fma_f16 v7, v101, v21, v7
	v_pk_fma_f16 v4, v102, v18, v4
	;; [unrolled: 1-line block ×9, first 2 shown]
	v_and_b32_e32 v18, 0xffff, v118
	v_lshrrev_b32_e32 v19, 16, v118
	v_mul_u32_u24_e32 v22, 0x10001, v23
	v_pk_fma_f16 v23, v104, v20, v25
	v_lshrrev_b32_e32 v25, 16, v119
	v_mul_u32_u24_e32 v18, 0x10001, v18
	v_mul_u32_u24_e32 v19, 0x10001, v19
	v_and_b32_e32 v24, 0xffff, v119
	v_pk_fma_f16 v11, v102, v20, v11
	v_pk_fma_f16 v17, v103, v20, v17
	v_pk_fma_f16 v4, v106, v18, v4
	v_pk_fma_f16 v5, v106, v19, v5
	v_pk_fma_f16 v12, v107, v18, v12
	v_pk_fma_f16 v15, v107, v19, v15
	v_pk_fma_f16 v13, v108, v18, v13
	v_pk_fma_f16 v21, v108, v19, v21
	v_pk_fma_f16 v14, v109, v18, v14
	v_pk_fma_f16 v6, v109, v19, v6
	v_and_b32_e32 v18, 0xffff, v120
	v_lshrrev_b32_e32 v19, 16, v120
	v_pk_fma_f16 v16, v105, v20, v16
	v_mul_u32_u24_e32 v20, 0x10001, v24
	v_mul_u32_u24_e32 v24, 0x10001, v25
	v_lshrrev_b32_e32 v25, 16, v121
	v_mul_u32_u24_e32 v18, 0x10001, v18
	v_mul_u32_u24_e32 v19, 0x10001, v19
	v_pk_fma_f16 v8, v102, v22, v8
	v_pk_fma_f16 v9, v103, v22, v9
	;; [unrolled: 1-line block ×5, first 2 shown]
	v_and_b32_e32 v23, 0xffff, v121
	v_pk_fma_f16 v4, v110, v18, v4
	v_pk_fma_f16 v5, v110, v19, v5
	;; [unrolled: 1-line block ×8, first 2 shown]
	v_and_b32_e32 v18, 0xffff, v122
	v_lshrrev_b32_e32 v19, 16, v122
	v_pk_fma_f16 v11, v106, v20, v11
	v_pk_fma_f16 v8, v106, v24, v8
	;; [unrolled: 1-line block ×6, first 2 shown]
	v_mul_u32_u24_e32 v20, 0x10001, v23
	v_mul_u32_u24_e32 v23, 0x10001, v25
	v_pk_fma_f16 v7, v109, v24, v7
	v_and_b32_e32 v24, 0xffff, v123
	v_lshrrev_b32_e32 v25, 16, v123
	v_mul_u32_u24_e32 v18, 0x10001, v18
	v_mul_u32_u24_e32 v19, 0x10001, v19
	v_pk_fma_f16 v11, v110, v20, v11
	v_pk_fma_f16 v17, v111, v20, v17
	;; [unrolled: 1-line block ×5, first 2 shown]
	v_mul_u32_u24_e32 v20, 0x10001, v24
	v_mul_u32_u24_e32 v24, 0x10001, v25
	v_pk_fma_f16 v25, v114, v18, v4
	v_pk_fma_f16 v26, v114, v19, v5
	;; [unrolled: 1-line block ×6, first 2 shown]
	v_and_b32_e32 v4, 0xffff, v124
	v_lshrrev_b32_e32 v5, 16, v124
	v_and_b32_e32 v6, 0xffff, v125
	v_pk_fma_f16 v8, v110, v23, v8
	v_pk_fma_f16 v9, v111, v23, v9
	;; [unrolled: 1-line block ×10, first 2 shown]
	v_lshrrev_b32_e32 v10, 16, v125
	v_mul_u32_u24_e32 v19, 0x10001, v4
	v_mul_u32_u24_e32 v20, 0x10001, v5
	;; [unrolled: 1-line block ×3, first 2 shown]
	s_wait_loadcnt 0x3
	ds_store_b128 v80, v[130:133]
	s_wait_loadcnt 0x2
	ds_store_b128 v83, v[134:137]
	;; [unrolled: 2-line block ×4, first 2 shown]
	s_wait_dscnt 0x0
	s_barrier_signal -1
	s_barrier_wait -1
	ds_load_b128 v[4:7], v82 offset:256
	v_pk_fma_f16 v8, v114, v24, v8
	v_pk_fma_f16 v9, v115, v24, v9
	v_mul_u32_u24_e32 v29, 0x10001, v10
	v_pk_fma_f16 v23, v117, v24, v23
	v_pk_fma_f16 v24, v126, v19, v25
	;; [unrolled: 1-line block ×6, first 2 shown]
	ds_load_2addr_b64 v[8:11], v72 offset1:32
	v_pk_fma_f32 v[32:33], v[32:33], v[58:59], v[60:61]
	v_pk_fma_f16 v31, v127, v19, v12
	v_pk_fma_f16 v40, v127, v20, v15
	;; [unrolled: 1-line block ×7, first 2 shown]
	ds_load_b128 v[12:15], v82 offset:272
	s_wait_dscnt 0x2
	v_and_b32_e32 v16, 0xffff, v4
	v_lshrrev_b32_e32 v4, 16, v4
	v_and_b32_e32 v17, 0xffff, v5
	v_lshrrev_b32_e32 v5, 16, v5
	v_pk_fma_f16 v59, v128, v20, v21
	v_mul_u32_u24_e32 v64, 0x10001, v16
	v_mul_u32_u24_e32 v4, 0x10001, v4
	;; [unrolled: 1-line block ×3, first 2 shown]
	v_pk_fma_f16 v61, v128, v29, v27
	v_pk_fma_f16 v63, v129, v20, v18
	;; [unrolled: 1-line block ×3, first 2 shown]
	v_mul_u32_u24_e32 v5, 0x10001, v5
	ds_load_b128 v[16:19], v82 offset:288
	ds_load_b128 v[20:23], v82 offset:304
	s_wait_dscnt 0x3
	v_pk_fma_f16 v66, v8, v64, v24
	v_pk_fma_f16 v67, v8, v4, v25
	;; [unrolled: 1-line block ×3, first 2 shown]
	ds_load_2addr_b64 v[24:27], v72 offset0:64 offset1:96
	v_pk_fma_f16 v8, v8, v5, v30
	v_pk_fma_f16 v30, v9, v64, v31
	;; [unrolled: 1-line block ×10, first 2 shown]
	v_and_b32_e32 v4, 0xffff, v6
	v_lshrrev_b32_e32 v6, 16, v6
	v_and_b32_e32 v61, 0xffff, v7
	v_lshrrev_b32_e32 v7, 16, v7
	v_pk_fma_f16 v59, v11, v64, v62
	v_pk_fma_f16 v28, v11, v65, v28
	v_mul_u32_u24_e32 v62, 0x10001, v4
	v_mul_u32_u24_e32 v63, 0x10001, v6
	;; [unrolled: 1-line block ×3, first 2 shown]
	v_pk_fma_f16 v11, v11, v5, v29
	ds_load_2addr_b64 v[4:7], v72 offset0:128 offset1:160
	v_mul_u32_u24_e32 v61, 0x10001, v61
	s_wait_dscnt 0x1
	v_pk_fma_f16 v29, v24, v62, v66
	v_pk_fma_f16 v65, v24, v63, v67
	;; [unrolled: 1-line block ×12, first 2 shown]
	v_and_b32_e32 v9, 0xffff, v12
	v_lshrrev_b32_e32 v10, 16, v12
	v_and_b32_e32 v12, 0xffff, v13
	v_lshrrev_b32_e32 v13, 16, v13
	v_pk_fma_f16 v58, v27, v62, v59
	v_pk_fma_f16 v59, v27, v63, v60
	;; [unrolled: 1-line block ×3, first 2 shown]
	v_mul_u32_u24_e32 v60, 0x10001, v9
	v_mul_u32_u24_e32 v61, 0x10001, v10
	;; [unrolled: 1-line block ×4, first 2 shown]
	v_pk_fma_f16 v27, v27, v64, v11
	s_wait_dscnt 0x0
	v_pk_fma_f16 v29, v4, v60, v29
	v_pk_fma_f16 v62, v4, v61, v65
	;; [unrolled: 1-line block ×4, first 2 shown]
	ds_load_2addr_b64 v[8:11], v72 offset0:192 offset1:224
	v_pk_fma_f16 v24, v5, v60, v24
	v_pk_fma_f16 v30, v5, v61, v30
	;; [unrolled: 1-line block ×8, first 2 shown]
	v_and_b32_e32 v5, 0xffff, v14
	v_lshrrev_b32_e32 v6, 16, v14
	v_and_b32_e32 v14, 0xffff, v15
	v_lshrrev_b32_e32 v15, 16, v15
	v_pk_fma_f16 v58, v7, v60, v58
	v_pk_fma_f16 v12, v7, v12, v28
	v_mul_u32_u24_e32 v28, 0x10001, v5
	v_mul_u32_u24_e32 v60, 0x10001, v6
	;; [unrolled: 1-line block ×4, first 2 shown]
	v_pk_fma_f16 v59, v7, v61, v59
	v_pk_fma_f16 v13, v7, v13, v27
	s_wait_dscnt 0x0
	v_pk_fma_f16 v27, v8, v28, v29
	v_pk_fma_f16 v29, v8, v60, v62
	;; [unrolled: 1-line block ×4, first 2 shown]
	ds_load_2addr_b64 v[4:7], v95 offset1:32
	v_pk_fma_f16 v24, v9, v28, v24
	v_pk_fma_f16 v30, v9, v60, v30
	v_pk_fma_f16 v31, v9, v14, v31
	v_pk_fma_f16 v25, v9, v15, v25
	v_pk_fma_f16 v40, v10, v28, v40
	v_pk_fma_f16 v56, v10, v60, v56
	v_pk_fma_f16 v57, v10, v14, v57
	v_pk_fma_f16 v26, v10, v15, v26
	v_and_b32_e32 v9, 0xffff, v16
	v_lshrrev_b32_e32 v10, 16, v16
	v_and_b32_e32 v16, 0xffff, v17
	v_lshrrev_b32_e32 v17, 16, v17
	v_pk_fma_f16 v28, v11, v28, v58
	v_pk_fma_f16 v58, v11, v60, v59
	v_pk_fma_f16 v12, v11, v14, v12
	v_mul_u32_u24_e32 v14, 0x10001, v9
	v_mul_u32_u24_e32 v59, 0x10001, v10
	v_mul_u32_u24_e32 v16, 0x10001, v16
	v_mul_u32_u24_e32 v17, 0x10001, v17
	v_pk_fma_f16 v13, v11, v15, v13
	s_wait_dscnt 0x0
	v_pk_fma_f16 v15, v4, v14, v27
	v_pk_fma_f16 v27, v4, v59, v29
	v_pk_fma_f16 v29, v4, v16, v61
	v_pk_fma_f16 v4, v4, v17, v8
	ds_load_2addr_b64 v[8:11], v95 offset0:64 offset1:96
	v_pk_fma_f16 v24, v5, v14, v24
	v_pk_fma_f16 v30, v5, v59, v30
	v_pk_fma_f16 v31, v5, v16, v31
	v_pk_fma_f16 v25, v5, v17, v25
	v_pk_fma_f16 v40, v6, v14, v40
	v_pk_fma_f16 v56, v6, v59, v56
	v_pk_fma_f16 v57, v6, v16, v57
	v_pk_fma_f16 v26, v6, v17, v26
	v_and_b32_e32 v5, 0xffff, v18
	v_lshrrev_b32_e32 v6, 16, v18
	v_and_b32_e32 v18, 0xffff, v19
	v_lshrrev_b32_e32 v19, 16, v19
	v_pk_fma_f16 v14, v7, v14, v28
	v_pk_fma_f16 v28, v7, v59, v58
	v_pk_fma_f16 v12, v7, v16, v12
	v_mul_u32_u24_e32 v16, 0x10001, v5
	v_mul_u32_u24_e32 v58, 0x10001, v6
	v_mul_u32_u24_e32 v18, 0x10001, v18
	v_mul_u32_u24_e32 v19, 0x10001, v19
	v_pk_fma_f16 v13, v7, v17, v13
	s_wait_dscnt 0x0
	v_pk_fma_f16 v15, v8, v16, v15
	v_pk_fma_f16 v17, v8, v58, v27
	v_pk_fma_f16 v27, v8, v18, v29
	v_pk_fma_f16 v8, v8, v19, v4
	ds_load_2addr_b64 v[4:7], v95 offset0:128 offset1:160
	;; [unrolled: 26-line block ×3, first 2 shown]
	v_pk_fma_f16 v24, v5, v18, v24
	v_pk_fma_f16 v29, v5, v28, v29
	;; [unrolled: 1-line block ×9, first 2 shown]
	v_and_b32_e32 v5, 0xffff, v22
	v_lshrrev_b32_e32 v6, 16, v22
	v_pk_fma_f16 v20, v7, v20, v12
	v_and_b32_e32 v22, 0xffff, v23
	v_lshrrev_b32_e32 v23, 16, v23
	ds_load_b128 v[12:15], v82 offset:320
	v_pk_fma_f16 v16, v7, v28, v16
	v_mul_u32_u24_e32 v28, 0x10001, v5
	v_mul_u32_u24_e32 v58, 0x10001, v6
	;; [unrolled: 1-line block ×4, first 2 shown]
	v_pk_fma_f16 v21, v7, v21, v19
	s_wait_dscnt 0x1
	v_pk_fma_f16 v57, v8, v28, v57
	v_pk_fma_f16 v59, v8, v58, v17
	;; [unrolled: 1-line block ×4, first 2 shown]
	ds_load_2addr_b64 v[4:7], v87 offset1:32
	v_pk_fma_f16 v24, v9, v28, v24
	v_pk_fma_f16 v29, v9, v58, v29
	;; [unrolled: 1-line block ×10, first 2 shown]
	ds_load_b128 v[16:19], v82 offset:336
	s_wait_dscnt 0x2
	v_and_b32_e32 v9, 0xffff, v12
	v_lshrrev_b32_e32 v10, 16, v12
	v_and_b32_e32 v12, 0xffff, v13
	v_lshrrev_b32_e32 v13, 16, v13
	v_pk_fma_f16 v20, v11, v22, v20
	v_mul_u32_u24_e32 v22, 0x10001, v9
	v_mul_u32_u24_e32 v60, 0x10001, v10
	v_mul_u32_u24_e32 v12, 0x10001, v12
	v_mul_u32_u24_e32 v13, 0x10001, v13
	v_pk_fma_f16 v21, v11, v23, v21
	s_wait_dscnt 0x1
	v_pk_fma_f16 v23, v4, v22, v57
	v_pk_fma_f16 v57, v4, v60, v59
	;; [unrolled: 1-line block ×4, first 2 shown]
	ds_load_2addr_b64 v[8:11], v87 offset0:64 offset1:96
	v_pk_fma_f16 v24, v5, v22, v24
	v_pk_fma_f16 v29, v5, v60, v29
	;; [unrolled: 1-line block ×8, first 2 shown]
	v_and_b32_e32 v5, 0xffff, v14
	v_lshrrev_b32_e32 v6, 16, v14
	v_and_b32_e32 v14, 0xffff, v15
	v_lshrrev_b32_e32 v15, 16, v15
	v_pk_fma_f16 v22, v7, v22, v28
	v_pk_fma_f16 v28, v7, v60, v58
	;; [unrolled: 1-line block ×3, first 2 shown]
	v_mul_u32_u24_e32 v20, 0x10001, v5
	v_mul_u32_u24_e32 v58, 0x10001, v6
	;; [unrolled: 1-line block ×4, first 2 shown]
	v_pk_fma_f16 v13, v7, v13, v21
	s_wait_dscnt 0x0
	v_pk_fma_f16 v21, v8, v20, v23
	v_pk_fma_f16 v23, v8, v58, v57
	;; [unrolled: 1-line block ×4, first 2 shown]
	ds_load_2addr_b64 v[4:7], v87 offset0:128 offset1:160
	v_pk_fma_f16 v24, v9, v20, v24
	v_pk_fma_f16 v29, v9, v58, v29
	;; [unrolled: 1-line block ×8, first 2 shown]
	v_and_b32_e32 v9, 0xffff, v16
	v_lshrrev_b32_e32 v10, 16, v16
	v_and_b32_e32 v16, 0xffff, v17
	v_lshrrev_b32_e32 v17, 16, v17
	v_pk_fma_f16 v20, v11, v20, v22
	v_pk_fma_f16 v22, v11, v58, v28
	;; [unrolled: 1-line block ×3, first 2 shown]
	v_mul_u32_u24_e32 v14, 0x10001, v9
	v_mul_u32_u24_e32 v28, 0x10001, v10
	;; [unrolled: 1-line block ×4, first 2 shown]
	v_pk_fma_f16 v57, v11, v15, v13
	s_wait_dscnt 0x0
	v_pk_fma_f16 v21, v4, v14, v21
	v_pk_fma_f16 v23, v4, v28, v23
	;; [unrolled: 1-line block ×4, first 2 shown]
	ds_load_2addr_b64 v[8:11], v87 offset0:192 offset1:224
	v_pk_fma_f16 v24, v5, v14, v24
	v_pk_fma_f16 v29, v5, v28, v29
	;; [unrolled: 1-line block ×10, first 2 shown]
	v_and_b32_e32 v5, 0xffff, v18
	v_dual_lshrrev_b32 v6, 16, v18 :: v_dual_lshrrev_b32 v18, 16, v19
	v_pk_fma_f16 v28, v7, v16, v12
	v_and_b32_e32 v16, 0xffff, v19
	ds_load_b128 v[12:15], v82 offset:352
	v_mul_u32_u24_e32 v19, 0x10001, v5
	v_mul_u32_u24_e32 v58, 0x10001, v6
	;; [unrolled: 1-line block ×4, first 2 shown]
	v_pk_fma_f16 v57, v7, v17, v57
	s_wait_dscnt 0x1
	v_pk_fma_f16 v21, v8, v19, v21
	v_pk_fma_f16 v23, v8, v58, v23
	;; [unrolled: 1-line block ×5, first 2 shown]
	ds_load_2addr_b64 v[4:7], v88 offset1:32
	v_pk_fma_f16 v29, v9, v58, v29
	v_pk_fma_f16 v30, v9, v59, v30
	;; [unrolled: 1-line block ×8, first 2 shown]
	ds_load_b128 v[16:19], v82 offset:368
	s_wait_dscnt 0x2
	v_and_b32_e32 v9, 0xffff, v12
	v_lshrrev_b32_e32 v10, 16, v12
	v_and_b32_e32 v12, 0xffff, v13
	v_lshrrev_b32_e32 v13, 16, v13
	v_pk_fma_f16 v22, v11, v58, v22
	v_pk_fma_f16 v28, v11, v59, v28
	v_mul_u32_u24_e32 v58, 0x10001, v9
	v_mul_u32_u24_e32 v59, 0x10001, v10
	;; [unrolled: 1-line block ×4, first 2 shown]
	v_pk_fma_f16 v57, v11, v60, v57
	s_wait_dscnt 0x1
	v_pk_fma_f16 v21, v4, v58, v21
	v_pk_fma_f16 v23, v4, v59, v23
	;; [unrolled: 1-line block ×4, first 2 shown]
	ds_load_2addr_b64 v[8:11], v88 offset0:64 offset1:96
	v_pk_fma_f16 v24, v5, v58, v24
	v_pk_fma_f16 v29, v5, v59, v29
	;; [unrolled: 1-line block ×8, first 2 shown]
	v_and_b32_e32 v5, 0xffff, v14
	v_lshrrev_b32_e32 v6, 16, v14
	v_and_b32_e32 v14, 0xffff, v15
	v_lshrrev_b32_e32 v15, 16, v15
	v_pk_fma_f16 v20, v7, v58, v20
	v_pk_fma_f16 v12, v7, v12, v28
	v_mul_u32_u24_e32 v28, 0x10001, v5
	v_mul_u32_u24_e32 v58, 0x10001, v6
	;; [unrolled: 1-line block ×4, first 2 shown]
	v_pk_fma_f16 v22, v7, v59, v22
	v_pk_fma_f16 v13, v7, v13, v57
	s_wait_dscnt 0x0
	v_pk_fma_f16 v21, v8, v28, v21
	v_pk_fma_f16 v23, v8, v58, v23
	;; [unrolled: 1-line block ×4, first 2 shown]
	ds_load_2addr_b64 v[4:7], v88 offset0:128 offset1:160
	v_pk_fma_f16 v24, v9, v28, v24
	v_pk_fma_f16 v29, v9, v58, v29
	v_pk_fma_f16 v30, v9, v14, v30
	v_pk_fma_f16 v25, v9, v15, v25
	v_pk_fma_f16 v31, v10, v28, v31
	v_pk_fma_f16 v40, v10, v58, v40
	v_pk_fma_f16 v56, v10, v14, v56
	v_pk_fma_f16 v26, v10, v15, v26
	v_and_b32_e32 v9, 0xffff, v16
	v_lshrrev_b32_e32 v10, 16, v16
	v_and_b32_e32 v16, 0xffff, v17
	v_lshrrev_b32_e32 v17, 16, v17
	v_pk_fma_f16 v20, v11, v28, v20
	v_pk_fma_f16 v12, v11, v14, v12
	v_mul_u32_u24_e32 v14, 0x10001, v9
	v_mul_u32_u24_e32 v28, 0x10001, v10
	;; [unrolled: 1-line block ×4, first 2 shown]
	v_pk_fma_f16 v22, v11, v58, v22
	v_pk_fma_f16 v57, v11, v15, v13
	s_wait_dscnt 0x0
	v_pk_fma_f16 v21, v4, v14, v21
	v_pk_fma_f16 v23, v4, v28, v23
	;; [unrolled: 1-line block ×4, first 2 shown]
	ds_load_2addr_b64 v[8:11], v88 offset0:192 offset1:224
	v_pk_fma_f16 v24, v5, v14, v24
	v_pk_fma_f16 v29, v5, v28, v29
	;; [unrolled: 1-line block ×10, first 2 shown]
	v_and_b32_e32 v5, 0xffff, v18
	v_dual_lshrrev_b32 v6, 16, v18 :: v_dual_lshrrev_b32 v18, 16, v19
	v_pk_fma_f16 v28, v7, v16, v12
	v_and_b32_e32 v16, 0xffff, v19
	ds_load_b128 v[12:15], v82 offset:384
	v_mul_u32_u24_e32 v19, 0x10001, v5
	v_mul_u32_u24_e32 v58, 0x10001, v6
	;; [unrolled: 1-line block ×4, first 2 shown]
	v_pk_fma_f16 v57, v7, v17, v57
	s_wait_dscnt 0x1
	v_pk_fma_f16 v21, v8, v19, v21
	v_pk_fma_f16 v23, v8, v58, v23
	;; [unrolled: 1-line block ×5, first 2 shown]
	ds_load_2addr_b64 v[4:7], v89 offset1:32
	v_pk_fma_f16 v29, v9, v58, v29
	v_pk_fma_f16 v30, v9, v59, v30
	;; [unrolled: 1-line block ×8, first 2 shown]
	ds_load_b128 v[16:19], v82 offset:400
	s_wait_dscnt 0x2
	v_and_b32_e32 v9, 0xffff, v12
	v_lshrrev_b32_e32 v10, 16, v12
	v_and_b32_e32 v12, 0xffff, v13
	v_lshrrev_b32_e32 v13, 16, v13
	v_pk_fma_f16 v22, v11, v58, v22
	v_pk_fma_f16 v28, v11, v59, v28
	v_mul_u32_u24_e32 v58, 0x10001, v9
	v_mul_u32_u24_e32 v59, 0x10001, v10
	;; [unrolled: 1-line block ×4, first 2 shown]
	v_pk_fma_f16 v57, v11, v60, v57
	s_wait_dscnt 0x1
	v_pk_fma_f16 v21, v4, v58, v21
	v_pk_fma_f16 v23, v4, v59, v23
	;; [unrolled: 1-line block ×4, first 2 shown]
	ds_load_2addr_b64 v[8:11], v89 offset0:64 offset1:96
	v_pk_fma_f16 v24, v5, v58, v24
	v_pk_fma_f16 v29, v5, v59, v29
	;; [unrolled: 1-line block ×8, first 2 shown]
	v_and_b32_e32 v5, 0xffff, v14
	v_lshrrev_b32_e32 v6, 16, v14
	v_and_b32_e32 v14, 0xffff, v15
	v_lshrrev_b32_e32 v15, 16, v15
	v_pk_fma_f16 v20, v7, v58, v20
	v_pk_fma_f16 v12, v7, v12, v28
	v_mul_u32_u24_e32 v28, 0x10001, v5
	v_mul_u32_u24_e32 v58, 0x10001, v6
	v_mul_u32_u24_e32 v14, 0x10001, v14
	v_mul_u32_u24_e32 v15, 0x10001, v15
	v_pk_fma_f16 v22, v7, v59, v22
	v_pk_fma_f16 v13, v7, v13, v57
	s_wait_dscnt 0x0
	v_pk_fma_f16 v21, v8, v28, v21
	v_pk_fma_f16 v23, v8, v58, v23
	;; [unrolled: 1-line block ×4, first 2 shown]
	ds_load_2addr_b64 v[4:7], v89 offset0:128 offset1:160
	v_pk_fma_f16 v24, v9, v28, v24
	v_pk_fma_f16 v29, v9, v58, v29
	;; [unrolled: 1-line block ×8, first 2 shown]
	v_and_b32_e32 v9, 0xffff, v16
	v_lshrrev_b32_e32 v10, 16, v16
	v_and_b32_e32 v16, 0xffff, v17
	v_lshrrev_b32_e32 v17, 16, v17
	v_pk_fma_f16 v20, v11, v28, v20
	v_pk_fma_f16 v12, v11, v14, v12
	v_mul_u32_u24_e32 v14, 0x10001, v9
	v_mul_u32_u24_e32 v28, 0x10001, v10
	v_mul_u32_u24_e32 v16, 0x10001, v16
	v_mul_u32_u24_e32 v17, 0x10001, v17
	v_pk_fma_f16 v22, v11, v58, v22
	v_pk_fma_f16 v57, v11, v15, v13
	s_wait_dscnt 0x0
	v_pk_fma_f16 v21, v4, v14, v21
	v_pk_fma_f16 v23, v4, v28, v23
	;; [unrolled: 1-line block ×4, first 2 shown]
	ds_load_2addr_b64 v[8:11], v89 offset0:192 offset1:224
	v_pk_fma_f16 v24, v5, v14, v24
	v_pk_fma_f16 v29, v5, v28, v29
	;; [unrolled: 1-line block ×10, first 2 shown]
	v_and_b32_e32 v5, 0xffff, v18
	v_dual_lshrrev_b32 v6, 16, v18 :: v_dual_lshrrev_b32 v18, 16, v19
	v_pk_fma_f16 v28, v7, v16, v12
	v_and_b32_e32 v16, 0xffff, v19
	ds_load_b128 v[12:15], v82 offset:416
	v_mul_u32_u24_e32 v19, 0x10001, v5
	v_mul_u32_u24_e32 v58, 0x10001, v6
	v_mul_u32_u24_e32 v60, 0x10001, v18
	v_mul_u32_u24_e32 v59, 0x10001, v16
	v_pk_fma_f16 v57, v7, v17, v57
	s_wait_dscnt 0x1
	v_pk_fma_f16 v21, v8, v19, v21
	v_pk_fma_f16 v23, v8, v58, v23
	;; [unrolled: 1-line block ×5, first 2 shown]
	ds_load_2addr_b64 v[4:7], v96 offset1:32
	v_pk_fma_f16 v29, v9, v58, v29
	v_pk_fma_f16 v30, v9, v59, v30
	;; [unrolled: 1-line block ×8, first 2 shown]
	ds_load_b128 v[16:19], v82 offset:432
	s_wait_dscnt 0x2
	v_and_b32_e32 v9, 0xffff, v12
	v_lshrrev_b32_e32 v10, 16, v12
	v_and_b32_e32 v12, 0xffff, v13
	v_lshrrev_b32_e32 v13, 16, v13
	v_pk_fma_f16 v22, v11, v58, v22
	v_pk_fma_f16 v28, v11, v59, v28
	v_mul_u32_u24_e32 v58, 0x10001, v9
	v_mul_u32_u24_e32 v59, 0x10001, v10
	;; [unrolled: 1-line block ×4, first 2 shown]
	v_pk_fma_f16 v57, v11, v60, v57
	s_wait_dscnt 0x1
	v_pk_fma_f16 v21, v4, v58, v21
	v_pk_fma_f16 v23, v4, v59, v23
	;; [unrolled: 1-line block ×4, first 2 shown]
	ds_load_2addr_b64 v[8:11], v96 offset0:64 offset1:96
	v_pk_fma_f16 v24, v5, v58, v24
	v_pk_fma_f16 v29, v5, v59, v29
	;; [unrolled: 1-line block ×8, first 2 shown]
	v_and_b32_e32 v5, 0xffff, v14
	v_lshrrev_b32_e32 v6, 16, v14
	v_and_b32_e32 v14, 0xffff, v15
	v_lshrrev_b32_e32 v15, 16, v15
	v_pk_fma_f16 v20, v7, v58, v20
	v_pk_fma_f16 v12, v7, v12, v28
	v_mul_u32_u24_e32 v28, 0x10001, v5
	v_mul_u32_u24_e32 v58, 0x10001, v6
	;; [unrolled: 1-line block ×4, first 2 shown]
	v_pk_fma_f16 v22, v7, v59, v22
	v_pk_fma_f16 v13, v7, v13, v57
	s_wait_dscnt 0x0
	v_pk_fma_f16 v21, v8, v28, v21
	v_pk_fma_f16 v23, v8, v58, v23
	;; [unrolled: 1-line block ×4, first 2 shown]
	ds_load_2addr_b64 v[4:7], v96 offset0:128 offset1:160
	v_pk_fma_f16 v24, v9, v28, v24
	v_pk_fma_f16 v29, v9, v58, v29
	;; [unrolled: 1-line block ×8, first 2 shown]
	v_and_b32_e32 v9, 0xffff, v16
	v_lshrrev_b32_e32 v10, 16, v16
	v_and_b32_e32 v16, 0xffff, v17
	v_lshrrev_b32_e32 v17, 16, v17
	v_pk_fma_f16 v20, v11, v28, v20
	v_pk_fma_f16 v12, v11, v14, v12
	v_mul_u32_u24_e32 v14, 0x10001, v9
	v_mul_u32_u24_e32 v28, 0x10001, v10
	;; [unrolled: 1-line block ×4, first 2 shown]
	v_pk_fma_f16 v22, v11, v58, v22
	v_pk_fma_f16 v57, v11, v15, v13
	s_wait_dscnt 0x0
	v_pk_fma_f16 v21, v4, v14, v21
	v_pk_fma_f16 v23, v4, v28, v23
	;; [unrolled: 1-line block ×4, first 2 shown]
	ds_load_2addr_b64 v[8:11], v96 offset0:192 offset1:224
	v_pk_fma_f16 v24, v5, v14, v24
	v_pk_fma_f16 v29, v5, v28, v29
	;; [unrolled: 1-line block ×10, first 2 shown]
	v_and_b32_e32 v5, 0xffff, v18
	v_dual_lshrrev_b32 v6, 16, v18 :: v_dual_lshrrev_b32 v18, 16, v19
	v_pk_fma_f16 v28, v7, v16, v12
	v_and_b32_e32 v16, 0xffff, v19
	ds_load_b128 v[12:15], v82 offset:448
	v_mul_u32_u24_e32 v19, 0x10001, v5
	v_mul_u32_u24_e32 v58, 0x10001, v6
	;; [unrolled: 1-line block ×4, first 2 shown]
	v_pk_fma_f16 v57, v7, v17, v57
	s_wait_dscnt 0x1
	v_pk_fma_f16 v21, v8, v19, v21
	v_pk_fma_f16 v23, v8, v58, v23
	;; [unrolled: 1-line block ×5, first 2 shown]
	ds_load_2addr_b64 v[4:7], v97 offset1:32
	v_pk_fma_f16 v29, v9, v58, v29
	v_pk_fma_f16 v30, v9, v59, v30
	v_pk_fma_f16 v25, v9, v60, v25
	v_pk_fma_f16 v31, v10, v19, v31
	v_pk_fma_f16 v40, v10, v58, v40
	v_pk_fma_f16 v56, v10, v59, v56
	v_pk_fma_f16 v26, v10, v60, v26
	v_pk_fma_f16 v20, v11, v19, v20
	ds_load_b128 v[16:19], v82 offset:464
	s_wait_dscnt 0x2
	v_and_b32_e32 v9, 0xffff, v12
	v_lshrrev_b32_e32 v10, 16, v12
	v_and_b32_e32 v12, 0xffff, v13
	v_lshrrev_b32_e32 v13, 16, v13
	v_pk_fma_f16 v22, v11, v58, v22
	v_pk_fma_f16 v28, v11, v59, v28
	v_mul_u32_u24_e32 v58, 0x10001, v9
	v_mul_u32_u24_e32 v59, 0x10001, v10
	;; [unrolled: 1-line block ×4, first 2 shown]
	v_pk_fma_f16 v57, v11, v60, v57
	s_wait_dscnt 0x1
	v_pk_fma_f16 v21, v4, v58, v21
	v_pk_fma_f16 v23, v4, v59, v23
	;; [unrolled: 1-line block ×4, first 2 shown]
	ds_load_2addr_b64 v[8:11], v97 offset0:64 offset1:96
	v_pk_fma_f16 v24, v5, v58, v24
	v_pk_fma_f16 v29, v5, v59, v29
	v_pk_fma_f16 v30, v5, v12, v30
	v_pk_fma_f16 v25, v5, v13, v25
	v_pk_fma_f16 v31, v6, v58, v31
	v_pk_fma_f16 v40, v6, v59, v40
	v_pk_fma_f16 v56, v6, v12, v56
	v_pk_fma_f16 v26, v6, v13, v26
	v_and_b32_e32 v5, 0xffff, v14
	v_lshrrev_b32_e32 v6, 16, v14
	v_and_b32_e32 v14, 0xffff, v15
	v_lshrrev_b32_e32 v15, 16, v15
	v_pk_fma_f16 v20, v7, v58, v20
	v_pk_fma_f16 v12, v7, v12, v28
	v_mul_u32_u24_e32 v28, 0x10001, v5
	v_mul_u32_u24_e32 v58, 0x10001, v6
	;; [unrolled: 1-line block ×4, first 2 shown]
	v_pk_fma_f16 v22, v7, v59, v22
	v_pk_fma_f16 v13, v7, v13, v57
	s_wait_dscnt 0x0
	v_pk_fma_f16 v21, v8, v28, v21
	v_pk_fma_f16 v23, v8, v58, v23
	;; [unrolled: 1-line block ×4, first 2 shown]
	ds_load_2addr_b64 v[4:7], v97 offset0:128 offset1:160
	v_pk_fma_f16 v24, v9, v28, v24
	v_pk_fma_f16 v29, v9, v58, v29
	;; [unrolled: 1-line block ×8, first 2 shown]
	v_and_b32_e32 v9, 0xffff, v16
	v_lshrrev_b32_e32 v10, 16, v16
	v_and_b32_e32 v16, 0xffff, v17
	v_lshrrev_b32_e32 v17, 16, v17
	v_pk_fma_f16 v20, v11, v28, v20
	v_pk_fma_f16 v12, v11, v14, v12
	v_mul_u32_u24_e32 v14, 0x10001, v9
	v_mul_u32_u24_e32 v28, 0x10001, v10
	;; [unrolled: 1-line block ×4, first 2 shown]
	v_pk_fma_f16 v22, v11, v58, v22
	v_pk_fma_f16 v57, v11, v15, v13
	s_wait_dscnt 0x0
	v_pk_fma_f16 v21, v4, v14, v21
	v_pk_fma_f16 v23, v4, v28, v23
	;; [unrolled: 1-line block ×4, first 2 shown]
	ds_load_2addr_b64 v[8:11], v97 offset0:192 offset1:224
	v_pk_fma_f16 v24, v5, v14, v24
	v_pk_fma_f16 v29, v5, v28, v29
	;; [unrolled: 1-line block ×10, first 2 shown]
	v_and_b32_e32 v5, 0xffff, v18
	v_dual_lshrrev_b32 v6, 16, v18 :: v_dual_lshrrev_b32 v18, 16, v19
	v_pk_fma_f16 v28, v7, v16, v12
	v_and_b32_e32 v16, 0xffff, v19
	ds_load_b128 v[12:15], v82 offset:480
	v_mul_u32_u24_e32 v19, 0x10001, v5
	v_mul_u32_u24_e32 v58, 0x10001, v6
	;; [unrolled: 1-line block ×4, first 2 shown]
	v_pk_fma_f16 v57, v7, v17, v57
	s_wait_dscnt 0x1
	v_pk_fma_f16 v21, v8, v19, v21
	v_pk_fma_f16 v23, v8, v58, v23
	;; [unrolled: 1-line block ×5, first 2 shown]
	ds_load_2addr_b64 v[4:7], v86 offset1:32
	v_pk_fma_f16 v29, v9, v58, v29
	v_pk_fma_f16 v30, v9, v59, v30
	;; [unrolled: 1-line block ×8, first 2 shown]
	ds_load_b128 v[16:19], v82 offset:496
	s_wait_dscnt 0x2
	v_and_b32_e32 v9, 0xffff, v12
	v_lshrrev_b32_e32 v10, 16, v12
	v_and_b32_e32 v12, 0xffff, v13
	v_lshrrev_b32_e32 v13, 16, v13
	v_pk_fma_f16 v22, v11, v58, v22
	v_pk_fma_f16 v28, v11, v59, v28
	v_mul_u32_u24_e32 v58, 0x10001, v9
	v_mul_u32_u24_e32 v59, 0x10001, v10
	;; [unrolled: 1-line block ×4, first 2 shown]
	v_pk_fma_f16 v57, v11, v60, v57
	s_wait_dscnt 0x1
	v_pk_fma_f16 v21, v4, v58, v21
	v_pk_fma_f16 v23, v4, v59, v23
	;; [unrolled: 1-line block ×4, first 2 shown]
	ds_load_2addr_b64 v[8:11], v86 offset0:64 offset1:96
	v_pk_fma_f16 v24, v5, v58, v24
	v_pk_fma_f16 v29, v5, v59, v29
	;; [unrolled: 1-line block ×8, first 2 shown]
	v_and_b32_e32 v5, 0xffff, v14
	v_lshrrev_b32_e32 v6, 16, v14
	v_and_b32_e32 v14, 0xffff, v15
	v_lshrrev_b32_e32 v15, 16, v15
	v_pk_fma_f16 v20, v7, v58, v20
	v_pk_fma_f16 v12, v7, v12, v28
	v_mul_u32_u24_e32 v28, 0x10001, v5
	v_mul_u32_u24_e32 v58, 0x10001, v6
	;; [unrolled: 1-line block ×4, first 2 shown]
	v_pk_fma_f16 v22, v7, v59, v22
	v_pk_fma_f16 v13, v7, v13, v57
	s_wait_dscnt 0x0
	v_pk_fma_f16 v21, v8, v28, v21
	v_pk_fma_f16 v23, v8, v58, v23
	v_pk_fma_f16 v27, v8, v14, v27
	v_pk_fma_f16 v8, v8, v15, v4
	ds_load_2addr_b64 v[4:7], v86 offset0:128 offset1:160
	v_pk_fma_f16 v24, v9, v28, v24
	v_pk_fma_f16 v29, v9, v58, v29
	v_pk_fma_f16 v30, v9, v14, v30
	v_pk_fma_f16 v9, v9, v15, v25
	v_pk_fma_f16 v25, v10, v28, v31
	v_pk_fma_f16 v31, v10, v58, v40
	v_pk_fma_f16 v40, v10, v14, v56
	v_pk_fma_f16 v26, v10, v15, v26
	v_pk_fma_f16 v20, v11, v28, v20
	v_and_b32_e32 v10, 0xffff, v16
	v_lshrrev_b32_e32 v16, 16, v16
	v_and_b32_e32 v28, 0xffff, v17
	v_lshrrev_b32_e32 v17, 16, v17
	v_pk_fma_f16 v12, v11, v14, v12
	v_mul_u32_u24_e32 v14, 0x10001, v10
	v_mul_u32_u24_e32 v16, 0x10001, v16
	;; [unrolled: 1-line block ×4, first 2 shown]
	v_pk_fma_f16 v22, v11, v58, v22
	v_pk_fma_f16 v13, v11, v15, v13
	s_wait_dscnt 0x0
	v_pk_fma_f16 v15, v4, v14, v21
	v_pk_fma_f16 v21, v4, v16, v23
	;; [unrolled: 1-line block ×8, first 2 shown]
	ds_load_2addr_b64 v[8:11], v86 offset0:192 offset1:224
	s_wait_dscnt 0x0
	s_barrier_signal -1
	s_barrier_wait -1
	s_load_b32 s5, s[20:21], 0x4
	v_pk_fma_f16 v57, v6, v14, v25
	v_pk_fma_f16 v31, v6, v16, v31
	;; [unrolled: 1-line block ×3, first 2 shown]
	v_and_b32_e32 v20, 0xffff, v18
	v_pk_fma_f16 v16, v7, v16, v22
	v_dual_lshrrev_b32 v18, 16, v18 :: v_dual_lshrrev_b32 v22, 16, v19
	v_and_b32_e32 v19, 0xffff, v19
	v_pk_fma_f16 v40, v6, v28, v40
	v_pk_fma_f16 v6, v6, v17, v26
	v_pk_fma_f16 v12, v7, v28, v12
	v_mul_u32_u24_e32 v28, 0x10001, v20
	v_mul_u32_u24_e32 v18, 0x10001, v18
	;; [unrolled: 1-line block ×4, first 2 shown]
	v_pk_fma_f16 v7, v7, v17, v13
	v_pk_fma_f16 v29, v8, v28, v15
	;; [unrolled: 1-line block ×4, first 2 shown]
	s_wait_kmcnt 0x0
	s_lshl_b32 s5, s5, 6
	v_pk_fma_f16 v25, v8, v58, v4
	v_pk_fma_f16 v89, v9, v28, v27
	;; [unrolled: 1-line block ×13, first 2 shown]
	s_add_co_i32 s4, s5, s4
	s_delay_alu instid0(SALU_CYCLE_1)
	s_cmp_ge_i32 s4, s30
	s_cbranch_scc1 .LBB61_43
; %bb.42:                               ;   in Loop: Header=BB61_9 Depth=1
	v_dual_mov_b32 v56, v0 :: v_dual_mov_b32 v58, v1
	v_dual_mov_b32 v57, v2 :: v_dual_mov_b32 v59, v3
	s_branch .LBB61_9
.LBB61_43:
	v_mov_b32_e32 v4, v73
.LBB61_44:
	v_cmp_lt_i32_e32 vcc_lo, v94, v74
	s_cmp_lg_u64 s[12:13], 0
	s_cselect_b32 s3, -1, 0
	s_cmp_eq_u32 s31, 0
	v_cndmask_b32_e32 v5, v4, v94, vcc_lo
	v_cmp_lt_i32_e32 vcc_lo, v93, v74
	s_cselect_b32 s4, -1, 0
	s_delay_alu instid0(SALU_CYCLE_1) | instskip(NEXT) | instid1(VALU_DEP_2)
	s_and_b32 s3, s4, s3
	v_lshlrev_b32_e32 v5, 2, v5
	ds_bpermute_b32 v6, v5, v34
	ds_bpermute_b32 v7, v5, v35
	;; [unrolled: 1-line block ×4, first 2 shown]
	v_cndmask_b32_e32 v5, v4, v93, vcc_lo
	v_cmp_lt_i32_e32 vcc_lo, v92, v74
	s_delay_alu instid0(VALU_DEP_2)
	v_lshlrev_b32_e32 v5, 2, v5
	s_wait_dscnt 0x2
	v_pk_add_f32 v[6:7], v[34:35], v[6:7]
	s_wait_dscnt 0x0
	v_pk_add_f32 v[8:9], v[32:33], v[8:9]
	ds_bpermute_b32 v10, v5, v6
	ds_bpermute_b32 v11, v5, v7
	;; [unrolled: 1-line block ×4, first 2 shown]
	v_cndmask_b32_e32 v5, v4, v92, vcc_lo
	v_cmp_lt_i32_e32 vcc_lo, v91, v74
	s_delay_alu instid0(VALU_DEP_2)
	v_lshlrev_b32_e32 v5, 2, v5
	s_wait_dscnt 0x2
	v_pk_add_f32 v[6:7], v[6:7], v[10:11]
	s_wait_dscnt 0x0
	v_pk_add_f32 v[8:9], v[8:9], v[12:13]
	ds_bpermute_b32 v10, v5, v6
	ds_bpermute_b32 v11, v5, v7
	ds_bpermute_b32 v12, v5, v8
	ds_bpermute_b32 v13, v5, v9
	v_cndmask_b32_e32 v5, v4, v91, vcc_lo
	v_cmp_lt_i32_e32 vcc_lo, v90, v74
	s_delay_alu instid0(VALU_DEP_2) | instskip(SKIP_1) | instid1(VALU_DEP_1)
	v_dual_cndmask_b32 v4, v4, v90 :: v_dual_lshlrev_b32 v5, 2, v5
	s_and_b32 vcc_lo, exec_lo, s3
	v_lshlrev_b32_e32 v14, 2, v4
	s_wait_dscnt 0x2
	v_pk_add_f32 v[6:7], v[6:7], v[10:11]
	s_wait_dscnt 0x0
	v_pk_add_f32 v[8:9], v[8:9], v[12:13]
	ds_bpermute_b32 v10, v5, v6
	ds_bpermute_b32 v11, v5, v7
	;; [unrolled: 1-line block ×4, first 2 shown]
	s_wait_dscnt 0x2
	v_pk_add_f32 v[4:5], v[6:7], v[10:11]
	s_wait_dscnt 0x0
	v_pk_add_f32 v[8:9], v[8:9], v[12:13]
	ds_bpermute_b32 v6, v14, v4
	ds_bpermute_b32 v7, v14, v5
	;; [unrolled: 1-line block ×4, first 2 shown]
	s_wait_dscnt 0x2
	v_pk_add_f32 v[6:7], v[4:5], v[6:7]
	s_wait_dscnt 0x0
	v_pk_add_f32 v[4:5], v[8:9], v[10:11]
	s_cbranch_vccz .LBB61_46
; %bb.45:
	s_ashr_i32 s29, s28, 31
	v_dual_mov_b32 v8, 0 :: v_dual_max_num_f32 v12, v0, v0
	s_lshl_b64 s[4:5], s[28:29], 2
	v_dual_max_num_f32 v13, v1, v1 :: v_dual_max_num_f32 v14, v2, v2
	s_add_nc_u64 s[4:5], s[12:13], s[4:5]
	v_max_num_f32_e32 v16, v3, v3
	global_load_b128 v[8:11], v8, s[4:5]
	s_wait_loadcnt 0x0
	v_dual_max_num_f32 v15, v8, v8 :: v_dual_max_num_f32 v17, v9, v9
	v_dual_max_num_f32 v18, v10, v10 :: v_dual_max_num_f32 v19, v11, v11
	s_delay_alu instid0(VALU_DEP_2) | instskip(NEXT) | instid1(VALU_DEP_2)
	v_dual_max_num_f32 v12, v12, v15 :: v_dual_max_num_f32 v13, v13, v17
	v_dual_max_num_f32 v14, v14, v18 :: v_dual_max_num_f32 v15, v16, v19
	s_delay_alu instid0(VALU_DEP_2) | instskip(NEXT) | instid1(VALU_DEP_2)
	v_dual_sub_f32 v0, v0, v12 :: v_dual_sub_f32 v9, v9, v13
	v_dual_sub_f32 v8, v8, v12 :: v_dual_sub_f32 v16, v2, v14
	s_delay_alu instid0(VALU_DEP_3) | instskip(NEXT) | instid1(VALU_DEP_3)
	v_dual_sub_f32 v1, v1, v13 :: v_dual_sub_f32 v11, v11, v15
	v_mul_f32_e32 v2, 0x3fb8aa3b, v0
	v_dual_sub_f32 v10, v10, v14 :: v_dual_sub_f32 v17, v3, v15
	s_delay_alu instid0(VALU_DEP_3) | instskip(SKIP_1) | instid1(VALU_DEP_4)
	v_dual_mul_f32 v3, 0x3fb8aa3b, v8 :: v_dual_mul_f32 v18, 0x3fb8aa3b, v1
	v_dual_mul_f32 v19, 0x3fb8aa3b, v9 :: v_dual_mul_f32 v32, 0x3fb8aa3b, v16
	v_fma_f32 v36, 0x3fb8aa3b, v0, -v2
	v_rndne_f32_e32 v37, v2
	v_mul_f32_e32 v35, 0x3fb8aa3b, v11
	v_fma_f32 v38, 0x3fb8aa3b, v8, -v3
	v_rndne_f32_e32 v39, v3
	v_fma_f32 v42, 0x3fb8aa3b, v9, -v19
	v_rndne_f32_e32 v43, v19
	v_rndne_f32_e32 v45, v32
	s_delay_alu instid0(VALU_DEP_4) | instskip(SKIP_4) | instid1(VALU_DEP_4)
	v_dual_fmac_f32 v36, 0x32a5705f, v0 :: v_dual_sub_f32 v3, v3, v39
	v_sub_f32_e32 v2, v2, v37
	v_fma_f32 v44, 0x3fb8aa3b, v16, -v32
	v_dual_fmac_f32 v38, 0x32a5705f, v8 :: v_dual_sub_f32 v19, v19, v43
	v_fmac_f32_e32 v42, 0x32a5705f, v9
	v_dual_sub_f32 v32, v32, v45 :: v_dual_add_f32 v2, v2, v36
	v_dual_mul_f32 v33, 0x3fb8aa3b, v10 :: v_dual_mul_f32 v34, 0x3fb8aa3b, v17
	v_fma_f32 v40, 0x3fb8aa3b, v1, -v18
	v_rndne_f32_e32 v41, v18
	v_dual_add_f32 v3, v3, v38 :: v_dual_fmac_f32 v44, 0x32a5705f, v16
	v_add_f32_e32 v19, v19, v42
	v_exp_f32_e32 v2, v2
	v_rndne_f32_e32 v47, v33
	v_rndne_f32_e32 v51, v35
	v_cvt_i32_f32_e32 v37, v37
	v_fmac_f32_e32 v40, 0x32a5705f, v1
	v_sub_f32_e32 v18, v18, v41
	v_exp_f32_e32 v3, v3
	v_exp_f32_e32 v19, v19
	v_fma_f32 v46, 0x3fb8aa3b, v10, -v33
	v_fma_f32 v50, 0x3fb8aa3b, v11, -v35
	v_cvt_i32_f32_e32 v39, v39
	v_cvt_i32_f32_e32 v43, v43
	v_sub_f32_e32 v33, v33, v47
	v_dual_sub_f32 v35, v35, v51 :: v_dual_add_f32 v18, v18, v40
	v_ldexp_f32 v2, v2, v37
	v_cmp_ngt_f32_e32 vcc_lo, 0xc2ce8ed0, v0
	v_fma_f32 v48, 0x3fb8aa3b, v17, -v34
	v_rndne_f32_e32 v49, v34
	v_exp_f32_e32 v18, v18
	v_ldexp_f32 v3, v3, v39
	v_ldexp_f32 v19, v19, v43
	v_cndmask_b32_e32 v2, 0, v2, vcc_lo
	v_cmp_ngt_f32_e32 vcc_lo, 0xc2ce8ed0, v8
	v_cvt_i32_f32_e32 v41, v41
	v_fmac_f32_e32 v46, 0x32a5705f, v10
	v_dual_sub_f32 v34, v34, v49 :: v_dual_add_f32 v32, v32, v44
	v_dual_cndmask_b32 v3, 0, v3 :: v_dual_fmac_f32 v48, 0x32a5705f, v17
	s_delay_alu instid0(VALU_DEP_3)
	v_add_f32_e32 v33, v33, v46
	v_ldexp_f32 v18, v18, v41
	v_cmp_ngt_f32_e32 vcc_lo, 0xc2ce8ed0, v1
	v_exp_f32_e32 v32, v32
	v_add_f32_e32 v34, v34, v48
	v_cvt_i32_f32_e32 v45, v45
	v_exp_f32_e32 v33, v33
	v_cndmask_b32_e32 v18, 0, v18, vcc_lo
	v_cmp_ngt_f32_e32 vcc_lo, 0xc2ce8ed0, v9
	v_exp_f32_e32 v34, v34
	v_cvt_i32_f32_e32 v47, v47
	v_cvt_i32_f32_e32 v49, v49
	v_ldexp_f32 v32, v32, v45
	v_cndmask_b32_e32 v19, 0, v19, vcc_lo
	v_cmp_ngt_f32_e32 vcc_lo, 0xc2ce8ed0, v16
	v_ldexp_f32 v33, v33, v47
	v_ldexp_f32 v34, v34, v49
	v_cvt_i32_f32_e32 v51, v51
	v_cndmask_b32_e32 v32, 0, v32, vcc_lo
	v_cmp_ngt_f32_e32 vcc_lo, 0xc2ce8ed0, v10
	v_dual_fmac_f32 v50, 0x32a5705f, v11 :: v_dual_cndmask_b32 v33, 0, v33
	s_delay_alu instid0(VALU_DEP_1) | instskip(SKIP_1) | instid1(VALU_DEP_2)
	v_add_f32_e32 v35, v35, v50
	v_cmp_ngt_f32_e32 vcc_lo, 0xc2ce8ed0, v17
	v_exp_f32_e32 v35, v35
	v_cndmask_b32_e32 v34, 0, v34, vcc_lo
	v_cmp_ngt_f32_e32 vcc_lo, 0xc2ce8ed0, v11
	s_delay_alu instid0(TRANS32_DEP_1) | instskip(NEXT) | instid1(VALU_DEP_1)
	v_ldexp_f32 v35, v35, v51
	v_cndmask_b32_e32 v35, 0, v35, vcc_lo
	v_cmp_nlt_f32_e32 vcc_lo, 0x42b17218, v0
	v_cndmask_b32_e32 v0, 0x7f800000, v2, vcc_lo
	v_cmp_nlt_f32_e32 vcc_lo, 0x42b17218, v8
	;; [unrolled: 2-line block ×5, first 2 shown]
	v_cvt_f16_f32_e32 v16, v0
	s_delay_alu instid0(VALU_DEP_3) | instskip(SKIP_2) | instid1(VALU_DEP_4)
	v_pk_fma_f32 v[6:7], v[6:7], v[0:1], v[2:3]
	v_cndmask_b32_e32 v8, 0x7f800000, v32, vcc_lo
	v_cmp_nlt_f32_e32 vcc_lo, 0x42b17218, v10
	v_and_b32_e32 v16, 0xffff, v16
	s_delay_alu instid0(VALU_DEP_3)
	v_cvt_f16_f32_e32 v18, v8
	v_cndmask_b32_e32 v10, 0x7f800000, v33, vcc_lo
	v_cmp_nlt_f32_e32 vcc_lo, 0x42b17218, v17
	v_cvt_f16_f32_e32 v17, v1
	v_mul_u32_u24_e32 v3, 0x10001, v16
	v_and_b32_e32 v1, 0xffff, v18
	v_cndmask_b32_e32 v9, 0x7f800000, v34, vcc_lo
	s_delay_alu instid0(VALU_DEP_4) | instskip(SKIP_1) | instid1(VALU_DEP_4)
	v_and_b32_e32 v0, 0xffff, v17
	v_cmp_nlt_f32_e32 vcc_lo, 0x42b17218, v11
	v_mul_u32_u24_e32 v1, 0x10001, v1
	v_pk_mul_f16 v29, v29, v3
	v_cvt_f16_f32_e32 v19, v9
	v_mul_u32_u24_e32 v0, 0x10001, v0
	v_cndmask_b32_e32 v11, 0x7f800000, v35, vcc_lo
	v_pk_mul_f16 v89, v89, v3
	v_pk_mul_f16 v88, v88, v3
	v_and_b32_e32 v2, 0xffff, v19
	v_pk_mul_f16 v87, v87, v3
	v_pk_mul_f16 v24, v24, v0
	;; [unrolled: 1-line block ×4, first 2 shown]
	v_mul_u32_u24_e32 v2, 0x10001, v2
	v_pk_mul_f16 v30, v30, v0
	v_pk_mul_f16 v20, v20, v1
	;; [unrolled: 1-line block ×9, first 2 shown]
	v_mov_b64_e32 v[0:1], v[12:13]
	v_mov_b64_e32 v[2:3], v[14:15]
	v_pk_fma_f32 v[4:5], v[4:5], v[8:9], v[10:11]
.LBB61_46:
	s_mov_b32 s3, exec_lo
	v_cmpx_gt_i32_e64 s22, v69
	s_cbranch_execz .LBB61_63
; %bb.47:
	s_load_b32 s0, s[0:1], 0xd4
	v_mov_b32_e32 v8, 1.0
	s_wait_kmcnt 0x0
	s_cmp_lg_u32 s0, 1
	s_cselect_b32 s1, -1, 0
	s_cmp_eq_u32 s0, 1
	s_cselect_b32 s3, -1, 0
	s_and_b32 vcc_lo, exec_lo, s1
	s_cbranch_vccnz .LBB61_49
; %bb.48:
	v_div_scale_f32 v8, null, v6, v6, 1.0
	s_delay_alu instid0(VALU_DEP_1) | instskip(SKIP_1) | instid1(TRANS32_DEP_1)
	v_rcp_f32_e32 v9, v8
	v_nop
	v_fma_f32 v10, -v8, v9, 1.0
	s_delay_alu instid0(VALU_DEP_1) | instskip(SKIP_1) | instid1(VALU_DEP_1)
	v_fmac_f32_e32 v9, v10, v9
	v_div_scale_f32 v10, vcc_lo, 1.0, v6, 1.0
	v_mul_f32_e32 v11, v10, v9
	s_delay_alu instid0(VALU_DEP_1) | instskip(NEXT) | instid1(VALU_DEP_1)
	v_fma_f32 v12, -v8, v11, v10
	v_fmac_f32_e32 v11, v12, v9
	s_delay_alu instid0(VALU_DEP_1) | instskip(NEXT) | instid1(VALU_DEP_1)
	v_fma_f32 v8, -v8, v11, v10
	v_div_fmas_f32 v8, v8, v9, v11
	s_delay_alu instid0(VALU_DEP_1)
	v_div_fixup_f32 v8, v8, v6, 1.0
.LBB61_49:
	v_mad_u32 v9, s2, s22, v69
	v_dual_mov_b32 v17, 0 :: v_dual_lshrrev_b32 v11, 16, v29
	v_dual_lshrrev_b32 v13, 16, v89 :: v_dual_lshrrev_b32 v15, 16, v88
	v_lshrrev_b32_e32 v19, 16, v87
	v_cvt_f32_f16_e32 v10, v29
	v_cvt_f32_f16_e32 v12, v89
	;; [unrolled: 1-line block ×5, first 2 shown]
	v_mad_u32 v9, v9, s23, s28
	v_cvt_f32_f16_e32 v18, v87
	v_cvt_f32_f16_e32 v15, v15
	;; [unrolled: 1-line block ×3, first 2 shown]
	v_cmp_eq_u32_e32 vcc_lo, 0, v70
	s_and_b32 s1, vcc_lo, s1
	v_mad_u32 v9, s0, v9, s31
	s_delay_alu instid0(VALU_DEP_1) | instskip(SKIP_3) | instid1(VALU_DEP_4)
	v_lshl_add_u32 v16, v9, 8, v68
	v_pk_mul_f32 v[10:11], v[8:9], v[10:11] op_sel_hi:[0,1]
	v_pk_mul_f32 v[12:13], v[8:9], v[12:13] op_sel_hi:[0,1]
	;; [unrolled: 1-line block ×3, first 2 shown]
	v_lshl_add_u64 v[32:33], v[16:17], 2, s[16:17]
	v_add_nc_u32_e32 v16, 0x80, v16
	s_delay_alu instid0(VALU_DEP_1)
	v_lshl_add_u64 v[34:35], v[16:17], 2, s[16:17]
	v_pk_mul_f32 v[16:17], v[8:9], v[18:19] op_sel_hi:[0,1]
	s_clause 0x1
	global_store_b128 v[32:33], v[10:13], off
	global_store_b128 v[34:35], v[14:17], off
	s_wait_xcnt 0x0
	s_and_saveexec_b32 s2, s1
	s_cbranch_execz .LBB61_51
; %bb.50:
	v_dual_mov_b32 v10, v0 :: v_dual_mov_b32 v11, v6
	global_store_b64 v9, v[10:11], s[18:19] scale_offset
.LBB61_51:
	s_wait_xcnt 0x0
	s_or_b32 exec_lo, exec_lo, s2
	v_cndmask_b32_e64 v8, 0, 1, s3
	v_mov_b32_e32 v0, 1.0
	s_and_not1_b32 vcc_lo, exec_lo, s3
	s_cbranch_vccnz .LBB61_53
; %bb.52:
	v_div_scale_f32 v0, null, v7, v7, 1.0
	s_delay_alu instid0(VALU_DEP_1) | instskip(SKIP_1) | instid1(TRANS32_DEP_1)
	v_rcp_f32_e32 v6, v0
	v_nop
	v_fma_f32 v10, -v0, v6, 1.0
	s_delay_alu instid0(VALU_DEP_1) | instskip(SKIP_1) | instid1(VALU_DEP_1)
	v_fmac_f32_e32 v6, v10, v6
	v_div_scale_f32 v10, vcc_lo, 1.0, v7, 1.0
	v_mul_f32_e32 v11, v10, v6
	s_delay_alu instid0(VALU_DEP_1) | instskip(NEXT) | instid1(VALU_DEP_1)
	v_fma_f32 v12, -v0, v11, v10
	v_fmac_f32_e32 v11, v12, v6
	s_delay_alu instid0(VALU_DEP_1) | instskip(NEXT) | instid1(VALU_DEP_1)
	v_fma_f32 v0, -v0, v11, v10
	v_div_fmas_f32 v0, v0, v6, v11
	s_delay_alu instid0(VALU_DEP_1)
	v_div_fixup_f32 v0, v0, v7, 1.0
.LBB61_53:
	v_dual_add_nc_u32 v9, s0, v9 :: v_dual_mov_b32 v15, 0
	v_dual_lshrrev_b32 v6, 16, v24 :: v_dual_lshrrev_b32 v12, 16, v86
	v_cvt_f32_f16_e32 v10, v24
	s_delay_alu instid0(VALU_DEP_3) | instskip(SKIP_1) | instid1(VALU_DEP_4)
	v_lshl_add_u32 v14, v9, 8, v68
	v_dual_lshrrev_b32 v16, 16, v31 :: v_dual_lshrrev_b32 v24, 16, v30
	v_cvt_f32_f16_e32 v11, v6
	v_cvt_f32_f16_e32 v13, v12
	;; [unrolled: 1-line block ×3, first 2 shown]
	v_lshl_add_u64 v[18:19], v[14:15], 2, s[16:17]
	v_add_nc_u32_e32 v14, 0x80, v14
	v_cvt_f32_f16_e32 v17, v16
	v_cvt_f32_f16_e32 v16, v31
	;; [unrolled: 1-line block ×4, first 2 shown]
	v_pk_mul_f32 v[10:11], v[0:1], v[10:11] op_sel_hi:[0,1]
	v_pk_mul_f32 v[12:13], v[0:1], v[12:13] op_sel_hi:[0,1]
	v_lshl_add_u64 v[32:33], v[14:15], 2, s[16:17]
	v_pk_mul_f32 v[14:15], v[0:1], v[16:17] op_sel_hi:[0,1]
	v_pk_mul_f32 v[16:17], v[0:1], v[30:31] op_sel_hi:[0,1]
	s_clause 0x1
	global_store_b128 v[18:19], v[10:13], off
	global_store_b128 v[32:33], v[14:17], off
	s_wait_xcnt 0x0
	s_and_saveexec_b32 s2, s1
	s_cbranch_execz .LBB61_55
; %bb.54:
	v_mov_b32_e32 v6, v1
	global_store_b64 v9, v[6:7], s[18:19] scale_offset
.LBB61_55:
	s_wait_xcnt 0x0
	s_or_b32 exec_lo, exec_lo, s2
	v_cmp_ne_u32_e32 vcc_lo, 1, v8
	v_mov_b32_e32 v0, 1.0
	s_cbranch_vccnz .LBB61_57
; %bb.56:
	v_div_scale_f32 v0, null, v4, v4, 1.0
	s_delay_alu instid0(VALU_DEP_1) | instskip(SKIP_1) | instid1(TRANS32_DEP_1)
	v_rcp_f32_e32 v1, v0
	v_nop
	v_fma_f32 v6, -v0, v1, 1.0
	s_delay_alu instid0(VALU_DEP_1) | instskip(SKIP_1) | instid1(VALU_DEP_1)
	v_fmac_f32_e32 v1, v6, v1
	v_div_scale_f32 v6, vcc_lo, 1.0, v4, 1.0
	v_mul_f32_e32 v7, v6, v1
	s_delay_alu instid0(VALU_DEP_1) | instskip(NEXT) | instid1(VALU_DEP_1)
	v_fma_f32 v10, -v0, v7, v6
	v_fmac_f32_e32 v7, v10, v1
	s_delay_alu instid0(VALU_DEP_1) | instskip(NEXT) | instid1(VALU_DEP_1)
	v_fma_f32 v0, -v0, v7, v6
	v_div_fmas_f32 v0, v0, v1, v7
	s_delay_alu instid0(VALU_DEP_1)
	v_div_fixup_f32 v0, v0, v4, 1.0
.LBB61_57:
	v_dual_add_nc_u32 v1, s0, v9 :: v_dual_mov_b32 v7, 0
	v_dual_lshrrev_b32 v9, 16, v20 :: v_dual_lshrrev_b32 v12, 16, v26
	v_dual_lshrrev_b32 v14, 16, v27 :: v_dual_lshrrev_b32 v16, 16, v28
	s_delay_alu instid0(VALU_DEP_3) | instskip(SKIP_1) | instid1(VALU_DEP_4)
	v_lshl_add_u32 v6, v1, 8, v68
	v_cvt_f32_f16_e32 v10, v20
	v_cvt_f32_f16_e32 v11, v9
	;; [unrolled: 1-line block ×4, first 2 shown]
	v_lshl_add_u64 v[18:19], v[6:7], 2, s[16:17]
	v_add_nc_u32_e32 v6, 0x80, v6
	v_cvt_f32_f16_e32 v15, v14
	v_cvt_f32_f16_e32 v14, v27
	;; [unrolled: 1-line block ×4, first 2 shown]
	v_pk_mul_f32 v[10:11], v[0:1], v[10:11] op_sel_hi:[0,1]
	v_pk_mul_f32 v[12:13], v[0:1], v[12:13] op_sel_hi:[0,1]
	v_lshl_add_u64 v[6:7], v[6:7], 2, s[16:17]
	v_pk_mul_f32 v[14:15], v[0:1], v[14:15] op_sel_hi:[0,1]
	v_pk_mul_f32 v[16:17], v[0:1], v[16:17] op_sel_hi:[0,1]
	s_clause 0x1
	global_store_b128 v[18:19], v[10:13], off
	global_store_b128 v[6:7], v[14:17], off
	s_wait_xcnt 0x0
	s_and_saveexec_b32 s2, s1
	s_cbranch_execz .LBB61_59
; %bb.58:
	v_dual_mov_b32 v6, v2 :: v_dual_mov_b32 v7, v4
	global_store_b64 v1, v[6:7], s[18:19] scale_offset
.LBB61_59:
	s_wait_xcnt 0x0
	s_or_b32 exec_lo, exec_lo, s2
	v_cmp_ne_u32_e32 vcc_lo, 1, v8
	v_mov_b32_e32 v0, 1.0
	s_cbranch_vccnz .LBB61_61
; %bb.60:
	v_div_scale_f32 v0, null, v5, v5, 1.0
	s_delay_alu instid0(VALU_DEP_1) | instskip(SKIP_1) | instid1(TRANS32_DEP_1)
	v_rcp_f32_e32 v2, v0
	v_nop
	v_fma_f32 v4, -v0, v2, 1.0
	s_delay_alu instid0(VALU_DEP_1) | instskip(SKIP_1) | instid1(VALU_DEP_1)
	v_fmac_f32_e32 v2, v4, v2
	v_div_scale_f32 v4, vcc_lo, 1.0, v5, 1.0
	v_mul_f32_e32 v6, v4, v2
	s_delay_alu instid0(VALU_DEP_1) | instskip(NEXT) | instid1(VALU_DEP_1)
	v_fma_f32 v7, -v0, v6, v4
	v_fmac_f32_e32 v6, v7, v2
	s_delay_alu instid0(VALU_DEP_1) | instskip(NEXT) | instid1(VALU_DEP_1)
	v_fma_f32 v0, -v0, v6, v4
	v_div_fmas_f32 v0, v0, v2, v6
	s_delay_alu instid0(VALU_DEP_1)
	v_div_fixup_f32 v0, v0, v5, 1.0
.LBB61_61:
	v_dual_add_nc_u32 v1, s0, v1 :: v_dual_mov_b32 v11, 0
	v_dual_lshrrev_b32 v2, 16, v25 :: v_dual_lshrrev_b32 v12, 16, v22
	v_dual_lshrrev_b32 v4, 16, v21 :: v_dual_lshrrev_b32 v16, 16, v23
	s_delay_alu instid0(VALU_DEP_3) | instskip(SKIP_1) | instid1(VALU_DEP_4)
	v_lshl_add_u32 v10, v1, 8, v68
	v_cvt_f32_f16_e32 v6, v25
	v_cvt_f32_f16_e32 v7, v2
	s_delay_alu instid0(VALU_DEP_4)
	v_cvt_f32_f16_e32 v9, v4
	v_cvt_f32_f16_e32 v8, v21
	v_lshl_add_u64 v[14:15], v[10:11], 2, s[16:17]
	v_add_nc_u32_e32 v10, 0x80, v10
	v_cvt_f32_f16_e32 v13, v12
	v_cvt_f32_f16_e32 v12, v22
	;; [unrolled: 1-line block ×4, first 2 shown]
	v_pk_mul_f32 v[6:7], v[0:1], v[6:7] op_sel_hi:[0,1]
	v_pk_mul_f32 v[8:9], v[0:1], v[8:9] op_sel_hi:[0,1]
	v_lshl_add_u64 v[18:19], v[10:11], 2, s[16:17]
	v_pk_mul_f32 v[10:11], v[0:1], v[12:13] op_sel_hi:[0,1]
	v_pk_mul_f32 v[12:13], v[0:1], v[16:17] op_sel_hi:[0,1]
	s_clause 0x1
	global_store_b128 v[14:15], v[6:9], off
	global_store_b128 v[18:19], v[10:13], off
	s_wait_xcnt 0x0
	s_and_b32 exec_lo, exec_lo, s1
	s_cbranch_execz .LBB61_63
; %bb.62:
	v_mov_b32_e32 v4, v3
	global_store_b64 v1, v[4:5], s[18:19] scale_offset
.LBB61_63:
	s_sendmsg sendmsg(MSG_DEALLOC_VGPRS)
	s_endpgm
	.section	.rodata,"a",@progbits
	.p2align	6, 0x0
	.amdhsa_kernel _ZL15flash_attn_tileILi256ELi256ELi8ELi4ELb1EEvPKcS1_S1_S1_S1_PKiPfP15HIP_vector_typeIfLj2EEffffjfiS5_IjLj3EEiiiiiiiiiiiliiliiiiil
		.amdhsa_group_segment_fixed_size 37888
		.amdhsa_private_segment_fixed_size 0
		.amdhsa_kernarg_size 464
		.amdhsa_user_sgpr_count 2
		.amdhsa_user_sgpr_dispatch_ptr 0
		.amdhsa_user_sgpr_queue_ptr 0
		.amdhsa_user_sgpr_kernarg_segment_ptr 1
		.amdhsa_user_sgpr_dispatch_id 0
		.amdhsa_user_sgpr_kernarg_preload_length 0
		.amdhsa_user_sgpr_kernarg_preload_offset 0
		.amdhsa_user_sgpr_private_segment_size 0
		.amdhsa_wavefront_size32 1
		.amdhsa_uses_dynamic_stack 0
		.amdhsa_enable_private_segment 0
		.amdhsa_system_sgpr_workgroup_id_x 1
		.amdhsa_system_sgpr_workgroup_id_y 1
		.amdhsa_system_sgpr_workgroup_id_z 1
		.amdhsa_system_sgpr_workgroup_info 0
		.amdhsa_system_vgpr_workitem_id 1
		.amdhsa_next_free_vgpr 166
		.amdhsa_next_free_sgpr 43
		.amdhsa_named_barrier_count 0
		.amdhsa_reserve_vcc 1
		.amdhsa_float_round_mode_32 0
		.amdhsa_float_round_mode_16_64 0
		.amdhsa_float_denorm_mode_32 3
		.amdhsa_float_denorm_mode_16_64 3
		.amdhsa_fp16_overflow 0
		.amdhsa_memory_ordered 1
		.amdhsa_forward_progress 1
		.amdhsa_inst_pref_size 199
		.amdhsa_round_robin_scheduling 0
		.amdhsa_exception_fp_ieee_invalid_op 0
		.amdhsa_exception_fp_denorm_src 0
		.amdhsa_exception_fp_ieee_div_zero 0
		.amdhsa_exception_fp_ieee_overflow 0
		.amdhsa_exception_fp_ieee_underflow 0
		.amdhsa_exception_fp_ieee_inexact 0
		.amdhsa_exception_int_div_zero 0
	.end_amdhsa_kernel
	.section	.text._ZL15flash_attn_tileILi256ELi256ELi8ELi4ELb1EEvPKcS1_S1_S1_S1_PKiPfP15HIP_vector_typeIfLj2EEffffjfiS5_IjLj3EEiiiiiiiiiiiliiliiiiil,"axG",@progbits,_ZL15flash_attn_tileILi256ELi256ELi8ELi4ELb1EEvPKcS1_S1_S1_S1_PKiPfP15HIP_vector_typeIfLj2EEffffjfiS5_IjLj3EEiiiiiiiiiiiliiliiiiil,comdat
.Lfunc_end61:
	.size	_ZL15flash_attn_tileILi256ELi256ELi8ELi4ELb1EEvPKcS1_S1_S1_S1_PKiPfP15HIP_vector_typeIfLj2EEffffjfiS5_IjLj3EEiiiiiiiiiiiliiliiiiil, .Lfunc_end61-_ZL15flash_attn_tileILi256ELi256ELi8ELi4ELb1EEvPKcS1_S1_S1_S1_PKiPfP15HIP_vector_typeIfLj2EEffffjfiS5_IjLj3EEiiiiiiiiiiiliiliiiiil
                                        ; -- End function
	.set _ZL15flash_attn_tileILi256ELi256ELi8ELi4ELb1EEvPKcS1_S1_S1_S1_PKiPfP15HIP_vector_typeIfLj2EEffffjfiS5_IjLj3EEiiiiiiiiiiiliiliiiiil.num_vgpr, 166
	.set _ZL15flash_attn_tileILi256ELi256ELi8ELi4ELb1EEvPKcS1_S1_S1_S1_PKiPfP15HIP_vector_typeIfLj2EEffffjfiS5_IjLj3EEiiiiiiiiiiiliiliiiiil.num_agpr, 0
	.set _ZL15flash_attn_tileILi256ELi256ELi8ELi4ELb1EEvPKcS1_S1_S1_S1_PKiPfP15HIP_vector_typeIfLj2EEffffjfiS5_IjLj3EEiiiiiiiiiiiliiliiiiil.numbered_sgpr, 43
	.set _ZL15flash_attn_tileILi256ELi256ELi8ELi4ELb1EEvPKcS1_S1_S1_S1_PKiPfP15HIP_vector_typeIfLj2EEffffjfiS5_IjLj3EEiiiiiiiiiiiliiliiiiil.num_named_barrier, 0
	.set _ZL15flash_attn_tileILi256ELi256ELi8ELi4ELb1EEvPKcS1_S1_S1_S1_PKiPfP15HIP_vector_typeIfLj2EEffffjfiS5_IjLj3EEiiiiiiiiiiiliiliiiiil.private_seg_size, 0
	.set _ZL15flash_attn_tileILi256ELi256ELi8ELi4ELb1EEvPKcS1_S1_S1_S1_PKiPfP15HIP_vector_typeIfLj2EEffffjfiS5_IjLj3EEiiiiiiiiiiiliiliiiiil.uses_vcc, 1
	.set _ZL15flash_attn_tileILi256ELi256ELi8ELi4ELb1EEvPKcS1_S1_S1_S1_PKiPfP15HIP_vector_typeIfLj2EEffffjfiS5_IjLj3EEiiiiiiiiiiiliiliiiiil.uses_flat_scratch, 0
	.set _ZL15flash_attn_tileILi256ELi256ELi8ELi4ELb1EEvPKcS1_S1_S1_S1_PKiPfP15HIP_vector_typeIfLj2EEffffjfiS5_IjLj3EEiiiiiiiiiiiliiliiiiil.has_dyn_sized_stack, 0
	.set _ZL15flash_attn_tileILi256ELi256ELi8ELi4ELb1EEvPKcS1_S1_S1_S1_PKiPfP15HIP_vector_typeIfLj2EEffffjfiS5_IjLj3EEiiiiiiiiiiiliiliiiiil.has_recursion, 0
	.set _ZL15flash_attn_tileILi256ELi256ELi8ELi4ELb1EEvPKcS1_S1_S1_S1_PKiPfP15HIP_vector_typeIfLj2EEffffjfiS5_IjLj3EEiiiiiiiiiiiliiliiiiil.has_indirect_call, 0
	.section	.AMDGPU.csdata,"",@progbits
; Kernel info:
; codeLenInByte = 25416
; TotalNumSgprs: 45
; NumVgprs: 166
; ScratchSize: 0
; MemoryBound: 0
; FloatMode: 240
; IeeeMode: 1
; LDSByteSize: 37888 bytes/workgroup (compile time only)
; SGPRBlocks: 0
; VGPRBlocks: 10
; NumSGPRsForWavesPerEU: 45
; NumVGPRsForWavesPerEU: 166
; NamedBarCnt: 0
; Occupancy: 5
; WaveLimiterHint : 1
; COMPUTE_PGM_RSRC2:SCRATCH_EN: 0
; COMPUTE_PGM_RSRC2:USER_SGPR: 2
; COMPUTE_PGM_RSRC2:TRAP_HANDLER: 0
; COMPUTE_PGM_RSRC2:TGID_X_EN: 1
; COMPUTE_PGM_RSRC2:TGID_Y_EN: 1
; COMPUTE_PGM_RSRC2:TGID_Z_EN: 1
; COMPUTE_PGM_RSRC2:TIDIG_COMP_CNT: 1
	.section	.text._ZL15flash_attn_tileILi256ELi256ELi4ELi4ELb1EEvPKcS1_S1_S1_S1_PKiPfP15HIP_vector_typeIfLj2EEffffjfiS5_IjLj3EEiiiiiiiiiiiliiliiiiil,"axG",@progbits,_ZL15flash_attn_tileILi256ELi256ELi4ELi4ELb1EEvPKcS1_S1_S1_S1_PKiPfP15HIP_vector_typeIfLj2EEffffjfiS5_IjLj3EEiiiiiiiiiiiliiliiiiil,comdat
	.globl	_ZL15flash_attn_tileILi256ELi256ELi4ELi4ELb1EEvPKcS1_S1_S1_S1_PKiPfP15HIP_vector_typeIfLj2EEffffjfiS5_IjLj3EEiiiiiiiiiiiliiliiiiil ; -- Begin function _ZL15flash_attn_tileILi256ELi256ELi4ELi4ELb1EEvPKcS1_S1_S1_S1_PKiPfP15HIP_vector_typeIfLj2EEffffjfiS5_IjLj3EEiiiiiiiiiiiliiliiiiil
	.p2align	8
	.type	_ZL15flash_attn_tileILi256ELi256ELi4ELi4ELb1EEvPKcS1_S1_S1_S1_PKiPfP15HIP_vector_typeIfLj2EEffffjfiS5_IjLj3EEiiiiiiiiiiiliiliiiiil,@function
_ZL15flash_attn_tileILi256ELi256ELi4ELi4ELb1EEvPKcS1_S1_S1_S1_PKiPfP15HIP_vector_typeIfLj2EEffffjfiS5_IjLj3EEiiiiiiiiiiiliiliiiiil: ; @_ZL15flash_attn_tileILi256ELi256ELi4ELi4ELb1EEvPKcS1_S1_S1_S1_PKiPfP15HIP_vector_typeIfLj2EEffffjfiS5_IjLj3EEiiiiiiiiiiiliiliiiiil
; %bb.0:
	s_clause 0x1
	s_load_b128 s[20:23], s[0:1], 0x5c
	s_load_b64 s[28:29], s[0:1], 0x80
	s_bfe_u32 s5, ttmp6, 0x40014
	s_lshr_b32 s4, ttmp7, 16
	s_add_co_i32 s5, s5, 1
	s_bfe_u32 s6, ttmp6, 0x40008
	s_mul_i32 s5, s4, s5
	s_getreg_b32 s27, hwreg(HW_REG_IB_STS2, 6, 4)
	s_add_co_i32 s6, s6, s5
	s_load_b64 s[36:37], s[0:1], 0xb8
	s_mov_b32 s35, 0
	s_mov_b64 s[30:31], 0
	s_wait_kmcnt 0x0
	s_ashr_i32 s2, s23, 31
	s_delay_alu instid0(SALU_CYCLE_1) | instskip(NEXT) | instid1(SALU_CYCLE_1)
	s_lshr_b32 s2, s2, 30
	s_add_co_i32 s2, s23, s2
	s_delay_alu instid0(SALU_CYCLE_1) | instskip(NEXT) | instid1(SALU_CYCLE_1)
	s_ashr_i32 s2, s2, 2
	s_cvt_f32_u32 s3, s2
	s_sub_co_i32 s7, 0, s2
	s_delay_alu instid0(SALU_CYCLE_2) | instskip(SKIP_1) | instid1(TRANS32_DEP_1)
	v_rcp_iflag_f32_e32 v1, s3
	v_nop
	v_readfirstlane_b32 s3, v1
	s_mul_f32 s3, s3, 0x4f7ffffe
	s_delay_alu instid0(SALU_CYCLE_3) | instskip(NEXT) | instid1(SALU_CYCLE_3)
	s_cvt_u32_f32 s3, s3
	s_mul_i32 s7, s7, s3
	s_delay_alu instid0(SALU_CYCLE_1) | instskip(NEXT) | instid1(SALU_CYCLE_1)
	s_mul_hi_u32 s7, s3, s7
	s_add_co_i32 s3, s3, s7
	s_cmp_eq_u32 s27, 0
	s_cselect_b32 s4, s4, s6
	s_delay_alu instid0(SALU_CYCLE_1) | instskip(NEXT) | instid1(SALU_CYCLE_1)
	s_mul_hi_u32 s3, s4, s3
	s_mul_i32 s5, s3, s2
	s_add_co_i32 s6, s3, 1
	s_sub_co_i32 s5, s4, s5
	s_delay_alu instid0(SALU_CYCLE_1)
	s_sub_co_i32 s7, s5, s2
	s_cmp_ge_u32 s5, s2
	s_cselect_b32 s3, s6, s3
	s_cselect_b32 s5, s7, s5
	s_add_co_i32 s6, s3, 1
	s_cmp_ge_u32 s5, s2
	s_cselect_b32 s2, s6, s3
	s_abs_i32 s3, s29
	s_lshl_b32 s4, s4, 2
	s_cvt_f32_u32 s5, s3
	s_sub_co_i32 s6, 0, s3
	s_mul_i32 s7, s2, s23
	s_abs_i32 s8, s23
	v_rcp_iflag_f32_e32 v1, s5
	s_sub_co_i32 s33, s4, s7
	v_nop
	s_delay_alu instid0(TRANS32_DEP_1) | instskip(SKIP_1) | instid1(SALU_CYCLE_3)
	v_readfirstlane_b32 s5, v1
	s_mul_f32 s5, s5, 0x4f7ffffe
	s_cvt_u32_f32 s5, s5
	s_delay_alu instid0(SALU_CYCLE_3) | instskip(NEXT) | instid1(SALU_CYCLE_1)
	s_mul_i32 s6, s6, s5
	s_mul_hi_u32 s6, s5, s6
	s_delay_alu instid0(SALU_CYCLE_1) | instskip(NEXT) | instid1(SALU_CYCLE_1)
	s_add_co_i32 s5, s5, s6
	s_mul_hi_u32 s4, s8, s5
	s_xor_b32 s5, s23, s29
	s_mul_i32 s6, s4, s3
	s_ashr_i32 s24, s5, 31
	s_sub_co_i32 s5, s8, s6
	s_add_co_i32 s6, s4, 1
	s_sub_co_i32 s7, s5, s3
	s_cmp_ge_u32 s5, s3
	s_cselect_b32 s4, s6, s4
	s_cselect_b32 s5, s7, s5
	s_add_co_i32 s6, s4, 1
	s_cmp_ge_u32 s5, s3
	s_cselect_b32 s3, s6, s4
	s_load_b512 s[4:19], s[0:1], 0x0
	s_xor_b32 s3, s3, s24
	s_delay_alu instid0(SALU_CYCLE_1) | instskip(NEXT) | instid1(SALU_CYCLE_1)
	s_sub_co_i32 s3, s3, s24
	s_abs_i32 s38, s3
	s_delay_alu instid0(SALU_CYCLE_1) | instskip(NEXT) | instid1(SALU_CYCLE_3)
	s_cvt_f32_u32 s24, s38
	v_rcp_iflag_f32_e32 v1, s24
	v_nop
	s_delay_alu instid0(TRANS32_DEP_1)
	v_readfirstlane_b32 s34, v1
	s_wait_kmcnt 0x0
	s_cmp_eq_u64 s[10:11], 0
	s_cbranch_scc1 .LBB62_2
; %bb.1:
	s_abs_i32 s26, s36
	s_abs_i32 s29, s2
	s_cvt_f32_u32 s24, s26
	s_sub_co_i32 s25, 0, s26
	s_delay_alu instid0(SALU_CYCLE_2) | instskip(SKIP_1) | instid1(TRANS32_DEP_1)
	v_rcp_iflag_f32_e32 v1, s24
	v_nop
	v_readfirstlane_b32 s24, v1
	s_mul_f32 s24, s24, 0x4f7ffffe
	s_delay_alu instid0(SALU_CYCLE_3) | instskip(NEXT) | instid1(SALU_CYCLE_3)
	s_cvt_u32_f32 s24, s24
	s_mul_i32 s25, s25, s24
	s_delay_alu instid0(SALU_CYCLE_1) | instskip(NEXT) | instid1(SALU_CYCLE_1)
	s_mul_hi_u32 s25, s24, s25
	s_add_co_i32 s24, s24, s25
	s_delay_alu instid0(SALU_CYCLE_1) | instskip(SKIP_2) | instid1(SALU_CYCLE_1)
	s_mul_hi_u32 s30, s29, s24
	s_load_b64 s[24:25], s[0:1], 0xc8
	s_mul_i32 s30, s30, s26
	s_sub_co_i32 s29, s29, s30
	s_ashr_i32 s30, s2, 31
	s_sub_co_i32 s31, s29, s26
	s_cmp_ge_u32 s29, s26
	s_cselect_b32 s29, s31, s29
	s_delay_alu instid0(SALU_CYCLE_1) | instskip(SKIP_2) | instid1(SALU_CYCLE_1)
	s_sub_co_i32 s31, s29, s26
	s_cmp_ge_u32 s29, s26
	s_cselect_b32 s26, s31, s29
	s_xor_b32 s26, s26, s30
	s_delay_alu instid0(SALU_CYCLE_1) | instskip(NEXT) | instid1(SALU_CYCLE_1)
	s_sub_co_i32 s30, s26, s30
	s_ashr_i32 s31, s30, 31
	s_wait_kmcnt 0x0
	s_mul_u64 s[24:25], s[24:25], s[30:31]
	s_delay_alu instid0(SALU_CYCLE_1)
	s_add_nc_u64 s[30:31], s[10:11], s[24:25]
.LBB62_2:
	s_bfe_u32 s10, ttmp6, 0x4000c
	v_dual_lshrrev_b32 v1, 10, v0 :: v_dual_mov_b32 v3, 0
	s_add_co_i32 s10, s10, 1
	s_and_b32 s11, ttmp6, 15
	s_mul_i32 s10, ttmp9, s10
	s_delay_alu instid0(VALU_DEP_1)
	v_bfe_u32 v1, v1, 1, 9
	s_add_co_i32 s11, s11, s10
	s_cmp_eq_u32 s27, 0
	s_load_b96 s[24:26], s[0:1], 0x70
	s_cselect_b32 s10, ttmp9, s11
	v_mov_b32_e32 v77, v3
	v_lshl_add_u32 v100, s10, 2, v1
	s_delay_alu instid0(VALU_DEP_1) | instskip(NEXT) | instid1(VALU_DEP_1)
	v_mul_hi_u32 v1, s20, v100
	v_add_nc_u32_e32 v1, v100, v1
	s_wait_kmcnt 0x0
	s_mul_i32 s20, s33, s25
	s_ashr_i32 s41, s25, 31
	s_mov_b32 s40, s25
	s_ashr_i32 s25, s24, 31
	v_lshrrev_b32_e32 v1, s21, v1
	s_lshr_b64 s[24:25], s[24:25], 2
	s_ashr_i32 s21, s20, 31
	s_delay_alu instid0(VALU_DEP_1) | instskip(NEXT) | instid1(VALU_DEP_1)
	v_mul_lo_u32 v1, v1, s22
	v_sub_nc_u32_e32 v2, v100, v1
	v_bfe_u32 v1, v0, 10, 10
	s_delay_alu instid0(VALU_DEP_1) | instskip(NEXT) | instid1(VALU_DEP_3)
	v_lshlrev_b32_e32 v24, 1, v1
	v_mul_u64_e32 v[4:5], s[24:25], v[2:3]
	s_lshr_b64 s[24:25], s[40:41], 2
	s_delay_alu instid0(VALU_DEP_2) | instskip(SKIP_1) | instid1(VALU_DEP_2)
	v_and_b32_e32 v76, 2, v24
	v_bitop3_b32 v8, v24, 3, 1 bitop3:0xc8
	v_mul_u64_e32 v[6:7], s[24:25], v[76:77]
	v_and_b32_e32 v77, 0x3ff, v0
	v_dual_mov_b32 v9, v3 :: v_dual_mov_b32 v11, v3
	v_lshlrev_b32_e32 v0, 10, v1
	s_delay_alu instid0(VALU_DEP_3) | instskip(NEXT) | instid1(VALU_DEP_3)
	v_lshlrev_b32_e32 v10, 4, v77
	v_mul_u64_e32 v[8:9], s[24:25], v[8:9]
	s_mul_i32 s24, s2, s26
	v_lshlrev_b32_e32 v102, 3, v77
	s_ashr_i32 s25, s24, 31
	s_cmp_eq_u64 s[14:15], 0
	s_add_nc_u64 s[4:5], s[4:5], s[24:25]
	s_delay_alu instid0(SALU_CYCLE_1) | instskip(SKIP_3) | instid1(VALU_DEP_1)
	s_add_nc_u64 s[4:5], s[4:5], s[20:21]
	v_add_nc_u32_e32 v3, 0x4200, v102
	v_lshl_add_u64 v[4:5], v[4:5], 2, s[4:5]
	s_load_b32 s4, s[0:1], 0x40
	v_add_nc_u64_e32 v[10:11], v[4:5], v[10:11]
	s_delay_alu instid0(VALU_DEP_1)
	v_lshl_add_u64 v[20:21], v[6:7], 2, v[10:11]
	v_lshl_add_u64 v[22:23], v[8:9], 2, v[10:11]
	s_clause 0x3
	global_load_b128 v[4:7], v[20:21], off
	global_load_b128 v[8:11], v[20:21], off offset:512
	global_load_b128 v[12:15], v[22:23], off
	global_load_b128 v[16:19], v[22:23], off offset:512
	s_wait_xcnt 0x2
	v_or_b32_e32 v20, 1, v24
	s_wait_loadcnt 0x3
	s_wait_kmcnt 0x0
	v_fma_mixlo_f16 v4, s4, v4, 0
	v_fma_mixlo_f16 v5, s4, v5, 0
	;; [unrolled: 1-line block ×4, first 2 shown]
	s_wait_loadcnt 0x2
	v_fma_mixlo_f16 v8, s4, v8, 0
	v_fma_mixlo_f16 v9, s4, v9, 0
	;; [unrolled: 1-line block ×4, first 2 shown]
	s_wait_loadcnt 0x1
	v_fma_mixlo_f16 v12, s4, v12, 0
	v_fma_mixlo_f16 v13, s4, v13, 0
	;; [unrolled: 1-line block ×3, first 2 shown]
	s_wait_loadcnt 0x0
	v_fma_mixlo_f16 v16, s4, v16, 0
	v_fma_mixlo_f16 v17, s4, v17, 0
	v_dual_add_nc_u32 v21, v3, v0 :: v_dual_lshlrev_b32 v5, 16, v5
	v_fma_mixlo_f16 v19, s4, v19, 0
	v_and_b32_e32 v4, 0xffff, v4
	v_dual_lshlrev_b32 v7, 16, v7 :: v_dual_lshlrev_b32 v9, 16, v9
	v_and_b32_e32 v6, 0xffff, v6
	v_and_b32_e32 v8, 0xffff, v8
	v_fma_mixlo_f16 v14, s4, v14, 0
	v_fma_mixlo_f16 v18, s4, v18, 0
	v_dual_lshlrev_b32 v11, 16, v11 :: v_dual_lshlrev_b32 v13, 16, v13
	v_and_b32_e32 v10, 0xffff, v10
	v_and_b32_e32 v12, 0xffff, v12
	v_dual_lshlrev_b32 v15, 16, v15 :: v_dual_lshlrev_b32 v17, 16, v17
	v_and_b32_e32 v16, 0xffff, v16
	v_dual_lshlrev_b32 v19, 16, v19 :: v_dual_bitop2_b32 v4, v5, v4 bitop3:0x54
	v_or3_b32 v5, v7, v6, 0
	v_or_b32_e32 v6, v9, v8
	v_and_b32_e32 v14, 0xffff, v14
	v_and_b32_e32 v18, 0xffff, v18
	v_or3_b32 v7, v11, v10, 0
	v_or_b32_e32 v8, v13, v12
	v_or_b32_e32 v10, v17, v16
	v_or3_b32 v4, 0, 0, v4
	v_or3_b32 v6, 0, 0, v6
	v_lshl_add_u32 v3, v20, 9, v3
	v_or3_b32 v9, v15, v14, 0
	v_or3_b32 v11, v19, v18, 0
	;; [unrolled: 1-line block ×4, first 2 shown]
	ds_store_2addr_b64 v21, v[4:5], v[6:7] offset1:32
	ds_store_2addr_b64 v3, v[8:9], v[10:11] offset1:32
	s_wait_dscnt 0x0
	s_barrier_signal -1
	s_barrier_wait -1
	s_cbranch_scc1 .LBB62_4
; %bb.3:
	s_load_b32 s4, s[0:1], 0xd0
	s_wait_kmcnt 0x0
	s_mul_i32 s4, s4, s2
	s_delay_alu instid0(SALU_CYCLE_1)
	s_add_co_i32 s4, s4, s10
	s_load_b32 s28, s[14:15], s4 offset:0x0 scale_offset
.LBB62_4:
	s_wait_xcnt 0x0
	s_bfe_u32 s4, ttmp6, 0x40010
	s_and_b32 s5, ttmp7, 0xffff
	s_add_co_i32 s4, s4, 1
	s_bfe_u32 s10, ttmp6, 0x40004
	s_mul_i32 s4, s5, s4
	v_lshlrev_b32_e32 v101, 2, v77
	s_add_co_i32 s10, s10, s4
	s_cmp_eq_u32 s27, 0
	v_mbcnt_lo_u32_b32 v103, -1, 0
	s_cselect_b32 s29, s5, s10
	s_mov_b32 s5, 0
	s_lshl_b32 s4, s29, 5
	s_wait_kmcnt 0x0
	s_cmp_lt_i32 s4, s28
	s_cbranch_scc1 .LBB62_7
; %bb.5:
	v_mbcnt_lo_u32_b32 v3, -1, 0
	s_delay_alu instid0(VALU_DEP_1)
	v_dual_mov_b32 v104, 32 :: v_dual_bitop2_b32 v115, 16, v3 bitop3:0x14
	v_xor_b32_e32 v111, 8, v3
	v_xor_b32_e32 v112, 4, v3
	;; [unrolled: 1-line block ×4, first 2 shown]
	s_and_not1_b32 vcc_lo, exec_lo, s5
	s_cbranch_vccz .LBB62_8
; %bb.6:
	v_dual_mov_b32 v83, 0 :: v_dual_mov_b32 v21, 0
	v_dual_mov_b32 v99, 0xfeffffff :: v_dual_mov_b32 v26, 0
	s_delay_alu instid0(VALU_DEP_2) | instskip(NEXT) | instid1(VALU_DEP_2)
	v_dual_mov_b32 v25, 0 :: v_dual_mov_b32 v82, v83
	v_dual_mov_b32 v27, 0 :: v_dual_mov_b32 v98, v99
	;; [unrolled: 1-line block ×4, first 2 shown]
	s_branch .LBB62_20
.LBB62_7:
                                        ; implicit-def: $vgpr3
                                        ; implicit-def: $vgpr104
                                        ; implicit-def: $vgpr115
                                        ; implicit-def: $vgpr111
                                        ; implicit-def: $vgpr112
                                        ; implicit-def: $vgpr113
                                        ; implicit-def: $vgpr114
.LBB62_8:
	s_clause 0x1
	s_load_b128 s[24:27], s[0:1], 0x98
	s_load_b64 s[14:15], s[0:1], 0x8c
	s_mul_f32 s5, s34, 0x4f7ffffe
	s_sub_co_i32 s10, 0, s38
	s_load_b64 s[20:21], s[0:1], 0xa8
	s_ashr_i32 s39, s3, 31
	s_cvt_u32_f32 s5, s5
	s_abs_i32 s34, s33
	s_mov_b32 s11, s35
	s_ashr_i32 s36, s33, 31
	s_mul_i32 s10, s10, s5
	s_ashr_i32 s37, s37, 1
	s_mul_hi_u32 s3, s5, s10
	s_xor_b32 s36, s36, s39
	s_add_co_i32 s10, s5, s3
	s_ashr_i32 s3, s2, 31
	s_mul_u64 s[10:11], s[34:35], s[10:11]
	s_load_b32 s35, s[0:1], 0x54
	s_mul_i32 s5, s11, s38
	v_mad_u32 v109, v2, s37, v77
	s_sub_co_i32 s5, s34, s5
	s_wait_kmcnt 0x0
	s_ashr_i32 s14, s14, 2
	s_ashr_i32 s10, s26, 2
	v_mul_lo_u32 v78, s14, v1
	s_add_co_i32 s26, s11, 1
	s_sub_co_i32 s34, s5, s38
	s_cmp_ge_u32 s5, s38
	s_mul_u64 s[24:25], s[24:25], s[2:3]
	s_cselect_b32 s11, s26, s11
	s_cselect_b32 s5, s34, s5
	s_add_co_i32 s26, s11, 1
	s_cmp_ge_u32 s5, s38
	s_mul_u64 s[20:21], s[20:21], s[2:3]
	s_cselect_b32 s5, s26, s11
	s_lshl_b32 s3, s14, 3
	v_mul_lo_u32 v84, s10, v1
	v_dual_add_nc_u32 v80, s3, v78 :: v_dual_lshlrev_b32 v86, 2, v101
	s_xor_b32 s5, s5, s36
	v_dual_ashrrev_i32 v79, 31, v78 :: v_dual_mov_b32 v87, 0
	s_delay_alu instid0(VALU_DEP_2)
	v_add_nc_u32_e32 v88, s3, v80
	s_sub_co_i32 s5, s5, s36
	s_add_nc_u64 s[6:7], s[6:7], s[24:25]
	s_mul_i32 s24, s5, s15
	s_add_nc_u64 s[8:9], s[8:9], s[20:21]
	v_dual_add_nc_u32 v90, s3, v88 :: v_dual_ashrrev_i32 v89, 31, v88
	s_lshl_b32 s3, s10, 3
	s_delay_alu instid0(SALU_CYCLE_1) | instskip(NEXT) | instid1(VALU_DEP_2)
	v_dual_ashrrev_i32 v85, 31, v84 :: v_dual_add_nc_u32 v92, s3, v84
	v_ashrrev_i32_e32 v91, 31, v90
	s_mul_i32 s20, s5, s27
	v_mad_u32_u24 v105, 0x210, v1, v86
	v_mul_u32_u24_e32 v106, 0x210, v77
	v_dual_add_nc_u32 v94, s3, v92 :: v_dual_ashrrev_i32 v93, 31, v92
	v_ashrrev_i32_e32 v81, 31, v80
	v_dual_mov_b32 v104, 32 :: v_dual_add_nc_u32 v107, 0x4200, v0
	s_delay_alu instid0(VALU_DEP_3)
	v_add_nc_u32_e32 v96, s3, v94
	v_lshl_add_u32 v108, v1, 9, v86
	v_lshl_add_u32 v110, v1, 7, 0x6200
	v_ashrrev_i32_e32 v95, 31, v94
	v_dual_mov_b32 v17, 0xfeffffff :: v_dual_mov_b32 v22, v87
	v_dual_ashrrev_i32 v97, 31, v96 :: v_dual_mov_b32 v23, v87
	v_dual_mov_b32 v24, v87 :: v_dual_mov_b32 v20, v87
	v_dual_mov_b32 v25, v87 :: v_dual_mov_b32 v26, v87
	;; [unrolled: 1-line block ×3, first 2 shown]
	v_mov_b32_e32 v16, 0xfeffffff
	v_dual_mov_b32 v82, v87 :: v_dual_mov_b32 v83, v87
	s_ashr_i32 s25, s24, 31
	s_ashr_i32 s21, s20, 31
	s_add_nc_u64 s[6:7], s[6:7], s[24:25]
	s_add_nc_u64 s[8:9], s[8:9], s[20:21]
	s_ashr_i32 s15, s14, 31
	s_ashr_i32 s11, s10, 31
	s_add_nc_u64 s[20:21], s[0:1], 0xd0
	s_mov_b32 s3, 0xbbbac73d
.LBB62_9:                               ; =>This Inner Loop Header: Depth=1
	s_ashr_i32 s5, s4, 31
	v_mov_b32_e32 v36, 0
	s_mul_u64 s[24:25], s[4:5], s[14:15]
	s_delay_alu instid0(SALU_CYCLE_1) | instskip(NEXT) | instid1(SALU_CYCLE_1)
	s_lshl_b64 s[24:25], s[24:25], 2
	s_add_nc_u64 s[24:25], s[6:7], s[24:25]
	s_delay_alu instid0(SALU_CYCLE_1) | instskip(SKIP_3) | instid1(VALU_DEP_4)
	v_lshl_add_u64 v[0:1], v[78:79], 2, s[24:25]
	v_lshl_add_u64 v[2:3], v[80:81], 2, s[24:25]
	;; [unrolled: 1-line block ×4, first 2 shown]
	v_add_nc_u64_e32 v[18:19], v[0:1], v[86:87]
	s_delay_alu instid0(VALU_DEP_4) | instskip(NEXT) | instid1(VALU_DEP_4)
	v_add_nc_u64_e32 v[28:29], v[2:3], v[86:87]
	v_add_nc_u64_e32 v[30:31], v[4:5], v[86:87]
	s_delay_alu instid0(VALU_DEP_4)
	v_add_nc_u64_e32 v[32:33], v[6:7], v[86:87]
	s_clause 0x3
	global_load_b128 v[0:3], v[18:19], off
	global_load_b128 v[4:7], v[28:29], off
	;; [unrolled: 1-line block ×4, first 2 shown]
	s_wait_xcnt 0x3
	v_add_nc_u32_e32 v18, 0x1080, v105
	v_add_nc_u32_e32 v19, 0x2100, v105
	s_wait_xcnt 0x2
	v_add_nc_u32_e32 v28, 0x3180, v105
	s_wait_loadcnt 0x3
	ds_store_b128 v105, v[0:3]
	s_wait_loadcnt 0x2
	ds_store_b128 v18, v[4:7]
	;; [unrolled: 2-line block ×4, first 2 shown]
	s_wait_dscnt 0x0
	s_barrier_signal -1
	s_barrier_wait -1
	ds_load_b128 v[2:5], v106
	ds_load_b128 v[6:9], v107
	ds_load_b128 v[10:13], v107 offset:512
	v_dual_mov_b32 v1, 0 :: v_dual_add_nc_u32 v0, s4, v109
	s_wait_dscnt 0x1
	;;#ASMSTART
	v_dot2_f32_f16 v1, v2, v6, v1
	;;#ASMEND
	;;#ASMSTART
	v_dot2_f32_f16 v1, v3, v7, v1
	;;#ASMEND
	;;#ASMSTART
	v_dot2_f32_f16 v1, v4, v8, v1
	;;#ASMEND
	;;#ASMSTART
	v_dot2_f32_f16 v1, v5, v9, v1
	;;#ASMEND
	s_wait_dscnt 0x0
	;;#ASMSTART
	v_dot2_f32_f16 v36, v2, v10, v36
	;;#ASMEND
	;;#ASMSTART
	v_dot2_f32_f16 v36, v3, v11, v36
	;;#ASMEND
	;;#ASMSTART
	v_dot2_f32_f16 v36, v4, v12, v36
	;;#ASMEND
	;;#ASMSTART
	v_dot2_f32_f16 v36, v5, v13, v36
	;;#ASMEND
	ds_load_b128 v[2:5], v106 offset:16
	ds_load_b128 v[6:9], v107 offset:16
	ds_load_b128 v[10:13], v107 offset:528
	s_wait_dscnt 0x1
	;;#ASMSTART
	v_dot2_f32_f16 v1, v2, v6, v1
	;;#ASMEND
	;;#ASMSTART
	v_dot2_f32_f16 v1, v3, v7, v1
	;;#ASMEND
	;;#ASMSTART
	v_dot2_f32_f16 v1, v4, v8, v1
	;;#ASMEND
	;;#ASMSTART
	v_dot2_f32_f16 v1, v5, v9, v1
	;;#ASMEND
	s_wait_dscnt 0x0
	;;#ASMSTART
	v_dot2_f32_f16 v36, v2, v10, v36
	;;#ASMEND
	;;#ASMSTART
	v_dot2_f32_f16 v36, v3, v11, v36
	;;#ASMEND
	;;#ASMSTART
	v_dot2_f32_f16 v36, v4, v12, v36
	;;#ASMEND
	;;#ASMSTART
	v_dot2_f32_f16 v36, v5, v13, v36
	;;#ASMEND
	ds_load_b128 v[2:5], v106 offset:32
	ds_load_b128 v[6:9], v107 offset:32
	ds_load_b128 v[10:13], v107 offset:544
	;; [unrolled: 29-line block ×31, first 2 shown]
	s_wait_dscnt 0x1
	;;#ASMSTART
	v_dot2_f32_f16 v1, v2, v6, v1
	;;#ASMEND
	;;#ASMSTART
	v_dot2_f32_f16 v1, v3, v7, v1
	;;#ASMEND
	;; [unrolled: 3-line block ×4, first 2 shown]
	s_wait_dscnt 0x0
	;;#ASMSTART
	v_dot2_f32_f16 v36, v2, v10, v36
	;;#ASMEND
	;;#ASMSTART
	v_dot2_f32_f16 v36, v3, v11, v36
	;;#ASMEND
	;; [unrolled: 3-line block ×4, first 2 shown]
	global_load_u16 v18, v0, s[30:31] scale_offset
	v_cmp_ngt_f32_e64 s24, 0x3f200000, |v1|
                                        ; implicit-def: $vgpr0
	s_wait_xcnt 0x0
	s_and_saveexec_b32 s25, s24
	s_delay_alu instid0(SALU_CYCLE_1)
	s_xor_b32 s24, exec_lo, s25
	s_cbranch_execz .LBB62_11
; %bb.10:                               ;   in Loop: Header=BB62_9 Depth=1
	v_add_f32_e64 v0, |v1|, |v1|
	s_delay_alu instid0(VALU_DEP_1) | instskip(SKIP_1) | instid1(VALU_DEP_2)
	v_mul_f32_e32 v2, 0x3fb8aa3b, v0
	v_cmp_ngt_f32_e32 vcc_lo, 0xc2ce8ed0, v0
	v_rndne_f32_e32 v3, v2
	v_fma_f32 v4, 0x3fb8aa3b, v0, -v2
	s_delay_alu instid0(VALU_DEP_2) | instskip(NEXT) | instid1(VALU_DEP_2)
	v_sub_f32_e32 v2, v2, v3
	v_fmac_f32_e32 v4, 0x32a5705f, v0
	v_cvt_i32_f32_e32 v3, v3
	s_delay_alu instid0(VALU_DEP_2) | instskip(NEXT) | instid1(VALU_DEP_1)
	v_add_f32_e32 v2, v2, v4
	v_exp_f32_e32 v2, v2
	v_nop
	s_delay_alu instid0(TRANS32_DEP_1) | instskip(NEXT) | instid1(VALU_DEP_1)
	v_ldexp_f32 v2, v2, v3
	v_cndmask_b32_e32 v2, 0, v2, vcc_lo
	v_cmp_nlt_f32_e32 vcc_lo, 0x42b17218, v0
	s_delay_alu instid0(VALU_DEP_2) | instskip(NEXT) | instid1(VALU_DEP_1)
	v_cndmask_b32_e32 v0, 0x7f800000, v2, vcc_lo
	v_add_f32_e32 v0, 1.0, v0
	s_delay_alu instid0(VALU_DEP_1) | instskip(SKIP_1) | instid1(TRANS32_DEP_1)
	v_rcp_f32_e32 v0, v0
	v_nop
	v_fma_f32 v0, v0, -2.0, 1.0
.LBB62_11:                              ;   in Loop: Header=BB62_9 Depth=1
	s_and_not1_saveexec_b32 s24, s24
	s_cbranch_execz .LBB62_13
; %bb.12:                               ;   in Loop: Header=BB62_9 Depth=1
	v_mul_f32_e32 v0, v1, v1
	s_delay_alu instid0(VALU_DEP_1) | instskip(NEXT) | instid1(VALU_DEP_1)
	v_fmaak_f32 v2, s3, v0, 0x3ca908c9
	v_fmaak_f32 v2, v0, v2, 0xbd5c1c4e
	s_delay_alu instid0(VALU_DEP_1) | instskip(NEXT) | instid1(VALU_DEP_1)
	v_fmaak_f32 v2, v0, v2, 0x3e088382
	v_fmaak_f32 v2, v0, v2, 0xbeaaaa99
	s_delay_alu instid0(VALU_DEP_1) | instskip(NEXT) | instid1(VALU_DEP_1)
	v_mul_f32_e64 v2, |v1|, v2
	v_fma_f32 v0, v0, v2, |v1|
.LBB62_13:                              ;   in Loop: Header=BB62_9 Depth=1
	s_or_b32 exec_lo, exec_lo, s24
	s_delay_alu instid0(VALU_DEP_1)
	v_bfi_b32 v0, 0x7fffffff, v0, v1
	v_dual_max_num_f32 v2, v17, v17 :: v_dual_bitop2_b32 v115, 16, v103 bitop3:0x14
	v_cmp_ngt_f32_e64 s24, 0x3f200000, |v36|
                                        ; implicit-def: $vgpr35
	v_xor_b32_e32 v111, 8, v103
	s_wait_loadcnt 0x0
	v_fma_mix_f32 v19, s35, v0, v18 op_sel_hi:[0,0,1]
	v_cmp_gt_i32_e32 vcc_lo, 32, v115
	v_xor_b32_e32 v112, 4, v103
	v_xor_b32_e32 v114, 1, v103
	v_cndmask_b32_e32 v0, v103, v115, vcc_lo
	v_add_f32_e32 v1, 0x40051340, v19
	v_cmp_gt_i32_e32 vcc_lo, 32, v111
	s_delay_alu instid0(VALU_DEP_2) | instskip(SKIP_4) | instid1(VALU_DEP_2)
	v_dual_lshlrev_b32 v28, 2, v0 :: v_dual_max_num_f32 v0, v2, v1
	ds_bpermute_b32 v1, v28, v0
	s_wait_dscnt 0x0
	v_dual_max_num_f32 v1, v1, v1 :: v_dual_cndmask_b32 v2, v103, v111
	v_cmp_gt_i32_e32 vcc_lo, 32, v112
	v_dual_max_num_f32 v0, v0, v1 :: v_dual_lshlrev_b32 v29, 2, v2
	ds_bpermute_b32 v1, v29, v0
	s_wait_dscnt 0x0
	v_dual_cndmask_b32 v2, v103, v112 :: v_dual_max_num_f32 v1, v1, v1
	s_delay_alu instid0(VALU_DEP_1) | instskip(SKIP_3) | instid1(VALU_DEP_1)
	v_dual_lshlrev_b32 v30, 2, v2 :: v_dual_max_num_f32 v0, v0, v1
	ds_bpermute_b32 v1, v30, v0
	s_wait_dscnt 0x0
	v_dual_max_num_f32 v1, v1, v1 :: v_dual_bitop2_b32 v113, 2, v103 bitop3:0x14
	v_cmp_gt_i32_e32 vcc_lo, 32, v113
	s_delay_alu instid0(VALU_DEP_2) | instskip(SKIP_2) | instid1(VALU_DEP_2)
	v_max_num_f32_e32 v0, v0, v1
	v_cndmask_b32_e32 v2, v103, v113, vcc_lo
	v_cmp_gt_i32_e32 vcc_lo, 32, v114
	v_lshlrev_b32_e32 v31, 2, v2
	ds_bpermute_b32 v1, v31, v0
	s_wait_dscnt 0x0
	v_dual_cndmask_b32 v2, v103, v114 :: v_dual_max_num_f32 v1, v1, v1
	s_delay_alu instid0(VALU_DEP_1) | instskip(SKIP_2) | instid1(SALU_CYCLE_1)
	v_dual_max_num_f32 v32, v0, v1 :: v_dual_lshlrev_b32 v33, 2, v2
	ds_bpermute_b32 v34, v33, v32
	s_and_saveexec_b32 s25, s24
	s_xor_b32 s24, exec_lo, s25
	s_cbranch_execz .LBB62_15
; %bb.14:                               ;   in Loop: Header=BB62_9 Depth=1
	v_add_f32_e64 v0, |v36|, |v36|
	s_delay_alu instid0(VALU_DEP_1) | instskip(SKIP_1) | instid1(VALU_DEP_2)
	v_mul_f32_e32 v1, 0x3fb8aa3b, v0
	v_cmp_ngt_f32_e32 vcc_lo, 0xc2ce8ed0, v0
	v_rndne_f32_e32 v2, v1
	v_fma_f32 v3, 0x3fb8aa3b, v0, -v1
	s_delay_alu instid0(VALU_DEP_2) | instskip(NEXT) | instid1(VALU_DEP_2)
	v_sub_f32_e32 v1, v1, v2
	v_fmac_f32_e32 v3, 0x32a5705f, v0
	v_cvt_i32_f32_e32 v2, v2
	s_delay_alu instid0(VALU_DEP_2) | instskip(NEXT) | instid1(VALU_DEP_1)
	v_add_f32_e32 v1, v1, v3
	v_exp_f32_e32 v1, v1
	v_nop
	s_delay_alu instid0(TRANS32_DEP_1) | instskip(NEXT) | instid1(VALU_DEP_1)
	v_ldexp_f32 v1, v1, v2
	v_cndmask_b32_e32 v1, 0, v1, vcc_lo
	v_cmp_nlt_f32_e32 vcc_lo, 0x42b17218, v0
	s_delay_alu instid0(VALU_DEP_2) | instskip(NEXT) | instid1(VALU_DEP_1)
	v_cndmask_b32_e32 v0, 0x7f800000, v1, vcc_lo
	v_add_f32_e32 v0, 1.0, v0
	s_delay_alu instid0(VALU_DEP_1) | instskip(SKIP_1) | instid1(TRANS32_DEP_1)
	v_rcp_f32_e32 v0, v0
	v_nop
	v_fma_f32 v35, v0, -2.0, 1.0
.LBB62_15:                              ;   in Loop: Header=BB62_9 Depth=1
	s_and_not1_saveexec_b32 s24, s24
	s_cbranch_execz .LBB62_17
; %bb.16:                               ;   in Loop: Header=BB62_9 Depth=1
	v_mul_f32_e32 v0, v36, v36
	s_delay_alu instid0(VALU_DEP_1) | instskip(NEXT) | instid1(VALU_DEP_1)
	v_fmaak_f32 v1, s3, v0, 0x3ca908c9
	v_fmaak_f32 v1, v0, v1, 0xbd5c1c4e
	s_delay_alu instid0(VALU_DEP_1) | instskip(NEXT) | instid1(VALU_DEP_1)
	v_fmaak_f32 v1, v0, v1, 0x3e088382
	v_fmaak_f32 v1, v0, v1, 0xbeaaaa99
	s_delay_alu instid0(VALU_DEP_1) | instskip(NEXT) | instid1(VALU_DEP_1)
	v_mul_f32_e64 v1, |v36|, v1
	v_fma_f32 v35, v0, v1, |v36|
.LBB62_17:                              ;   in Loop: Header=BB62_9 Depth=1
	s_or_b32 exec_lo, exec_lo, s24
	s_mul_u64 s[24:25], s[4:5], s[10:11]
	s_wait_dscnt 0x0
	s_lshl_b64 s[24:25], s[24:25], 2
	s_barrier_signal -1
	s_add_nc_u64 s[24:25], s[8:9], s[24:25]
	s_barrier_wait -1
	v_lshl_add_u64 v[0:1], v[84:85], 2, s[24:25]
	v_lshl_add_u64 v[2:3], v[92:93], 2, s[24:25]
	;; [unrolled: 1-line block ×4, first 2 shown]
	s_delay_alu instid0(VALU_DEP_4) | instskip(NEXT) | instid1(VALU_DEP_4)
	v_add_nc_u64_e32 v[38:39], v[0:1], v[86:87]
	v_add_nc_u64_e32 v[40:41], v[2:3], v[86:87]
	s_delay_alu instid0(VALU_DEP_4) | instskip(NEXT) | instid1(VALU_DEP_4)
	v_add_nc_u64_e32 v[42:43], v[4:5], v[86:87]
	v_add_nc_u64_e32 v[44:45], v[6:7], v[86:87]
	v_cvt_f32_f16_e32 v37, v18
	v_bfi_b32 v18, 0x7fffffff, v35, v36
	v_add_nc_u32_e32 v119, 0x2000, v102
	s_clause 0x3
	global_load_b128 v[12:15], v[38:39], off
	global_load_b128 v[8:11], v[40:41], off
	;; [unrolled: 1-line block ×4, first 2 shown]
	v_add_nc_u32_e32 v118, 0x2800, v102
	v_add_nc_u32_e32 v117, 0x3000, v102
	v_dual_fmac_f32 v37, s35, v18 :: v_dual_max_num_f32 v18, v16, v16
	v_add_nc_u32_e32 v116, 0x3800, v102
	s_delay_alu instid0(VALU_DEP_2) | instskip(NEXT) | instid1(VALU_DEP_1)
	v_add_f32_e32 v35, 0x40051340, v37
	v_max_num_f32_e32 v18, v18, v35
	ds_bpermute_b32 v28, v28, v18
	s_wait_dscnt 0x0
	v_max_num_f32_e32 v28, v28, v28
	s_delay_alu instid0(VALU_DEP_1) | instskip(SKIP_3) | instid1(VALU_DEP_1)
	v_max_num_f32_e32 v18, v18, v28
	ds_bpermute_b32 v28, v29, v18
	s_wait_dscnt 0x0
	v_max_num_f32_e32 v28, v28, v28
	v_max_num_f32_e32 v18, v18, v28
	ds_bpermute_b32 v28, v30, v18
	s_wait_dscnt 0x0
	v_dual_add_nc_u32 v30, v110, v101 :: v_dual_max_num_f32 v28, v28, v28
	s_delay_alu instid0(VALU_DEP_1) | instskip(SKIP_3) | instid1(VALU_DEP_1)
	v_max_num_f32_e32 v18, v18, v28
	ds_bpermute_b32 v28, v31, v18
	s_wait_dscnt 0x0
	v_max_num_f32_e32 v28, v28, v28
	v_max_num_f32_e32 v31, v18, v28
	v_dual_max_num_f32 v18, v34, v34 :: v_dual_max_num_f32 v28, v32, v32
	s_delay_alu instid0(VALU_DEP_1) | instskip(SKIP_3) | instid1(VALU_DEP_1)
	v_max_num_f32_e32 v98, v28, v18
	ds_bpermute_b32 v29, v33, v31
	v_add_nc_u32_e32 v28, 0x800, v102
	v_dual_sub_f32 v17, v17, v98 :: v_dual_sub_f32 v18, v19, v98
	v_dual_mul_f32 v19, 0x3fb8aa3b, v17 :: v_dual_mul_f32 v32, 0x3fb8aa3b, v18
	v_cmp_ngt_f32_e32 vcc_lo, 0xc2ce8ed0, v18
	s_delay_alu instid0(VALU_DEP_2) | instskip(NEXT) | instid1(VALU_DEP_3)
	v_fma_f32 v34, 0x3fb8aa3b, v17, -v19
	v_fma_f32 v35, 0x3fb8aa3b, v18, -v32
	v_rndne_f32_e32 v36, v32
	s_delay_alu instid0(VALU_DEP_2) | instskip(SKIP_2) | instid1(VALU_DEP_3)
	v_dual_fmac_f32 v34, 0x32a5705f, v17 :: v_dual_fmac_f32 v35, 0x32a5705f, v18
	s_wait_dscnt 0x0
	v_max_num_f32_e32 v33, v29, v29
	v_dual_sub_f32 v32, v32, v36 :: v_dual_add_nc_u32 v29, 0x1000, v102
	s_delay_alu instid0(VALU_DEP_2) | instskip(SKIP_1) | instid1(VALU_DEP_2)
	v_max_num_f32_e32 v99, v31, v33
	v_rndne_f32_e32 v31, v19
	v_dual_sub_f32 v33, v37, v99 :: v_dual_sub_f32 v37, v16, v99
	s_delay_alu instid0(VALU_DEP_2) | instskip(SKIP_1) | instid1(VALU_DEP_3)
	v_sub_f32_e32 v19, v19, v31
	v_cvt_i32_f32_e32 v16, v31
	v_dual_add_f32 v31, v32, v35 :: v_dual_mul_f32 v32, 0x3fb8aa3b, v33
	v_cvt_i32_f32_e32 v35, v36
	s_delay_alu instid0(VALU_DEP_4) | instskip(NEXT) | instid1(VALU_DEP_3)
	v_dual_mul_f32 v36, 0x3fb8aa3b, v37 :: v_dual_add_f32 v19, v19, v34
	v_exp_f32_e32 v31, v31
	s_delay_alu instid0(VALU_DEP_3)
	v_fma_f32 v34, 0x3fb8aa3b, v33, -v32
	s_wait_xcnt 0x3
	v_rndne_f32_e32 v38, v32
	v_fma_f32 v39, 0x3fb8aa3b, v37, -v36
	v_exp_f32_e32 v19, v19
	s_wait_xcnt 0x2
	v_rndne_f32_e32 v40, v36
	s_delay_alu instid0(VALU_DEP_2) | instskip(SKIP_2) | instid1(TRANS32_DEP_1)
	v_dual_sub_f32 v32, v32, v38 :: v_dual_fmac_f32 v39, 0x32a5705f, v37
	v_ldexp_f32 v31, v31, v35
	v_fmac_f32_e32 v34, 0x32a5705f, v33
	v_ldexp_f32 v16, v19, v16
	v_cvt_i32_f32_e32 v35, v40
	s_delay_alu instid0(VALU_DEP_4) | instskip(SKIP_3) | instid1(VALU_DEP_2)
	v_cndmask_b32_e32 v31, 0, v31, vcc_lo
	v_cmp_ngt_f32_e32 vcc_lo, 0xc2ce8ed0, v17
	v_add_f32_e32 v19, v32, v34
	v_cvt_i32_f32_e32 v34, v38
	v_exp_f32_e32 v19, v19
	v_nop
	s_delay_alu instid0(TRANS32_DEP_1) | instskip(SKIP_1) | instid1(VALU_DEP_1)
	v_ldexp_f32 v19, v19, v34
	v_sub_f32_e32 v36, v36, v40
	v_dual_add_f32 v32, v36, v39 :: v_dual_cndmask_b32 v36, 0, v16, vcc_lo
	v_cmp_nlt_f32_e32 vcc_lo, 0x42b17218, v18
	s_delay_alu instid0(VALU_DEP_2) | instskip(SKIP_2) | instid1(TRANS32_DEP_1)
	v_exp_f32_e32 v32, v32
	v_cndmask_b32_e32 v16, 0x7f800000, v31, vcc_lo
	v_cmp_nlt_f32_e32 vcc_lo, 0x42b17218, v17
	v_ldexp_f32 v31, v32, v35
	v_cndmask_b32_e32 v18, 0x7f800000, v36, vcc_lo
	v_cmp_ngt_f32_e32 vcc_lo, 0xc2ce8ed0, v33
	v_cndmask_b32_e32 v17, 0, v19, vcc_lo
	v_cmp_ngt_f32_e32 vcc_lo, 0xc2ce8ed0, v37
	v_dual_cndmask_b32 v19, 0, v31 :: v_dual_add_nc_u32 v120, 0x1800, v102
	v_cmp_nlt_f32_e32 vcc_lo, 0x42b17218, v33
	v_cvt_f16_f32_e32 v31, v18
	v_cndmask_b32_e32 v17, 0x7f800000, v17, vcc_lo
	v_cmp_nlt_f32_e32 vcc_lo, 0x42b17218, v37
	s_delay_alu instid0(VALU_DEP_3) | instskip(NEXT) | instid1(VALU_DEP_3)
	v_and_b32_e32 v31, 0xffff, v31
	v_cvt_pk_f16_f32 v32, v16, v17
	s_delay_alu instid0(VALU_DEP_2)
	v_mul_u32_u24_e32 v31, 0x10001, v31
	ds_store_b32 v30, v32
	v_pk_mul_f16 v121, v27, v31
	v_pk_mul_f16 v122, v26, v31
	;; [unrolled: 1-line block ×3, first 2 shown]
	s_wait_loadcnt 0x3
	ds_store_b128 v108, v[12:15]
	v_add_nc_u32_e32 v12, 0x1000, v108
	s_wait_loadcnt 0x2
	ds_store_b128 v12, v[8:11]
	v_add_nc_u32_e32 v8, 0x2000, v108
	;; [unrolled: 3-line block ×3, first 2 shown]
	s_wait_loadcnt 0x0
	ds_store_b128 v4, v[0:3]
	s_wait_dscnt 0x0
	s_barrier_signal -1
	s_barrier_wait -1
	ds_load_b128 v[0:3], v110
	v_cndmask_b32_e32 v19, 0x7f800000, v19, vcc_lo
	s_delay_alu instid0(VALU_DEP_1) | instskip(SKIP_1) | instid1(VALU_DEP_2)
	v_cvt_f16_f32_e32 v33, v19
	v_pk_fma_f32 v[82:83], v[82:83], v[18:19], v[16:17]
	v_and_b32_e32 v30, 0xffff, v33
	s_delay_alu instid0(VALU_DEP_1) | instskip(NEXT) | instid1(VALU_DEP_1)
	v_mul_u32_u24_e32 v30, 0x10001, v30
	v_pk_mul_f16 v124, v24, v30
	ds_load_2addr_b64 v[36:39], v102 offset1:32
	ds_load_b128 v[52:55], v110 offset:16
	ds_load_b128 v[44:47], v110 offset:32
	;; [unrolled: 1-line block ×3, first 2 shown]
	ds_load_2addr_b64 v[8:11], v102 offset0:64 offset1:96
	ds_load_2addr_b64 v[72:75], v102 offset0:128 offset1:160
	;; [unrolled: 1-line block ×3, first 2 shown]
	ds_load_2addr_b64 v[12:15], v28 offset1:32
	ds_load_2addr_b64 v[16:19], v28 offset0:64 offset1:96
	ds_load_2addr_b64 v[68:71], v28 offset0:128 offset1:160
	;; [unrolled: 1-line block ×3, first 2 shown]
	s_wait_dscnt 0xb
	v_and_b32_e32 v28, 0xffff, v0
	v_lshrrev_b32_e32 v0, 16, v0
	v_pk_mul_f16 v22, v22, v30
	v_pk_mul_f16 v23, v23, v30
	ds_load_2addr_b64 v[40:43], v29 offset1:32
	ds_load_2addr_b64 v[64:67], v29 offset0:64 offset1:96
	ds_load_2addr_b64 v[60:63], v29 offset0:128 offset1:160
	v_mul_u32_u24_e32 v28, 0x10001, v28
	v_mul_u32_u24_e32 v0, 0x10001, v0
	ds_load_2addr_b64 v[56:59], v29 offset0:192 offset1:224
	ds_load_2addr_b64 v[32:35], v120 offset1:32
	v_and_b32_e32 v29, 0xffff, v1
	v_lshrrev_b32_e32 v1, 16, v1
	s_wait_dscnt 0xf
	v_pk_fma_f16 v121, v37, v28, v121
	v_pk_fma_f16 v124, v37, v0, v124
	;; [unrolled: 1-line block ×4, first 2 shown]
	v_pk_mul_f16 v0, v36, v0
	v_pk_fma_f16 v122, v38, v28, v122
	v_pk_fma_f16 v123, v39, v28, v123
	v_pk_mul_f16 v28, v36, v28
	v_mul_u32_u24_e32 v1, 0x10001, v1
	v_pk_fma_f16 v0, v20, v30, v0
	v_mul_u32_u24_e32 v125, 0x10001, v29
	v_and_b32_e32 v20, 0xffff, v2
	v_pk_fma_f16 v21, v21, v31, v28
	s_wait_dscnt 0xb
	v_pk_fma_f16 v124, v9, v1, v124
	v_pk_fma_f16 v126, v10, v1, v22
	;; [unrolled: 1-line block ×4, first 2 shown]
	v_lshrrev_b32_e32 v1, 16, v2
	ds_load_2addr_b64 v[36:39], v120 offset0:64 offset1:96
	ds_load_2addr_b64 v[28:31], v120 offset0:128 offset1:160
	v_pk_fma_f16 v121, v9, v125, v121
	v_pk_fma_f16 v122, v10, v125, v122
	;; [unrolled: 1-line block ×4, first 2 shown]
	v_mul_u32_u24_e32 v2, 0x10001, v20
	ds_load_2addr_b64 v[20:23], v120 offset0:192 offset1:224
	v_lshrrev_b32_e32 v120, 16, v3
	v_and_b32_e32 v3, 0xffff, v3
	v_mul_u32_u24_e32 v1, 0x10001, v1
	s_wait_dscnt 0xd
	v_pk_fma_f16 v121, v73, v2, v121
	v_pk_fma_f16 v122, v74, v2, v122
	;; [unrolled: 1-line block ×4, first 2 shown]
	v_mul_u32_u24_e32 v128, 0x10001, v3
	v_pk_fma_f16 v73, v73, v1, v124
	v_pk_fma_f16 v74, v74, v1, v126
	;; [unrolled: 1-line block ×4, first 2 shown]
	v_and_b32_e32 v124, 0xffff, v52
	v_lshrrev_b32_e32 v52, 16, v52
	v_mul_u32_u24_e32 v120, 0x10001, v120
	s_wait_dscnt 0xc
	v_pk_fma_f16 v121, v5, v128, v121
	v_pk_fma_f16 v122, v6, v128, v122
	;; [unrolled: 1-line block ×4, first 2 shown]
	v_mul_u32_u24_e32 v124, 0x10001, v124
	v_pk_fma_f16 v73, v5, v120, v73
	v_pk_fma_f16 v74, v6, v120, v74
	;; [unrolled: 1-line block ×4, first 2 shown]
	v_and_b32_e32 v120, 0xffff, v53
	v_mul_u32_u24_e32 v52, 0x10001, v52
	v_lshrrev_b32_e32 v53, 16, v53
	s_wait_dscnt 0xb
	v_pk_fma_f16 v121, v13, v124, v121
	v_pk_fma_f16 v122, v14, v124, v122
	v_pk_fma_f16 v123, v15, v124, v123
	v_pk_fma_f16 v124, v12, v124, v125
	v_mul_u32_u24_e32 v120, 0x10001, v120
	v_pk_fma_f16 v73, v13, v52, v73
	v_pk_fma_f16 v74, v14, v52, v74
	;; [unrolled: 1-line block ×4, first 2 shown]
	v_lshrrev_b32_e32 v72, 16, v54
	v_and_b32_e32 v54, 0xffff, v54
	v_mul_u32_u24_e32 v53, 0x10001, v53
	ds_load_2addr_b64 v[8:11], v119 offset1:32
	ds_load_2addr_b64 v[0:3], v119 offset0:64 offset1:96
	ds_load_2addr_b64 v[4:7], v119 offset0:128 offset1:160
	;; [unrolled: 1-line block ×3, first 2 shown]
	s_wait_dscnt 0xe
	v_pk_fma_f16 v119, v17, v120, v121
	v_pk_fma_f16 v121, v18, v120, v122
	;; [unrolled: 1-line block ×4, first 2 shown]
	v_and_b32_e32 v123, 0xffff, v55
	v_mul_u32_u24_e32 v54, 0x10001, v54
	v_mul_u32_u24_e32 v72, 0x10001, v72
	v_pk_fma_f16 v73, v17, v53, v73
	v_pk_fma_f16 v74, v18, v53, v74
	;; [unrolled: 1-line block ×4, first 2 shown]
	v_dual_lshrrev_b32 v53, 16, v55 :: v_dual_lshrrev_b32 v126, 16, v44
	v_mul_u32_u24_e32 v55, 0x10001, v123
	s_wait_dscnt 0xd
	v_pk_fma_f16 v119, v69, v54, v119
	v_pk_fma_f16 v123, v69, v72, v73
	;; [unrolled: 1-line block ×8, first 2 shown]
	v_and_b32_e32 v120, 0xffff, v44
	v_mul_u32_u24_e32 v44, 0x10001, v53
	s_wait_dscnt 0xc
	v_pk_fma_f16 v53, v49, v55, v119
	v_pk_fma_f16 v119, v50, v55, v121
	;; [unrolled: 1-line block ×4, first 2 shown]
	v_and_b32_e32 v55, 0xffff, v45
	v_pk_fma_f16 v49, v49, v44, v123
	v_pk_fma_f16 v50, v50, v44, v124
	;; [unrolled: 1-line block ×4, first 2 shown]
	v_dual_lshrrev_b32 v122, 16, v45 :: v_dual_lshrrev_b32 v124, 16, v46
	v_mul_u32_u24_e32 v52, 0x10001, v120
	v_mul_u32_u24_e32 v126, 0x10001, v126
	v_and_b32_e32 v123, 0xffff, v46
	v_mul_u32_u24_e32 v127, 0x10001, v55
	v_mul_u32_u24_e32 v122, 0x10001, v122
	s_wait_dscnt 0xb
	v_pk_fma_f16 v128, v41, v52, v53
	v_pk_fma_f16 v119, v42, v52, v119
	v_pk_fma_f16 v121, v43, v52, v121
	v_pk_fma_f16 v41, v41, v126, v49
	v_pk_fma_f16 v42, v42, v126, v50
	v_pk_fma_f16 v43, v43, v126, v51
	v_pk_fma_f16 v49, v40, v52, v54
	v_pk_fma_f16 v40, v40, v126, v48
	ds_load_2addr_b64 v[16:19], v118 offset1:32
	ds_load_b128 v[72:75], v110 offset:64
	ds_load_b128 v[68:71], v110 offset:80
	v_lshrrev_b32_e32 v125, 16, v47
	v_and_b32_e32 v120, 0xffff, v47
	ds_load_2addr_b64 v[44:47], v118 offset0:64 offset1:96
	ds_load_2addr_b64 v[52:55], v118 offset0:128 offset1:160
	s_wait_dscnt 0xf
	v_pk_fma_f16 v126, v65, v127, v128
	v_pk_fma_f16 v119, v66, v127, v119
	;; [unrolled: 1-line block ×4, first 2 shown]
	ds_load_2addr_b64 v[48:51], v118 offset0:192 offset1:224
	v_mul_u32_u24_e32 v118, 0x10001, v123
	v_pk_fma_f16 v65, v65, v122, v41
	v_pk_fma_f16 v66, v66, v122, v42
	;; [unrolled: 1-line block ×4, first 2 shown]
	v_mul_u32_u24_e32 v123, 0x10001, v124
	v_lshrrev_b32_e32 v122, 16, v24
	s_wait_dscnt 0xf
	v_pk_fma_f16 v124, v61, v118, v126
	v_pk_fma_f16 v119, v62, v118, v119
	;; [unrolled: 1-line block ×4, first 2 shown]
	v_and_b32_e32 v24, 0xffff, v24
	v_pk_fma_f16 v65, v61, v123, v65
	v_pk_fma_f16 v66, v62, v123, v66
	;; [unrolled: 1-line block ×4, first 2 shown]
	v_and_b32_e32 v123, 0xffff, v25
	v_lshrrev_b32_e32 v126, 16, v25
	v_and_b32_e32 v127, 0xffff, v26
	v_mul_u32_u24_e32 v25, 0x10001, v120
	v_lshrrev_b32_e32 v120, 16, v26
	v_mul_u32_u24_e32 v26, 0x10001, v125
	v_mul_u32_u24_e32 v125, 0x10001, v24
	v_lshrrev_b32_e32 v128, 16, v27
	s_wait_dscnt 0xe
	v_pk_fma_f16 v124, v57, v25, v124
	v_pk_fma_f16 v119, v58, v25, v119
	;; [unrolled: 1-line block ×7, first 2 shown]
	v_mul_u32_u24_e32 v65, 0x10001, v122
	v_pk_fma_f16 v59, v59, v26, v67
	s_wait_dscnt 0xd
	v_pk_fma_f16 v66, v33, v125, v124
	v_pk_fma_f16 v67, v34, v125, v119
	;; [unrolled: 1-line block ×6, first 2 shown]
	v_mul_u32_u24_e32 v56, 0x10001, v123
	v_mul_u32_u24_e32 v123, 0x10001, v126
	v_and_b32_e32 v129, 0xffff, v27
	v_pk_fma_f16 v33, v33, v65, v57
	v_pk_fma_f16 v35, v35, v65, v59
	s_wait_dscnt 0xc
	v_pk_fma_f16 v66, v37, v56, v66
	v_pk_fma_f16 v67, v38, v56, v67
	;; [unrolled: 1-line block ×4, first 2 shown]
	v_mul_u32_u24_e32 v124, 0x10001, v127
	v_pk_fma_f16 v38, v38, v123, v34
	v_pk_fma_f16 v36, v36, v123, v32
	v_mul_u32_u24_e32 v120, 0x10001, v120
	s_wait_dscnt 0x4
	v_and_b32_e32 v64, 0xffff, v72
	v_lshrrev_b32_e32 v72, 16, v72
	v_pk_fma_f16 v37, v37, v123, v33
	v_pk_fma_f16 v39, v39, v123, v35
	;; [unrolled: 1-line block ×8, first 2 shown]
	v_mul_u32_u24_e32 v125, 0x10001, v129
	v_mul_u32_u24_e32 v126, 0x10001, v128
	v_and_b32_e32 v65, 0xffff, v73
	v_dual_lshrrev_b32 v73, 16, v73 :: v_dual_lshrrev_b32 v121, 16, v74
	v_pk_fma_f16 v37, v29, v120, v37
	v_pk_fma_f16 v39, v31, v120, v39
	v_mul_u32_u24_e32 v64, 0x10001, v64
	v_pk_fma_f16 v66, v21, v125, v66
	v_pk_fma_f16 v67, v22, v125, v67
	;; [unrolled: 1-line block ×6, first 2 shown]
	v_mul_u32_u24_e32 v72, 0x10001, v72
	v_pk_fma_f16 v37, v21, v126, v37
	v_pk_fma_f16 v39, v23, v126, v39
	v_pk_fma_f16 v66, v9, v64, v66
	v_pk_fma_f16 v67, v10, v64, v67
	v_pk_fma_f16 v119, v11, v64, v119
	v_pk_fma_f16 v64, v8, v64, v118
	v_pk_fma_f16 v38, v10, v72, v38
	v_pk_fma_f16 v36, v8, v72, v36
	v_mul_u32_u24_e32 v65, 0x10001, v65
	v_mul_u32_u24_e32 v73, 0x10001, v73
	v_lshrrev_b32_e32 v122, 16, v75
	v_pk_fma_f16 v37, v9, v72, v37
	v_pk_fma_f16 v39, v11, v72, v39
	v_pk_fma_f16 v67, v2, v65, v67
	v_pk_fma_f16 v64, v0, v65, v64
	v_pk_fma_f16 v2, v2, v73, v38
	v_pk_fma_f16 v0, v0, v73, v36
	v_mul_u32_u24_e32 v38, 0x10001, v121
	v_and_b32_e32 v74, 0xffff, v74
	ds_load_2addr_b64 v[40:43], v117 offset1:32
	ds_load_b128 v[60:63], v110 offset:96
	ds_load_b128 v[28:31], v110 offset:112
	ds_load_2addr_b64 v[24:27], v117 offset0:64 offset1:96
	ds_load_2addr_b64 v[56:59], v117 offset0:128 offset1:160
	;; [unrolled: 1-line block ×3, first 2 shown]
	s_wait_dscnt 0x9
	v_and_b32_e32 v117, 0xffff, v68
	v_lshrrev_b32_e32 v68, 16, v68
	v_pk_fma_f16 v66, v1, v65, v66
	v_pk_fma_f16 v119, v3, v65, v119
	;; [unrolled: 1-line block ×4, first 2 shown]
	v_mul_u32_u24_e32 v73, 0x10001, v122
	v_pk_fma_f16 v0, v4, v38, v0
	v_and_b32_e32 v75, 0xffff, v75
	v_mul_u32_u24_e32 v37, 0x10001, v74
	v_and_b32_e32 v123, 0xffff, v69
	v_dual_lshrrev_b32 v69, 16, v69 :: v_dual_lshrrev_b32 v120, 16, v70
	v_mul_u32_u24_e32 v68, 0x10001, v68
	v_pk_fma_f16 v1, v5, v38, v1
	v_pk_fma_f16 v2, v6, v38, v2
	v_pk_fma_f16 v0, v12, v73, v0
	v_mul_u32_u24_e32 v39, 0x10001, v75
	v_pk_fma_f16 v66, v5, v37, v66
	v_pk_fma_f16 v67, v6, v37, v67
	v_pk_fma_f16 v119, v7, v37, v119
	v_pk_fma_f16 v5, v4, v37, v64
	v_mul_u32_u24_e32 v69, 0x10001, v69
	v_pk_fma_f16 v3, v7, v38, v3
	;; [unrolled: 5-line block ×3, first 2 shown]
	v_pk_fma_f16 v6, v14, v39, v67
	v_pk_fma_f16 v7, v15, v39, v119
	;; [unrolled: 1-line block ×3, first 2 shown]
	s_wait_dscnt 0x4
	v_dual_lshrrev_b32 v124, 16, v71 :: v_dual_lshrrev_b32 v125, 16, v60
	v_mul_u32_u24_e32 v117, 0x10001, v120
	v_pk_fma_f16 v3, v15, v73, v3
	v_pk_fma_f16 v1, v17, v68, v1
	;; [unrolled: 1-line block ×4, first 2 shown]
	v_and_b32_e32 v70, 0xffff, v70
	v_mul_u32_u24_e32 v75, 0x10001, v123
	v_pk_fma_f16 v4, v17, v74, v4
	v_pk_fma_f16 v6, v18, v74, v6
	;; [unrolled: 1-line block ×4, first 2 shown]
	v_mul_u32_u24_e32 v120, 0x10001, v124
	v_pk_fma_f16 v3, v19, v68, v3
	v_pk_fma_f16 v1, v45, v69, v1
	v_pk_fma_f16 v2, v46, v69, v2
	v_pk_fma_f16 v0, v52, v117, v0
	v_and_b32_e32 v71, 0xffff, v71
	v_mul_u32_u24_e32 v70, 0x10001, v70
	v_pk_fma_f16 v4, v45, v75, v4
	v_pk_fma_f16 v6, v46, v75, v6
	;; [unrolled: 1-line block ×4, first 2 shown]
	v_dual_lshrrev_b32 v118, 16, v61 :: v_dual_lshrrev_b32 v72, 16, v62
	v_mul_u32_u24_e32 v121, 0x10001, v125
	v_pk_fma_f16 v3, v47, v69, v3
	v_pk_fma_f16 v1, v53, v117, v1
	;; [unrolled: 1-line block ×4, first 2 shown]
	v_and_b32_e32 v60, 0xffff, v60
	v_mul_u32_u24_e32 v71, 0x10001, v71
	v_pk_fma_f16 v4, v53, v70, v4
	v_pk_fma_f16 v6, v54, v70, v6
	;; [unrolled: 1-line block ×4, first 2 shown]
	ds_load_2addr_b64 v[20:23], v116 offset1:32
	v_mul_u32_u24_e32 v118, 0x10001, v118
	v_pk_fma_f16 v3, v55, v117, v3
	v_pk_fma_f16 v1, v49, v120, v1
	;; [unrolled: 1-line block ×4, first 2 shown]
	v_and_b32_e32 v61, 0xffff, v61
	v_mul_u32_u24_e32 v60, 0x10001, v60
	v_pk_fma_f16 v4, v49, v71, v4
	v_pk_fma_f16 v6, v50, v71, v6
	;; [unrolled: 1-line block ×4, first 2 shown]
	s_wait_dscnt 0x4
	v_dual_lshrrev_b32 v126, 16, v63 :: v_dual_lshrrev_b32 v65, 16, v28
	v_mul_u32_u24_e32 v72, 0x10001, v72
	v_pk_fma_f16 v3, v51, v120, v3
	v_pk_fma_f16 v1, v41, v121, v1
	;; [unrolled: 1-line block ×3, first 2 shown]
	s_wait_dscnt 0x3
	v_pk_fma_f16 v0, v24, v118, v0
	v_and_b32_e32 v62, 0xffff, v62
	v_mul_u32_u24_e32 v61, 0x10001, v61
	v_pk_fma_f16 v4, v41, v60, v4
	v_pk_fma_f16 v6, v42, v60, v6
	;; [unrolled: 1-line block ×4, first 2 shown]
	v_mul_u32_u24_e32 v122, 0x10001, v126
	v_pk_fma_f16 v3, v43, v121, v3
	v_pk_fma_f16 v1, v25, v118, v1
	;; [unrolled: 1-line block ×3, first 2 shown]
	s_wait_dscnt 0x2
	v_pk_fma_f16 v0, v56, v72, v0
	v_and_b32_e32 v63, 0xffff, v63
	ds_load_2addr_b64 v[8:11], v116 offset0:64 offset1:96
	v_mul_u32_u24_e32 v62, 0x10001, v62
	v_pk_fma_f16 v4, v25, v61, v4
	v_pk_fma_f16 v6, v26, v61, v6
	;; [unrolled: 1-line block ×4, first 2 shown]
	v_mul_u32_u24_e32 v65, 0x10001, v65
	v_pk_fma_f16 v3, v27, v118, v3
	v_pk_fma_f16 v1, v57, v72, v1
	;; [unrolled: 1-line block ×3, first 2 shown]
	s_wait_dscnt 0x2
	v_pk_fma_f16 v0, v32, v122, v0
	v_and_b32_e32 v28, 0xffff, v28
	v_mul_u32_u24_e32 v63, 0x10001, v63
	v_pk_fma_f16 v4, v57, v62, v4
	v_pk_fma_f16 v6, v58, v62, v6
	;; [unrolled: 1-line block ×7, first 2 shown]
	s_wait_dscnt 0x1
	v_pk_fma_f16 v13, v20, v65, v0
	v_dual_lshrrev_b32 v0, 16, v29 :: v_dual_lshrrev_b32 v19, 16, v30
	v_and_b32_e32 v36, 0xffff, v29
	v_mul_u32_u24_e32 v28, 0x10001, v28
	v_pk_fma_f16 v4, v33, v63, v4
	v_pk_fma_f16 v6, v34, v63, v6
	;; [unrolled: 1-line block ×7, first 2 shown]
	v_mul_u32_u24_e32 v17, 0x10001, v0
	ds_load_2addr_b64 v[0:3], v116 offset0:128 offset1:160
	v_pk_fma_f16 v4, v21, v28, v4
	v_pk_fma_f16 v5, v20, v28, v5
	;; [unrolled: 1-line block ×3, first 2 shown]
	v_mul_u32_u24_e32 v16, 0x10001, v36
	v_pk_fma_f16 v7, v23, v28, v7
	v_pk_fma_f16 v12, v23, v65, v12
	s_wait_dscnt 0x1
	s_delay_alu instid0(VALU_DEP_3)
	v_pk_fma_f16 v18, v8, v16, v5
	v_pk_fma_f16 v8, v8, v17, v13
	;; [unrolled: 1-line block ×6, first 2 shown]
	ds_load_2addr_b64 v[4:7], v116 offset0:192 offset1:224
	s_wait_dscnt 0x0
	s_barrier_signal -1
	s_barrier_wait -1
	s_load_b32 s5, s[20:21], 0x4
	v_pk_fma_f16 v10, v10, v17, v15
	v_and_b32_e32 v15, 0xffff, v30
	v_pk_fma_f16 v11, v11, v17, v12
	s_delay_alu instid0(VALU_DEP_2) | instskip(SKIP_1) | instid1(VALU_DEP_2)
	v_mul_u32_u24_e32 v12, 0x10001, v15
	v_mul_u32_u24_e32 v15, 0x10001, v19
	v_pk_fma_f16 v17, v0, v12, v18
	s_delay_alu instid0(VALU_DEP_2)
	v_pk_fma_f16 v0, v0, v15, v8
	v_and_b32_e32 v8, 0xffff, v31
	v_lshrrev_b32_e32 v18, 16, v31
	v_pk_fma_f16 v13, v1, v12, v13
	v_pk_fma_f16 v1, v1, v15, v9
	;; [unrolled: 1-line block ×3, first 2 shown]
	v_mul_u32_u24_e32 v8, 0x10001, v8
	v_mul_u32_u24_e32 v14, 0x10001, v18
	v_pk_fma_f16 v2, v2, v15, v10
	v_pk_fma_f16 v10, v3, v12, v16
	;; [unrolled: 1-line block ×3, first 2 shown]
	s_wait_kmcnt 0x0
	s_lshl_b32 s5, s5, 5
	v_pk_fma_f16 v21, v4, v8, v17
	v_pk_fma_f16 v20, v4, v14, v0
	;; [unrolled: 1-line block ×8, first 2 shown]
	s_add_co_i32 s4, s5, s4
	s_delay_alu instid0(SALU_CYCLE_1)
	s_cmp_ge_i32 s4, s28
	s_cbranch_scc1 .LBB62_19
; %bb.18:                               ;   in Loop: Header=BB62_9 Depth=1
	v_dual_mov_b32 v17, v98 :: v_dual_mov_b32 v16, v99
	s_branch .LBB62_9
.LBB62_19:
	v_mov_b32_e32 v3, v103
.LBB62_20:
	v_cmp_lt_i32_e32 vcc_lo, v115, v104
	s_cmp_lg_u64 s[12:13], 0
	s_cselect_b32 s3, -1, 0
	s_cmp_eq_u32 s29, 0
	v_cndmask_b32_e32 v0, v3, v115, vcc_lo
	v_cmp_lt_i32_e32 vcc_lo, v111, v104
	s_cselect_b32 s4, -1, 0
	s_delay_alu instid0(SALU_CYCLE_1) | instskip(SKIP_2) | instid1(VALU_DEP_2)
	s_and_b32 s3, s4, s3
	v_cndmask_b32_e32 v2, v3, v111, vcc_lo
	v_cmp_lt_i32_e32 vcc_lo, v112, v104
	v_dual_lshlrev_b32 v2, 2, v2 :: v_dual_lshlrev_b32 v1, 2, v0
	ds_bpermute_b32 v0, v1, v82
	ds_bpermute_b32 v1, v1, v83
	s_wait_dscnt 0x0
	v_pk_add_f32 v[0:1], v[82:83], v[0:1]
	ds_bpermute_b32 v4, v2, v0
	ds_bpermute_b32 v5, v2, v1
	v_cndmask_b32_e32 v2, v3, v112, vcc_lo
	v_cmp_lt_i32_e32 vcc_lo, v113, v104
	s_delay_alu instid0(VALU_DEP_2)
	v_lshlrev_b32_e32 v2, 2, v2
	s_wait_dscnt 0x0
	v_pk_add_f32 v[0:1], v[0:1], v[4:5]
	ds_bpermute_b32 v4, v2, v0
	ds_bpermute_b32 v5, v2, v1
	v_cndmask_b32_e32 v2, v3, v113, vcc_lo
	v_cmp_lt_i32_e32 vcc_lo, v114, v104
	s_delay_alu instid0(VALU_DEP_2)
	v_lshlrev_b32_e32 v2, 2, v2
	s_wait_dscnt 0x0
	v_pk_add_f32 v[0:1], v[0:1], v[4:5]
	ds_bpermute_b32 v4, v2, v0
	ds_bpermute_b32 v5, v2, v1
	v_cndmask_b32_e32 v2, v3, v114, vcc_lo
	s_and_b32 vcc_lo, exec_lo, s3
	s_delay_alu instid0(VALU_DEP_1)
	v_lshlrev_b32_e32 v3, 2, v2
	s_wait_dscnt 0x0
	v_pk_add_f32 v[0:1], v[0:1], v[4:5]
	ds_bpermute_b32 v2, v3, v0
	ds_bpermute_b32 v3, v3, v1
	s_wait_dscnt 0x0
	v_pk_add_f32 v[0:1], v[0:1], v[2:3]
	v_add_nc_u32_e32 v2, s33, v76
	s_cbranch_vccz .LBB62_22
; %bb.21:
	s_delay_alu instid0(VALU_DEP_1) | instskip(NEXT) | instid1(VALU_DEP_1)
	v_dual_ashrrev_i32 v3, 31, v2 :: v_dual_max_num_f32 v7, v99, v99
	v_lshl_add_u64 v[4:5], v[2:3], 2, s[12:13]
	v_max_num_f32_e32 v3, v98, v98
	global_load_b64 v[4:5], v[4:5], off
	s_wait_loadcnt 0x0
	v_dual_max_num_f32 v6, v4, v4 :: v_dual_max_num_f32 v8, v5, v5
	s_delay_alu instid0(VALU_DEP_1) | instskip(NEXT) | instid1(VALU_DEP_1)
	v_max_num_f32_e32 v6, v3, v6
	v_dual_max_num_f32 v7, v7, v8 :: v_dual_sub_f32 v3, v98, v6
	s_delay_alu instid0(VALU_DEP_1) | instskip(SKIP_2) | instid1(VALU_DEP_3)
	v_dual_sub_f32 v8, v4, v6 :: v_dual_sub_f32 v9, v99, v7
	v_sub_f32_e32 v10, v5, v7
	v_mov_b64_e32 v[98:99], v[6:7]
	v_dual_mul_f32 v4, 0x3fb8aa3b, v3 :: v_dual_mul_f32 v5, 0x3fb8aa3b, v8
	s_delay_alu instid0(VALU_DEP_4) | instskip(SKIP_1) | instid1(VALU_DEP_3)
	v_mul_f32_e32 v11, 0x3fb8aa3b, v9
	v_cmp_ngt_f32_e32 vcc_lo, 0xc2ce8ed0, v3
	v_fma_f32 v13, 0x3fb8aa3b, v3, -v4
	v_rndne_f32_e32 v14, v4
	s_delay_alu instid0(VALU_DEP_4) | instskip(SKIP_2) | instid1(VALU_DEP_4)
	v_rndne_f32_e32 v18, v11
	v_fma_f32 v17, 0x3fb8aa3b, v9, -v11
	v_rndne_f32_e32 v16, v5
	v_dual_fmac_f32 v13, 0x32a5705f, v3 :: v_dual_sub_f32 v4, v4, v14
	s_delay_alu instid0(VALU_DEP_4) | instskip(SKIP_2) | instid1(VALU_DEP_4)
	v_sub_f32_e32 v11, v11, v18
	v_mul_f32_e32 v12, 0x3fb8aa3b, v10
	v_fma_f32 v15, 0x3fb8aa3b, v8, -v5
	v_dual_sub_f32 v5, v5, v16 :: v_dual_add_f32 v4, v4, v13
	v_cvt_i32_f32_e32 v13, v14
	s_delay_alu instid0(VALU_DEP_4) | instskip(SKIP_4) | instid1(VALU_DEP_3)
	v_fma_f32 v19, 0x3fb8aa3b, v10, -v12
	v_rndne_f32_e32 v28, v12
	v_fmac_f32_e32 v17, 0x32a5705f, v9
	v_exp_f32_e32 v4, v4
	v_cvt_i32_f32_e32 v14, v18
	v_sub_f32_e32 v12, v12, v28
	s_delay_alu instid0(TRANS32_DEP_1) | instskip(SKIP_2) | instid1(VALU_DEP_3)
	v_ldexp_f32 v4, v4, v13
	v_fmac_f32_e32 v19, 0x32a5705f, v10
	v_cvt_i32_f32_e32 v13, v28
	v_cndmask_b32_e32 v4, 0, v4, vcc_lo
	s_delay_alu instid0(VALU_DEP_3) | instskip(SKIP_2) | instid1(VALU_DEP_3)
	v_dual_fmac_f32 v15, 0x32a5705f, v8 :: v_dual_add_f32 v12, v12, v19
	v_add_f32_e32 v11, v11, v17
	v_cmp_ngt_f32_e32 vcc_lo, 0xc2ce8ed0, v9
	v_add_f32_e32 v5, v5, v15
	v_cvt_i32_f32_e32 v15, v16
	s_delay_alu instid0(VALU_DEP_4) | instskip(SKIP_1) | instid1(VALU_DEP_2)
	v_exp_f32_e32 v11, v11
	v_exp_f32_e32 v12, v12
	;; [unrolled: 1-line block ×3, first 2 shown]
	s_delay_alu instid0(TRANS32_DEP_3) | instskip(NEXT) | instid1(TRANS32_DEP_2)
	v_ldexp_f32 v11, v11, v14
	v_ldexp_f32 v12, v12, v13
	s_delay_alu instid0(VALU_DEP_2) | instskip(SKIP_1) | instid1(TRANS32_DEP_1)
	v_cndmask_b32_e32 v11, 0, v11, vcc_lo
	v_cmp_nlt_f32_e32 vcc_lo, 0x42b17218, v3
	v_ldexp_f32 v3, v5, v15
	v_cndmask_b32_e32 v4, 0x7f800000, v4, vcc_lo
	v_cmp_nlt_f32_e32 vcc_lo, 0x42b17218, v9
	s_delay_alu instid0(VALU_DEP_2) | instskip(SKIP_2) | instid1(VALU_DEP_3)
	v_cvt_f16_f32_e32 v9, v4
	v_cndmask_b32_e32 v5, 0x7f800000, v11, vcc_lo
	v_cmp_ngt_f32_e32 vcc_lo, 0xc2ce8ed0, v8
	v_and_b32_e32 v13, 0xffff, v9
	v_cndmask_b32_e32 v3, 0, v3, vcc_lo
	v_cmp_ngt_f32_e32 vcc_lo, 0xc2ce8ed0, v10
	v_cndmask_b32_e32 v11, 0, v12, vcc_lo
	v_cvt_f16_f32_e32 v12, v5
	v_cmp_nlt_f32_e32 vcc_lo, 0x42b17218, v8
	v_cndmask_b32_e32 v8, 0x7f800000, v3, vcc_lo
	v_cmp_nlt_f32_e32 vcc_lo, 0x42b17218, v10
	s_delay_alu instid0(VALU_DEP_4) | instskip(SKIP_2) | instid1(VALU_DEP_3)
	v_and_b32_e32 v3, 0xffff, v12
	v_mul_u32_u24_e32 v10, 0x10001, v13
	v_cndmask_b32_e32 v9, 0x7f800000, v11, vcc_lo
	v_mul_u32_u24_e32 v3, 0x10001, v3
	s_delay_alu instid0(VALU_DEP_3)
	v_pk_mul_f16 v21, v21, v10
	v_pk_mul_f16 v27, v27, v10
	v_pk_mul_f16 v26, v26, v10
	v_pk_fma_f32 v[0:1], v[0:1], v[4:5], v[8:9]
	v_pk_mul_f16 v25, v25, v10
	v_pk_mul_f16 v20, v20, v3
	;; [unrolled: 1-line block ×5, first 2 shown]
.LBB62_22:
	s_mov_b32 s3, exec_lo
	v_cmpx_gt_i32_e64 s22, v100
	s_cbranch_execz .LBB62_31
; %bb.23:
	s_load_b32 s0, s[0:1], 0xd4
	v_mov_b32_e32 v4, 1.0
	s_wait_kmcnt 0x0
	s_cmp_lg_u32 s0, 1
	s_cselect_b32 s3, -1, 0
	s_cmp_eq_u32 s0, 1
	s_cselect_b32 s1, -1, 0
	s_and_b32 vcc_lo, exec_lo, s3
	s_cbranch_vccnz .LBB62_25
; %bb.24:
	v_div_scale_f32 v3, null, v0, v0, 1.0
	s_delay_alu instid0(VALU_DEP_1) | instskip(SKIP_1) | instid1(TRANS32_DEP_1)
	v_rcp_f32_e32 v4, v3
	v_nop
	v_fma_f32 v5, -v3, v4, 1.0
	s_delay_alu instid0(VALU_DEP_1) | instskip(SKIP_1) | instid1(VALU_DEP_1)
	v_fmac_f32_e32 v4, v5, v4
	v_div_scale_f32 v5, vcc_lo, 1.0, v0, 1.0
	v_mul_f32_e32 v6, v5, v4
	s_delay_alu instid0(VALU_DEP_1) | instskip(NEXT) | instid1(VALU_DEP_1)
	v_fma_f32 v7, -v3, v6, v5
	v_fmac_f32_e32 v6, v7, v4
	s_delay_alu instid0(VALU_DEP_1) | instskip(NEXT) | instid1(VALU_DEP_1)
	v_fma_f32 v3, -v3, v6, v5
	v_div_fmas_f32 v3, v3, v4, v6
	s_delay_alu instid0(VALU_DEP_1)
	v_div_fixup_f32 v4, v3, v0, 1.0
.LBB62_25:
	v_mad_u32 v3, s2, s22, v100
	v_dual_mov_b32 v13, 0 :: v_dual_lshrrev_b32 v5, 16, v27
	v_dual_lshrrev_b32 v11, 16, v26 :: v_dual_lshrrev_b32 v15, 16, v25
	v_cvt_f32_f16_e32 v6, v21
	v_cvt_f32_f16_e32 v8, v27
	s_delay_alu instid0(VALU_DEP_4)
	v_cvt_f32_f16_e32 v9, v5
	v_cvt_f32_f16_e32 v10, v26
	;; [unrolled: 1-line block ×4, first 2 shown]
	v_mad_u32 v2, v3, s23, v2
	v_lshrrev_b32_e32 v3, 16, v21
	v_cvt_f32_f16_e32 v15, v15
	v_cmp_eq_u32_e32 vcc_lo, 0, v77
	v_pk_mul_f32 v[8:9], v[4:5], v[8:9] op_sel_hi:[0,1]
	v_pk_mul_f32 v[10:11], v[4:5], v[10:11] op_sel_hi:[0,1]
	v_cvt_f32_f16_e32 v7, v3
	s_and_b32 s2, vcc_lo, s3
	s_delay_alu instid0(VALU_DEP_1) | instskip(SKIP_1) | instid1(VALU_DEP_1)
	v_pk_mul_f32 v[6:7], v[4:5], v[6:7] op_sel_hi:[0,1]
	v_mad_u32 v2, s0, v2, s29
	v_lshl_add_u32 v12, v2, 8, v101
	s_delay_alu instid0(VALU_DEP_1) | instskip(SKIP_1) | instid1(VALU_DEP_1)
	v_lshl_add_u64 v[16:17], v[12:13], 2, s[16:17]
	v_add_nc_u32_e32 v12, 0x80, v12
	v_lshl_add_u64 v[18:19], v[12:13], 2, s[16:17]
	v_pk_mul_f32 v[12:13], v[4:5], v[14:15] op_sel_hi:[0,1]
	s_clause 0x1
	global_store_b128 v[16:17], v[6:9], off
	global_store_b128 v[18:19], v[10:13], off
	s_wait_xcnt 0x0
	s_and_saveexec_b32 s3, s2
	s_cbranch_execz .LBB62_27
; %bb.26:
	v_dual_mov_b32 v4, v98 :: v_dual_mov_b32 v5, v0
	global_store_b64 v2, v[4:5], s[18:19] scale_offset
.LBB62_27:
	s_wait_xcnt 0x0
	s_or_b32 exec_lo, exec_lo, s3
	v_mov_b32_e32 v0, 1.0
	s_and_not1_b32 vcc_lo, exec_lo, s1
	s_cbranch_vccnz .LBB62_29
; %bb.28:
	v_div_scale_f32 v0, null, v1, v1, 1.0
	s_delay_alu instid0(VALU_DEP_1) | instskip(SKIP_1) | instid1(TRANS32_DEP_1)
	v_rcp_f32_e32 v3, v0
	v_nop
	v_fma_f32 v4, -v0, v3, 1.0
	s_delay_alu instid0(VALU_DEP_1) | instskip(SKIP_1) | instid1(VALU_DEP_1)
	v_fmac_f32_e32 v3, v4, v3
	v_div_scale_f32 v4, vcc_lo, 1.0, v1, 1.0
	v_mul_f32_e32 v5, v4, v3
	s_delay_alu instid0(VALU_DEP_1) | instskip(NEXT) | instid1(VALU_DEP_1)
	v_fma_f32 v6, -v0, v5, v4
	v_fmac_f32_e32 v5, v6, v3
	s_delay_alu instid0(VALU_DEP_1) | instskip(NEXT) | instid1(VALU_DEP_1)
	v_fma_f32 v0, -v0, v5, v4
	v_div_fmas_f32 v0, v0, v3, v5
	s_delay_alu instid0(VALU_DEP_1)
	v_div_fixup_f32 v0, v0, v1, 1.0
.LBB62_29:
	v_dual_mov_b32 v9, 0 :: v_dual_add_nc_u32 v2, s0, v2
	v_dual_lshrrev_b32 v3, 16, v20 :: v_dual_lshrrev_b32 v10, 16, v22
	v_dual_lshrrev_b32 v6, 16, v24 :: v_dual_lshrrev_b32 v14, 16, v23
	s_delay_alu instid0(VALU_DEP_3) | instskip(SKIP_1) | instid1(VALU_DEP_4)
	v_lshl_add_u32 v8, v2, 8, v101
	v_cvt_f32_f16_e32 v4, v20
	v_cvt_f32_f16_e32 v5, v3
	s_delay_alu instid0(VALU_DEP_4)
	v_cvt_f32_f16_e32 v7, v6
	v_cvt_f32_f16_e32 v6, v24
	v_lshl_add_u64 v[12:13], v[8:9], 2, s[16:17]
	v_add_nc_u32_e32 v8, 0x80, v8
	v_cvt_f32_f16_e32 v11, v10
	v_cvt_f32_f16_e32 v10, v22
	;; [unrolled: 1-line block ×4, first 2 shown]
	v_pk_mul_f32 v[4:5], v[0:1], v[4:5] op_sel_hi:[0,1]
	v_pk_mul_f32 v[6:7], v[0:1], v[6:7] op_sel_hi:[0,1]
	v_lshl_add_u64 v[16:17], v[8:9], 2, s[16:17]
	v_pk_mul_f32 v[8:9], v[0:1], v[10:11] op_sel_hi:[0,1]
	v_pk_mul_f32 v[10:11], v[0:1], v[14:15] op_sel_hi:[0,1]
	s_clause 0x1
	global_store_b128 v[12:13], v[4:7], off
	global_store_b128 v[16:17], v[8:11], off
	s_wait_xcnt 0x0
	s_and_b32 exec_lo, exec_lo, s2
	s_cbranch_execz .LBB62_31
; %bb.30:
	v_mov_b32_e32 v0, v99
	global_store_b64 v2, v[0:1], s[18:19] scale_offset
.LBB62_31:
	s_sendmsg sendmsg(MSG_DEALLOC_VGPRS)
	s_endpgm
	.section	.rodata,"a",@progbits
	.p2align	6, 0x0
	.amdhsa_kernel _ZL15flash_attn_tileILi256ELi256ELi4ELi4ELb1EEvPKcS1_S1_S1_S1_PKiPfP15HIP_vector_typeIfLj2EEffffjfiS5_IjLj3EEiiiiiiiiiiiliiliiiiil
		.amdhsa_group_segment_fixed_size 26112
		.amdhsa_private_segment_fixed_size 0
		.amdhsa_kernarg_size 464
		.amdhsa_user_sgpr_count 2
		.amdhsa_user_sgpr_dispatch_ptr 0
		.amdhsa_user_sgpr_queue_ptr 0
		.amdhsa_user_sgpr_kernarg_segment_ptr 1
		.amdhsa_user_sgpr_dispatch_id 0
		.amdhsa_user_sgpr_kernarg_preload_length 0
		.amdhsa_user_sgpr_kernarg_preload_offset 0
		.amdhsa_user_sgpr_private_segment_size 0
		.amdhsa_wavefront_size32 1
		.amdhsa_uses_dynamic_stack 0
		.amdhsa_enable_private_segment 0
		.amdhsa_system_sgpr_workgroup_id_x 1
		.amdhsa_system_sgpr_workgroup_id_y 1
		.amdhsa_system_sgpr_workgroup_id_z 1
		.amdhsa_system_sgpr_workgroup_info 0
		.amdhsa_system_vgpr_workitem_id 1
		.amdhsa_next_free_vgpr 130
		.amdhsa_next_free_sgpr 42
		.amdhsa_named_barrier_count 0
		.amdhsa_reserve_vcc 1
		.amdhsa_float_round_mode_32 0
		.amdhsa_float_round_mode_16_64 0
		.amdhsa_float_denorm_mode_32 3
		.amdhsa_float_denorm_mode_16_64 3
		.amdhsa_fp16_overflow 0
		.amdhsa_memory_ordered 1
		.amdhsa_forward_progress 1
		.amdhsa_inst_pref_size 79
		.amdhsa_round_robin_scheduling 0
		.amdhsa_exception_fp_ieee_invalid_op 0
		.amdhsa_exception_fp_denorm_src 0
		.amdhsa_exception_fp_ieee_div_zero 0
		.amdhsa_exception_fp_ieee_overflow 0
		.amdhsa_exception_fp_ieee_underflow 0
		.amdhsa_exception_fp_ieee_inexact 0
		.amdhsa_exception_int_div_zero 0
	.end_amdhsa_kernel
	.section	.text._ZL15flash_attn_tileILi256ELi256ELi4ELi4ELb1EEvPKcS1_S1_S1_S1_PKiPfP15HIP_vector_typeIfLj2EEffffjfiS5_IjLj3EEiiiiiiiiiiiliiliiiiil,"axG",@progbits,_ZL15flash_attn_tileILi256ELi256ELi4ELi4ELb1EEvPKcS1_S1_S1_S1_PKiPfP15HIP_vector_typeIfLj2EEffffjfiS5_IjLj3EEiiiiiiiiiiiliiliiiiil,comdat
.Lfunc_end62:
	.size	_ZL15flash_attn_tileILi256ELi256ELi4ELi4ELb1EEvPKcS1_S1_S1_S1_PKiPfP15HIP_vector_typeIfLj2EEffffjfiS5_IjLj3EEiiiiiiiiiiiliiliiiiil, .Lfunc_end62-_ZL15flash_attn_tileILi256ELi256ELi4ELi4ELb1EEvPKcS1_S1_S1_S1_PKiPfP15HIP_vector_typeIfLj2EEffffjfiS5_IjLj3EEiiiiiiiiiiiliiliiiiil
                                        ; -- End function
	.set _ZL15flash_attn_tileILi256ELi256ELi4ELi4ELb1EEvPKcS1_S1_S1_S1_PKiPfP15HIP_vector_typeIfLj2EEffffjfiS5_IjLj3EEiiiiiiiiiiiliiliiiiil.num_vgpr, 130
	.set _ZL15flash_attn_tileILi256ELi256ELi4ELi4ELb1EEvPKcS1_S1_S1_S1_PKiPfP15HIP_vector_typeIfLj2EEffffjfiS5_IjLj3EEiiiiiiiiiiiliiliiiiil.num_agpr, 0
	.set _ZL15flash_attn_tileILi256ELi256ELi4ELi4ELb1EEvPKcS1_S1_S1_S1_PKiPfP15HIP_vector_typeIfLj2EEffffjfiS5_IjLj3EEiiiiiiiiiiiliiliiiiil.numbered_sgpr, 42
	.set _ZL15flash_attn_tileILi256ELi256ELi4ELi4ELb1EEvPKcS1_S1_S1_S1_PKiPfP15HIP_vector_typeIfLj2EEffffjfiS5_IjLj3EEiiiiiiiiiiiliiliiiiil.num_named_barrier, 0
	.set _ZL15flash_attn_tileILi256ELi256ELi4ELi4ELb1EEvPKcS1_S1_S1_S1_PKiPfP15HIP_vector_typeIfLj2EEffffjfiS5_IjLj3EEiiiiiiiiiiiliiliiiiil.private_seg_size, 0
	.set _ZL15flash_attn_tileILi256ELi256ELi4ELi4ELb1EEvPKcS1_S1_S1_S1_PKiPfP15HIP_vector_typeIfLj2EEffffjfiS5_IjLj3EEiiiiiiiiiiiliiliiiiil.uses_vcc, 1
	.set _ZL15flash_attn_tileILi256ELi256ELi4ELi4ELb1EEvPKcS1_S1_S1_S1_PKiPfP15HIP_vector_typeIfLj2EEffffjfiS5_IjLj3EEiiiiiiiiiiiliiliiiiil.uses_flat_scratch, 0
	.set _ZL15flash_attn_tileILi256ELi256ELi4ELi4ELb1EEvPKcS1_S1_S1_S1_PKiPfP15HIP_vector_typeIfLj2EEffffjfiS5_IjLj3EEiiiiiiiiiiiliiliiiiil.has_dyn_sized_stack, 0
	.set _ZL15flash_attn_tileILi256ELi256ELi4ELi4ELb1EEvPKcS1_S1_S1_S1_PKiPfP15HIP_vector_typeIfLj2EEffffjfiS5_IjLj3EEiiiiiiiiiiiliiliiiiil.has_recursion, 0
	.set _ZL15flash_attn_tileILi256ELi256ELi4ELi4ELb1EEvPKcS1_S1_S1_S1_PKiPfP15HIP_vector_typeIfLj2EEffffjfiS5_IjLj3EEiiiiiiiiiiiliiliiiiil.has_indirect_call, 0
	.section	.AMDGPU.csdata,"",@progbits
; Kernel info:
; codeLenInByte = 9996
; TotalNumSgprs: 44
; NumVgprs: 130
; ScratchSize: 0
; MemoryBound: 0
; FloatMode: 240
; IeeeMode: 1
; LDSByteSize: 26112 bytes/workgroup (compile time only)
; SGPRBlocks: 0
; VGPRBlocks: 8
; NumSGPRsForWavesPerEU: 44
; NumVGPRsForWavesPerEU: 130
; NamedBarCnt: 0
; Occupancy: 7
; WaveLimiterHint : 1
; COMPUTE_PGM_RSRC2:SCRATCH_EN: 0
; COMPUTE_PGM_RSRC2:USER_SGPR: 2
; COMPUTE_PGM_RSRC2:TRAP_HANDLER: 0
; COMPUTE_PGM_RSRC2:TGID_X_EN: 1
; COMPUTE_PGM_RSRC2:TGID_Y_EN: 1
; COMPUTE_PGM_RSRC2:TGID_Z_EN: 1
; COMPUTE_PGM_RSRC2:TIDIG_COMP_CNT: 1
	.section	.text._ZL15flash_attn_tileILi256ELi256ELi2ELi4ELb1EEvPKcS1_S1_S1_S1_PKiPfP15HIP_vector_typeIfLj2EEffffjfiS5_IjLj3EEiiiiiiiiiiiliiliiiiil,"axG",@progbits,_ZL15flash_attn_tileILi256ELi256ELi2ELi4ELb1EEvPKcS1_S1_S1_S1_PKiPfP15HIP_vector_typeIfLj2EEffffjfiS5_IjLj3EEiiiiiiiiiiiliiliiiiil,comdat
	.globl	_ZL15flash_attn_tileILi256ELi256ELi2ELi4ELb1EEvPKcS1_S1_S1_S1_PKiPfP15HIP_vector_typeIfLj2EEffffjfiS5_IjLj3EEiiiiiiiiiiiliiliiiiil ; -- Begin function _ZL15flash_attn_tileILi256ELi256ELi2ELi4ELb1EEvPKcS1_S1_S1_S1_PKiPfP15HIP_vector_typeIfLj2EEffffjfiS5_IjLj3EEiiiiiiiiiiiliiliiiiil
	.p2align	8
	.type	_ZL15flash_attn_tileILi256ELi256ELi2ELi4ELb1EEvPKcS1_S1_S1_S1_PKiPfP15HIP_vector_typeIfLj2EEffffjfiS5_IjLj3EEiiiiiiiiiiiliiliiiiil,@function
_ZL15flash_attn_tileILi256ELi256ELi2ELi4ELb1EEvPKcS1_S1_S1_S1_PKiPfP15HIP_vector_typeIfLj2EEffffjfiS5_IjLj3EEiiiiiiiiiiiliiliiiiil: ; @_ZL15flash_attn_tileILi256ELi256ELi2ELi4ELb1EEvPKcS1_S1_S1_S1_PKiPfP15HIP_vector_typeIfLj2EEffffjfiS5_IjLj3EEiiiiiiiiiiiliiliiiiil
; %bb.0:
	s_clause 0x1
	s_load_b128 s[20:23], s[0:1], 0x5c
	s_load_b64 s[28:29], s[0:1], 0x80
	s_bfe_u32 s5, ttmp6, 0x40014
	s_lshr_b32 s4, ttmp7, 16
	s_add_co_i32 s5, s5, 1
	s_bfe_u32 s6, ttmp6, 0x40008
	s_mul_i32 s5, s4, s5
	s_getreg_b32 s27, hwreg(HW_REG_IB_STS2, 6, 4)
	s_add_co_i32 s6, s6, s5
	s_load_b64 s[36:37], s[0:1], 0xb8
	s_mov_b32 s35, 0
	s_mov_b64 s[30:31], 0
	s_wait_kmcnt 0x0
	s_ashr_i32 s2, s23, 31
	s_delay_alu instid0(SALU_CYCLE_1) | instskip(NEXT) | instid1(SALU_CYCLE_1)
	s_lshr_b32 s2, s2, 30
	s_add_co_i32 s2, s23, s2
	s_delay_alu instid0(SALU_CYCLE_1) | instskip(NEXT) | instid1(SALU_CYCLE_1)
	s_ashr_i32 s2, s2, 2
	s_cvt_f32_u32 s3, s2
	s_sub_co_i32 s7, 0, s2
	s_delay_alu instid0(SALU_CYCLE_2) | instskip(SKIP_1) | instid1(TRANS32_DEP_1)
	v_rcp_iflag_f32_e32 v1, s3
	v_nop
	v_readfirstlane_b32 s3, v1
	s_mul_f32 s3, s3, 0x4f7ffffe
	s_delay_alu instid0(SALU_CYCLE_3) | instskip(NEXT) | instid1(SALU_CYCLE_3)
	s_cvt_u32_f32 s3, s3
	s_mul_i32 s7, s7, s3
	s_delay_alu instid0(SALU_CYCLE_1) | instskip(NEXT) | instid1(SALU_CYCLE_1)
	s_mul_hi_u32 s7, s3, s7
	s_add_co_i32 s3, s3, s7
	s_cmp_eq_u32 s27, 0
	s_cselect_b32 s4, s4, s6
	s_delay_alu instid0(SALU_CYCLE_1) | instskip(NEXT) | instid1(SALU_CYCLE_1)
	s_mul_hi_u32 s3, s4, s3
	s_mul_i32 s5, s3, s2
	s_add_co_i32 s6, s3, 1
	s_sub_co_i32 s5, s4, s5
	s_delay_alu instid0(SALU_CYCLE_1)
	s_sub_co_i32 s7, s5, s2
	s_cmp_ge_u32 s5, s2
	s_cselect_b32 s3, s6, s3
	s_cselect_b32 s5, s7, s5
	s_add_co_i32 s6, s3, 1
	s_cmp_ge_u32 s5, s2
	s_cselect_b32 s2, s6, s3
	s_abs_i32 s3, s29
	s_lshl_b32 s4, s4, 2
	s_cvt_f32_u32 s5, s3
	s_sub_co_i32 s6, 0, s3
	s_mul_i32 s7, s2, s23
	s_abs_i32 s8, s23
	v_rcp_iflag_f32_e32 v1, s5
	s_sub_co_i32 s33, s4, s7
	v_nop
	s_delay_alu instid0(TRANS32_DEP_1) | instskip(SKIP_1) | instid1(SALU_CYCLE_3)
	v_readfirstlane_b32 s5, v1
	s_mul_f32 s5, s5, 0x4f7ffffe
	s_cvt_u32_f32 s5, s5
	s_delay_alu instid0(SALU_CYCLE_3) | instskip(NEXT) | instid1(SALU_CYCLE_1)
	s_mul_i32 s6, s6, s5
	s_mul_hi_u32 s6, s5, s6
	s_delay_alu instid0(SALU_CYCLE_1) | instskip(NEXT) | instid1(SALU_CYCLE_1)
	s_add_co_i32 s5, s5, s6
	s_mul_hi_u32 s4, s8, s5
	s_xor_b32 s5, s23, s29
	s_mul_i32 s6, s4, s3
	s_ashr_i32 s24, s5, 31
	s_sub_co_i32 s5, s8, s6
	s_add_co_i32 s6, s4, 1
	s_sub_co_i32 s7, s5, s3
	s_cmp_ge_u32 s5, s3
	s_cselect_b32 s4, s6, s4
	s_cselect_b32 s5, s7, s5
	s_add_co_i32 s6, s4, 1
	s_cmp_ge_u32 s5, s3
	s_cselect_b32 s3, s6, s4
	s_load_b512 s[4:19], s[0:1], 0x0
	s_xor_b32 s3, s3, s24
	s_delay_alu instid0(SALU_CYCLE_1) | instskip(NEXT) | instid1(SALU_CYCLE_1)
	s_sub_co_i32 s3, s3, s24
	s_abs_i32 s38, s3
	s_delay_alu instid0(SALU_CYCLE_1) | instskip(NEXT) | instid1(SALU_CYCLE_3)
	s_cvt_f32_u32 s24, s38
	v_rcp_iflag_f32_e32 v1, s24
	v_nop
	s_delay_alu instid0(TRANS32_DEP_1)
	v_readfirstlane_b32 s34, v1
	s_wait_kmcnt 0x0
	s_cmp_eq_u64 s[10:11], 0
	s_cbranch_scc1 .LBB63_2
; %bb.1:
	s_abs_i32 s26, s36
	s_abs_i32 s29, s2
	s_cvt_f32_u32 s24, s26
	s_sub_co_i32 s25, 0, s26
	s_delay_alu instid0(SALU_CYCLE_2) | instskip(SKIP_1) | instid1(TRANS32_DEP_1)
	v_rcp_iflag_f32_e32 v1, s24
	v_nop
	v_readfirstlane_b32 s24, v1
	s_mul_f32 s24, s24, 0x4f7ffffe
	s_delay_alu instid0(SALU_CYCLE_3) | instskip(NEXT) | instid1(SALU_CYCLE_3)
	s_cvt_u32_f32 s24, s24
	s_mul_i32 s25, s25, s24
	s_delay_alu instid0(SALU_CYCLE_1) | instskip(NEXT) | instid1(SALU_CYCLE_1)
	s_mul_hi_u32 s25, s24, s25
	s_add_co_i32 s24, s24, s25
	s_delay_alu instid0(SALU_CYCLE_1) | instskip(SKIP_2) | instid1(SALU_CYCLE_1)
	s_mul_hi_u32 s30, s29, s24
	s_load_b64 s[24:25], s[0:1], 0xc8
	s_mul_i32 s30, s30, s26
	s_sub_co_i32 s29, s29, s30
	s_ashr_i32 s30, s2, 31
	s_sub_co_i32 s31, s29, s26
	s_cmp_ge_u32 s29, s26
	s_cselect_b32 s29, s31, s29
	s_delay_alu instid0(SALU_CYCLE_1) | instskip(SKIP_2) | instid1(SALU_CYCLE_1)
	s_sub_co_i32 s31, s29, s26
	s_cmp_ge_u32 s29, s26
	s_cselect_b32 s26, s31, s29
	s_xor_b32 s26, s26, s30
	s_delay_alu instid0(SALU_CYCLE_1) | instskip(NEXT) | instid1(SALU_CYCLE_1)
	s_sub_co_i32 s30, s26, s30
	s_ashr_i32 s31, s30, 31
	s_wait_kmcnt 0x0
	s_mul_u64 s[24:25], s[24:25], s[30:31]
	s_delay_alu instid0(SALU_CYCLE_1)
	s_add_nc_u64 s[30:31], s[10:11], s[24:25]
.LBB63_2:
	s_bfe_u32 s10, ttmp6, 0x4000c
	v_dual_lshrrev_b32 v1, 10, v0 :: v_dual_mov_b32 v3, 0
	s_add_co_i32 s10, s10, 1
	s_and_b32 s11, ttmp6, 15
	s_mul_i32 s10, ttmp9, s10
	s_delay_alu instid0(VALU_DEP_1)
	v_bfe_u32 v1, v1, 1, 9
	s_add_co_i32 s11, s11, s10
	s_cmp_eq_u32 s27, 0
	s_load_b96 s[24:26], s[0:1], 0x70
	s_cselect_b32 s10, ttmp9, s11
	v_mov_b32_e32 v65, v3
	v_lshl_add_u32 v104, s10, 1, v1
	s_delay_alu instid0(VALU_DEP_1) | instskip(NEXT) | instid1(VALU_DEP_1)
	v_mul_hi_u32 v1, s20, v104
	v_add_nc_u32_e32 v1, v104, v1
	s_wait_kmcnt 0x0
	s_mul_i32 s20, s33, s25
	s_ashr_i32 s41, s25, 31
	s_mov_b32 s40, s25
	s_ashr_i32 s25, s24, 31
	v_lshrrev_b32_e32 v1, s21, v1
	s_lshr_b64 s[24:25], s[24:25], 2
	s_ashr_i32 s21, s20, 31
	s_delay_alu instid0(VALU_DEP_1) | instskip(NEXT) | instid1(VALU_DEP_1)
	v_mul_lo_u32 v1, v1, s22
	v_sub_nc_u32_e32 v2, v104, v1
	v_bfe_u32 v1, v0, 10, 10
	s_delay_alu instid0(VALU_DEP_1) | instskip(NEXT) | instid1(VALU_DEP_3)
	v_lshlrev_b32_e32 v24, 1, v1
	v_mul_u64_e32 v[4:5], s[24:25], v[2:3]
	s_lshr_b64 s[24:25], s[40:41], 2
	s_delay_alu instid0(VALU_DEP_2) | instskip(SKIP_1) | instid1(VALU_DEP_2)
	v_and_b32_e32 v64, 2, v24
	v_bitop3_b32 v8, v24, 3, 1 bitop3:0xc8
	v_mul_u64_e32 v[6:7], s[24:25], v[64:65]
	v_and_b32_e32 v65, 0x3ff, v0
	v_dual_mov_b32 v9, v3 :: v_dual_mov_b32 v11, v3
	v_lshlrev_b32_e32 v0, 10, v1
	s_delay_alu instid0(VALU_DEP_3) | instskip(NEXT) | instid1(VALU_DEP_3)
	v_lshlrev_b32_e32 v10, 4, v65
	v_mul_u64_e32 v[8:9], s[24:25], v[8:9]
	s_mul_i32 s24, s2, s26
	v_lshlrev_b32_e32 v106, 3, v65
	s_ashr_i32 s25, s24, 31
	s_cmp_eq_u64 s[14:15], 0
	s_add_nc_u64 s[4:5], s[4:5], s[24:25]
	s_delay_alu instid0(SALU_CYCLE_1) | instskip(SKIP_3) | instid1(VALU_DEP_1)
	s_add_nc_u64 s[4:5], s[4:5], s[20:21]
	v_add_nc_u32_e32 v3, 0x4200, v106
	v_lshl_add_u64 v[4:5], v[4:5], 2, s[4:5]
	s_load_b32 s4, s[0:1], 0x40
	v_add_nc_u64_e32 v[10:11], v[4:5], v[10:11]
	s_delay_alu instid0(VALU_DEP_1)
	v_lshl_add_u64 v[20:21], v[6:7], 2, v[10:11]
	v_lshl_add_u64 v[22:23], v[8:9], 2, v[10:11]
	s_clause 0x3
	global_load_b128 v[4:7], v[20:21], off
	global_load_b128 v[8:11], v[20:21], off offset:512
	global_load_b128 v[12:15], v[22:23], off
	global_load_b128 v[16:19], v[22:23], off offset:512
	s_wait_xcnt 0x2
	v_or_b32_e32 v20, 1, v24
	s_wait_loadcnt 0x3
	s_wait_kmcnt 0x0
	v_fma_mixlo_f16 v4, s4, v4, 0
	v_fma_mixlo_f16 v5, s4, v5, 0
	;; [unrolled: 1-line block ×4, first 2 shown]
	s_wait_loadcnt 0x2
	v_fma_mixlo_f16 v8, s4, v8, 0
	v_fma_mixlo_f16 v9, s4, v9, 0
	;; [unrolled: 1-line block ×4, first 2 shown]
	s_wait_loadcnt 0x1
	v_fma_mixlo_f16 v12, s4, v12, 0
	v_fma_mixlo_f16 v13, s4, v13, 0
	;; [unrolled: 1-line block ×3, first 2 shown]
	s_wait_loadcnt 0x0
	v_fma_mixlo_f16 v16, s4, v16, 0
	v_fma_mixlo_f16 v17, s4, v17, 0
	v_dual_add_nc_u32 v21, v3, v0 :: v_dual_lshlrev_b32 v5, 16, v5
	v_fma_mixlo_f16 v19, s4, v19, 0
	v_and_b32_e32 v4, 0xffff, v4
	v_dual_lshlrev_b32 v7, 16, v7 :: v_dual_lshlrev_b32 v9, 16, v9
	v_and_b32_e32 v6, 0xffff, v6
	v_and_b32_e32 v8, 0xffff, v8
	v_fma_mixlo_f16 v14, s4, v14, 0
	v_fma_mixlo_f16 v18, s4, v18, 0
	v_dual_lshlrev_b32 v11, 16, v11 :: v_dual_lshlrev_b32 v13, 16, v13
	v_and_b32_e32 v10, 0xffff, v10
	v_and_b32_e32 v12, 0xffff, v12
	v_dual_lshlrev_b32 v15, 16, v15 :: v_dual_lshlrev_b32 v17, 16, v17
	v_and_b32_e32 v16, 0xffff, v16
	v_dual_lshlrev_b32 v19, 16, v19 :: v_dual_bitop2_b32 v4, v5, v4 bitop3:0x54
	v_or3_b32 v5, v7, v6, 0
	v_or_b32_e32 v6, v9, v8
	v_and_b32_e32 v14, 0xffff, v14
	v_and_b32_e32 v18, 0xffff, v18
	v_or3_b32 v7, v11, v10, 0
	v_or_b32_e32 v8, v13, v12
	v_or_b32_e32 v10, v17, v16
	v_or3_b32 v4, 0, 0, v4
	v_or3_b32 v6, 0, 0, v6
	v_lshl_add_u32 v3, v20, 9, v3
	v_or3_b32 v9, v15, v14, 0
	v_or3_b32 v11, v19, v18, 0
	v_or3_b32 v8, 0, 0, v8
	v_or3_b32 v10, 0, 0, v10
	ds_store_2addr_b64 v21, v[4:5], v[6:7] offset1:32
	ds_store_2addr_b64 v3, v[8:9], v[10:11] offset1:32
	s_wait_dscnt 0x0
	s_barrier_signal -1
	s_barrier_wait -1
	s_cbranch_scc1 .LBB63_4
; %bb.3:
	s_load_b32 s4, s[0:1], 0xd0
	s_wait_kmcnt 0x0
	s_mul_i32 s4, s4, s2
	s_delay_alu instid0(SALU_CYCLE_1)
	s_add_co_i32 s4, s4, s10
	s_load_b32 s28, s[14:15], s4 offset:0x0 scale_offset
.LBB63_4:
	s_wait_xcnt 0x0
	s_bfe_u32 s4, ttmp6, 0x40010
	s_and_b32 s5, ttmp7, 0xffff
	s_add_co_i32 s4, s4, 1
	s_bfe_u32 s10, ttmp6, 0x40004
	s_mul_i32 s4, s5, s4
	v_lshlrev_b32_e32 v105, 2, v65
	s_add_co_i32 s10, s10, s4
	s_cmp_eq_u32 s27, 0
	v_mbcnt_lo_u32_b32 v107, -1, 0
	s_cselect_b32 s29, s5, s10
	s_mov_b32 s5, 0
	s_lshl_b32 s4, s29, 5
	s_wait_kmcnt 0x0
	s_cmp_lt_i32 s4, s28
	s_cbranch_scc1 .LBB63_7
; %bb.5:
	v_mbcnt_lo_u32_b32 v3, -1, 0
	s_delay_alu instid0(VALU_DEP_1)
	v_dual_mov_b32 v108, 32 :: v_dual_bitop2_b32 v133, 16, v3 bitop3:0x14
	v_xor_b32_e32 v129, 8, v3
	v_xor_b32_e32 v130, 4, v3
	;; [unrolled: 1-line block ×4, first 2 shown]
	s_and_not1_b32 vcc_lo, exec_lo, s5
	s_cbranch_vccz .LBB63_8
; %bb.6:
	v_dual_mov_b32 v103, 0xfeffffff :: v_dual_mov_b32 v40, 0
	v_dual_mov_b32 v83, 0 :: v_dual_mov_b32 v43, 0
	;; [unrolled: 1-line block ×3, first 2 shown]
	s_delay_alu instid0(VALU_DEP_2)
	v_dual_mov_b32 v102, v103 :: v_dual_mov_b32 v82, v83
	v_dual_mov_b32 v36, 0 :: v_dual_mov_b32 v39, 0
	;; [unrolled: 1-line block ×3, first 2 shown]
	s_branch .LBB63_20
.LBB63_7:
                                        ; implicit-def: $vgpr3
                                        ; implicit-def: $vgpr108
                                        ; implicit-def: $vgpr133
                                        ; implicit-def: $vgpr129
                                        ; implicit-def: $vgpr130
                                        ; implicit-def: $vgpr131
                                        ; implicit-def: $vgpr132
.LBB63_8:
	s_clause 0x1
	s_load_b128 s[24:27], s[0:1], 0x98
	s_load_b64 s[20:21], s[0:1], 0x8c
	s_mul_f32 s5, s34, 0x4f7ffffe
	s_sub_co_i32 s10, 0, s38
	s_ashr_i32 s15, s3, 31
	s_abs_i32 s34, s33
	s_cvt_u32_f32 s5, s5
	s_mov_b32 s11, s35
	s_ashr_i32 s14, s33, 31
	s_ashr_i32 s39, s37, 1
	s_mul_i32 s10, s10, s5
	s_xor_b32 s15, s14, s15
	s_mul_hi_u32 s3, s5, s10
	s_load_b64 s[36:37], s[0:1], 0xa8
	s_add_co_i32 s10, s5, s3
	s_ashr_i32 s3, s2, 31
	s_mul_u64 s[10:11], s[34:35], s[10:11]
	s_load_b32 s35, s[0:1], 0x54
	s_mul_i32 s5, s11, s38
	v_mad_u32 v120, v2, s39, v65
	s_sub_co_i32 s5, s34, s5
	s_wait_kmcnt 0x0
	s_ashr_i32 s14, s20, 2
	s_ashr_i32 s10, s26, 2
	v_mul_lo_u32 v66, s14, v1
	s_add_co_i32 s34, s11, 1
	s_sub_co_i32 s40, s5, s38
	s_cmp_ge_u32 s5, s38
	v_mul_lo_u32 v76, s10, v1
	s_cselect_b32 s11, s34, s11
	s_cselect_b32 s5, s40, s5
	s_add_co_i32 s34, s11, 1
	s_cmp_ge_u32 s5, s38
	s_mul_u64 s[24:25], s[24:25], s[2:3]
	s_cselect_b32 s5, s34, s11
	s_and_b32 s11, s20, -4
	s_delay_alu instid0(SALU_CYCLE_1)
	v_dual_lshlrev_b32 v72, 2, v105 :: v_dual_add_nc_u32 v68, s11, v66
	s_xor_b32 s5, s5, s15
	s_add_nc_u64 s[6:7], s[6:7], s[24:25]
	v_ashrrev_i32_e32 v67, 31, v66
	s_sub_co_i32 s5, s5, s15
	v_add_nc_u32_e32 v70, s11, v68
	s_mul_i32 s20, s5, s21
	v_mad_u32_u24 v109, 0x210, v1, v72
	v_ashrrev_i32_e32 v69, 31, v68
	s_ashr_i32 s21, s20, 31
	v_add_nc_u32_e32 v74, s11, v70
	s_add_nc_u64 s[6:7], s[6:7], s[20:21]
	s_mul_u64 s[20:21], s[36:37], s[2:3]
	s_and_b32 s3, s26, -4
	s_delay_alu instid0(SALU_CYCLE_1) | instskip(SKIP_3) | instid1(VALU_DEP_3)
	v_dual_ashrrev_i32 v71, 31, v70 :: v_dual_add_nc_u32 v84, s3, v76
	v_dual_add_nc_u32 v78, s11, v74 :: v_dual_ashrrev_i32 v75, 31, v74
	v_dual_mov_b32 v73, 0 :: v_dual_add_nc_u32 v110, 0x840, v109
	v_lshl_add_u32 v119, v1, 9, v72
	v_dual_add_nc_u32 v80, s11, v78 :: v_dual_ashrrev_i32 v79, 31, v78
	s_mul_i32 s24, s5, s27
	v_dual_mov_b32 v108, 32 :: v_dual_add_nc_u32 v111, 0x1080, v109
	s_delay_alu instid0(VALU_DEP_2) | instskip(SKIP_2) | instid1(VALU_DEP_3)
	v_dual_add_nc_u32 v86, s11, v80 :: v_dual_ashrrev_i32 v81, 31, v80
	v_add_nc_u32_e32 v88, s3, v84
	v_dual_mov_b32 v83, v73 :: v_dual_add_nc_u32 v112, 0x18c0, v109
	v_dual_add_nc_u32 v90, s11, v86 :: v_dual_ashrrev_i32 v87, 31, v86
	s_delay_alu instid0(VALU_DEP_3) | instskip(SKIP_1) | instid1(VALU_DEP_3)
	v_add_nc_u32_e32 v92, s3, v88
	v_dual_mov_b32 v82, v73 :: v_dual_add_nc_u32 v113, 0x2100, v109
	v_ashrrev_i32_e32 v91, 31, v90
	v_dual_mov_b32 v37, v73 :: v_dual_add_nc_u32 v114, 0x2940, v109
	s_delay_alu instid0(VALU_DEP_4) | instskip(SKIP_3) | instid1(VALU_DEP_4)
	v_add_nc_u32_e32 v94, s3, v92
	v_ashrrev_i32_e32 v77, 31, v76
	v_dual_mov_b32 v38, v73 :: v_dual_add_nc_u32 v115, 0x3180, v109
	v_dual_mov_b32 v39, v73 :: v_dual_add_nc_u32 v116, 0x39c0, v109
	v_add_nc_u32_e32 v96, s3, v94
	v_mul_u32_u24_e32 v117, 0x210, v65
	v_dual_mov_b32 v41, v73 :: v_dual_add_nc_u32 v118, 0x4200, v0
	v_lshl_add_u32 v121, v1, 7, 0x5200
	s_delay_alu instid0(VALU_DEP_4) | instskip(SKIP_2) | instid1(VALU_DEP_3)
	v_dual_add_nc_u32 v98, s3, v96 :: v_dual_ashrrev_i32 v97, 31, v96
	v_ashrrev_i32_e32 v89, 31, v88
	v_dual_mov_b32 v43, v73 :: v_dual_add_nc_u32 v122, 0x800, v119
	v_dual_add_nc_u32 v100, s3, v98 :: v_dual_ashrrev_i32 v85, 31, v84
	v_ashrrev_i32_e32 v95, 31, v94
	v_dual_mov_b32 v36, v73 :: v_dual_add_nc_u32 v123, 0x1000, v119
	v_add_nc_u32_e32 v124, 0x1800, v119
	v_dual_ashrrev_i32 v93, 31, v92 :: v_dual_ashrrev_i32 v99, 31, v98
	v_dual_mov_b32 v42, v73 :: v_dual_add_nc_u32 v125, 0x2000, v119
	v_add_nc_u32_e32 v126, 0x2800, v119
	v_dual_mov_b32 v40, v73 :: v_dual_add_nc_u32 v127, 0x3000, v119
	v_add_nc_u32_e32 v128, 0x3800, v119
	v_dual_mov_b32 v32, 0xfeffffff :: v_dual_ashrrev_i32 v101, 31, v100
	v_mov_b32_e32 v33, 0xfeffffff
	s_add_nc_u64 s[8:9], s[8:9], s[20:21]
	s_ashr_i32 s25, s24, 31
	s_ashr_i32 s15, s14, 31
	s_add_nc_u64 s[8:9], s[8:9], s[24:25]
	s_ashr_i32 s11, s10, 31
	s_add_nc_u64 s[20:21], s[0:1], 0xd0
	s_mov_b32 s3, 0xbbbac73d
.LBB63_9:                               ; =>This Inner Loop Header: Depth=1
	s_ashr_i32 s5, s4, 31
	v_mov_b32_e32 v52, 0
	s_mul_u64 s[24:25], s[4:5], s[14:15]
	s_delay_alu instid0(SALU_CYCLE_1) | instskip(NEXT) | instid1(SALU_CYCLE_1)
	s_lshl_b64 s[24:25], s[24:25], 2
	s_add_nc_u64 s[24:25], s[6:7], s[24:25]
	s_delay_alu instid0(SALU_CYCLE_1)
	v_lshl_add_u64 v[0:1], v[66:67], 2, s[24:25]
	v_lshl_add_u64 v[2:3], v[68:69], 2, s[24:25]
	;; [unrolled: 1-line block ×6, first 2 shown]
	v_add_nc_u64_e32 v[0:1], v[0:1], v[72:73]
	v_lshl_add_u64 v[12:13], v[86:87], 2, s[24:25]
	v_lshl_add_u64 v[14:15], v[90:91], 2, s[24:25]
	v_add_nc_u64_e32 v[16:17], v[2:3], v[72:73]
	v_add_nc_u64_e32 v[18:19], v[4:5], v[72:73]
	;; [unrolled: 1-line block ×7, first 2 shown]
	s_clause 0x7
	global_load_b128 v[0:3], v[0:1], off
	global_load_b128 v[4:7], v[16:17], off
	;; [unrolled: 1-line block ×8, first 2 shown]
	s_wait_loadcnt 0x7
	ds_store_b128 v109, v[0:3]
	s_wait_loadcnt 0x6
	ds_store_b128 v110, v[4:7]
	;; [unrolled: 2-line block ×8, first 2 shown]
	s_wait_dscnt 0x0
	s_barrier_signal -1
	s_barrier_wait -1
	ds_load_b128 v[2:5], v117
	ds_load_b128 v[6:9], v118
	ds_load_b128 v[10:13], v118 offset:512
	v_dual_mov_b32 v1, 0 :: v_dual_add_nc_u32 v0, s4, v120
	s_wait_dscnt 0x1
	;;#ASMSTART
	v_dot2_f32_f16 v1, v2, v6, v1
	;;#ASMEND
	;;#ASMSTART
	v_dot2_f32_f16 v1, v3, v7, v1
	;;#ASMEND
	;;#ASMSTART
	v_dot2_f32_f16 v1, v4, v8, v1
	;;#ASMEND
	;;#ASMSTART
	v_dot2_f32_f16 v1, v5, v9, v1
	;;#ASMEND
	s_wait_dscnt 0x0
	;;#ASMSTART
	v_dot2_f32_f16 v52, v2, v10, v52
	;;#ASMEND
	;;#ASMSTART
	v_dot2_f32_f16 v52, v3, v11, v52
	;;#ASMEND
	;;#ASMSTART
	v_dot2_f32_f16 v52, v4, v12, v52
	;;#ASMEND
	;;#ASMSTART
	v_dot2_f32_f16 v52, v5, v13, v52
	;;#ASMEND
	ds_load_b128 v[2:5], v117 offset:16
	ds_load_b128 v[6:9], v118 offset:16
	ds_load_b128 v[10:13], v118 offset:528
	s_wait_dscnt 0x1
	;;#ASMSTART
	v_dot2_f32_f16 v1, v2, v6, v1
	;;#ASMEND
	;;#ASMSTART
	v_dot2_f32_f16 v1, v3, v7, v1
	;;#ASMEND
	;;#ASMSTART
	v_dot2_f32_f16 v1, v4, v8, v1
	;;#ASMEND
	;;#ASMSTART
	v_dot2_f32_f16 v1, v5, v9, v1
	;;#ASMEND
	s_wait_dscnt 0x0
	;;#ASMSTART
	v_dot2_f32_f16 v52, v2, v10, v52
	;;#ASMEND
	;;#ASMSTART
	v_dot2_f32_f16 v52, v3, v11, v52
	;;#ASMEND
	;;#ASMSTART
	v_dot2_f32_f16 v52, v4, v12, v52
	;;#ASMEND
	;;#ASMSTART
	v_dot2_f32_f16 v52, v5, v13, v52
	;;#ASMEND
	ds_load_b128 v[2:5], v117 offset:32
	ds_load_b128 v[6:9], v118 offset:32
	ds_load_b128 v[10:13], v118 offset:544
	;; [unrolled: 29-line block ×31, first 2 shown]
	s_wait_dscnt 0x1
	;;#ASMSTART
	v_dot2_f32_f16 v1, v2, v6, v1
	;;#ASMEND
	;;#ASMSTART
	v_dot2_f32_f16 v1, v3, v7, v1
	;;#ASMEND
	;; [unrolled: 3-line block ×4, first 2 shown]
	s_wait_dscnt 0x0
	;;#ASMSTART
	v_dot2_f32_f16 v52, v2, v10, v52
	;;#ASMEND
	;;#ASMSTART
	v_dot2_f32_f16 v52, v3, v11, v52
	;;#ASMEND
	;; [unrolled: 3-line block ×4, first 2 shown]
	global_load_u16 v34, v0, s[30:31] scale_offset
	v_cmp_ngt_f32_e64 s24, 0x3f200000, |v1|
                                        ; implicit-def: $vgpr0
	s_wait_xcnt 0x0
	s_and_saveexec_b32 s25, s24
	s_delay_alu instid0(SALU_CYCLE_1)
	s_xor_b32 s24, exec_lo, s25
	s_cbranch_execz .LBB63_11
; %bb.10:                               ;   in Loop: Header=BB63_9 Depth=1
	v_add_f32_e64 v0, |v1|, |v1|
	s_delay_alu instid0(VALU_DEP_1) | instskip(SKIP_1) | instid1(VALU_DEP_2)
	v_mul_f32_e32 v2, 0x3fb8aa3b, v0
	v_cmp_ngt_f32_e32 vcc_lo, 0xc2ce8ed0, v0
	v_rndne_f32_e32 v3, v2
	v_fma_f32 v4, 0x3fb8aa3b, v0, -v2
	s_delay_alu instid0(VALU_DEP_2) | instskip(NEXT) | instid1(VALU_DEP_2)
	v_sub_f32_e32 v2, v2, v3
	v_fmac_f32_e32 v4, 0x32a5705f, v0
	v_cvt_i32_f32_e32 v3, v3
	s_delay_alu instid0(VALU_DEP_2) | instskip(NEXT) | instid1(VALU_DEP_1)
	v_add_f32_e32 v2, v2, v4
	v_exp_f32_e32 v2, v2
	v_nop
	s_delay_alu instid0(TRANS32_DEP_1) | instskip(NEXT) | instid1(VALU_DEP_1)
	v_ldexp_f32 v2, v2, v3
	v_cndmask_b32_e32 v2, 0, v2, vcc_lo
	v_cmp_nlt_f32_e32 vcc_lo, 0x42b17218, v0
	s_delay_alu instid0(VALU_DEP_2) | instskip(NEXT) | instid1(VALU_DEP_1)
	v_cndmask_b32_e32 v0, 0x7f800000, v2, vcc_lo
	v_add_f32_e32 v0, 1.0, v0
	s_delay_alu instid0(VALU_DEP_1) | instskip(SKIP_1) | instid1(TRANS32_DEP_1)
	v_rcp_f32_e32 v0, v0
	v_nop
	v_fma_f32 v0, v0, -2.0, 1.0
.LBB63_11:                              ;   in Loop: Header=BB63_9 Depth=1
	s_and_not1_saveexec_b32 s24, s24
	s_cbranch_execz .LBB63_13
; %bb.12:                               ;   in Loop: Header=BB63_9 Depth=1
	v_mul_f32_e32 v0, v1, v1
	s_delay_alu instid0(VALU_DEP_1) | instskip(NEXT) | instid1(VALU_DEP_1)
	v_fmaak_f32 v2, s3, v0, 0x3ca908c9
	v_fmaak_f32 v2, v0, v2, 0xbd5c1c4e
	s_delay_alu instid0(VALU_DEP_1) | instskip(NEXT) | instid1(VALU_DEP_1)
	v_fmaak_f32 v2, v0, v2, 0x3e088382
	v_fmaak_f32 v2, v0, v2, 0xbeaaaa99
	s_delay_alu instid0(VALU_DEP_1) | instskip(NEXT) | instid1(VALU_DEP_1)
	v_mul_f32_e64 v2, |v1|, v2
	v_fma_f32 v0, v0, v2, |v1|
.LBB63_13:                              ;   in Loop: Header=BB63_9 Depth=1
	s_or_b32 exec_lo, exec_lo, s24
	s_delay_alu instid0(VALU_DEP_1)
	v_bfi_b32 v0, 0x7fffffff, v0, v1
	v_dual_max_num_f32 v2, v32, v32 :: v_dual_bitop2_b32 v133, 16, v107 bitop3:0x14
	v_cmp_ngt_f32_e64 s24, 0x3f200000, |v52|
                                        ; implicit-def: $vgpr51
	v_xor_b32_e32 v130, 4, v107
	s_wait_loadcnt 0x0
	v_fma_mix_f32 v35, s35, v0, v34 op_sel_hi:[0,0,1]
	v_cmp_gt_i32_e32 vcc_lo, 32, v133
	v_xor_b32_e32 v132, 1, v107
	s_delay_alu instid0(VALU_DEP_3) | instskip(NEXT) | instid1(VALU_DEP_1)
	v_dual_add_f32 v1, 0x40051340, v35 :: v_dual_cndmask_b32 v0, v107, v133
	v_dual_lshlrev_b32 v44, 2, v0 :: v_dual_max_num_f32 v0, v2, v1
	ds_bpermute_b32 v1, v44, v0
	s_wait_dscnt 0x0
	v_dual_max_num_f32 v1, v1, v1 :: v_dual_bitop2_b32 v129, 8, v107 bitop3:0x14
	s_delay_alu instid0(VALU_DEP_1) | instskip(NEXT) | instid1(VALU_DEP_2)
	v_cmp_gt_i32_e32 vcc_lo, 32, v129
	v_max_num_f32_e32 v0, v0, v1
	v_cndmask_b32_e32 v2, v107, v129, vcc_lo
	v_cmp_gt_i32_e32 vcc_lo, 32, v130
	s_delay_alu instid0(VALU_DEP_2) | instskip(SKIP_3) | instid1(VALU_DEP_1)
	v_lshlrev_b32_e32 v45, 2, v2
	ds_bpermute_b32 v1, v45, v0
	s_wait_dscnt 0x0
	v_dual_cndmask_b32 v2, v107, v130 :: v_dual_max_num_f32 v1, v1, v1
	v_dual_lshlrev_b32 v46, 2, v2 :: v_dual_max_num_f32 v0, v0, v1
	ds_bpermute_b32 v1, v46, v0
	s_wait_dscnt 0x0
	v_dual_max_num_f32 v1, v1, v1 :: v_dual_bitop2_b32 v131, 2, v107 bitop3:0x14
	s_delay_alu instid0(VALU_DEP_1) | instskip(NEXT) | instid1(VALU_DEP_2)
	v_cmp_gt_i32_e32 vcc_lo, 32, v131
	v_dual_max_num_f32 v0, v0, v1 :: v_dual_cndmask_b32 v2, v107, v131, vcc_lo
	v_cmp_gt_i32_e32 vcc_lo, 32, v132
	s_delay_alu instid0(VALU_DEP_2) | instskip(SKIP_3) | instid1(VALU_DEP_1)
	v_lshlrev_b32_e32 v47, 2, v2
	ds_bpermute_b32 v1, v47, v0
	s_wait_dscnt 0x0
	v_dual_cndmask_b32 v2, v107, v132 :: v_dual_max_num_f32 v1, v1, v1
	v_dual_max_num_f32 v48, v0, v1 :: v_dual_lshlrev_b32 v49, 2, v2
	ds_bpermute_b32 v50, v49, v48
	s_and_saveexec_b32 s25, s24
	s_delay_alu instid0(SALU_CYCLE_1)
	s_xor_b32 s24, exec_lo, s25
	s_cbranch_execz .LBB63_15
; %bb.14:                               ;   in Loop: Header=BB63_9 Depth=1
	v_add_f32_e64 v0, |v52|, |v52|
	s_delay_alu instid0(VALU_DEP_1) | instskip(SKIP_1) | instid1(VALU_DEP_2)
	v_mul_f32_e32 v1, 0x3fb8aa3b, v0
	v_cmp_ngt_f32_e32 vcc_lo, 0xc2ce8ed0, v0
	v_rndne_f32_e32 v2, v1
	v_fma_f32 v3, 0x3fb8aa3b, v0, -v1
	s_delay_alu instid0(VALU_DEP_2) | instskip(NEXT) | instid1(VALU_DEP_2)
	v_sub_f32_e32 v1, v1, v2
	v_fmac_f32_e32 v3, 0x32a5705f, v0
	v_cvt_i32_f32_e32 v2, v2
	s_delay_alu instid0(VALU_DEP_2) | instskip(NEXT) | instid1(VALU_DEP_1)
	v_add_f32_e32 v1, v1, v3
	v_exp_f32_e32 v1, v1
	v_nop
	s_delay_alu instid0(TRANS32_DEP_1) | instskip(NEXT) | instid1(VALU_DEP_1)
	v_ldexp_f32 v1, v1, v2
	v_cndmask_b32_e32 v1, 0, v1, vcc_lo
	v_cmp_nlt_f32_e32 vcc_lo, 0x42b17218, v0
	s_delay_alu instid0(VALU_DEP_2) | instskip(NEXT) | instid1(VALU_DEP_1)
	v_cndmask_b32_e32 v0, 0x7f800000, v1, vcc_lo
	v_add_f32_e32 v0, 1.0, v0
	s_delay_alu instid0(VALU_DEP_1) | instskip(SKIP_1) | instid1(TRANS32_DEP_1)
	v_rcp_f32_e32 v0, v0
	v_nop
	v_fma_f32 v51, v0, -2.0, 1.0
.LBB63_15:                              ;   in Loop: Header=BB63_9 Depth=1
	s_and_not1_saveexec_b32 s24, s24
	s_cbranch_execz .LBB63_17
; %bb.16:                               ;   in Loop: Header=BB63_9 Depth=1
	v_mul_f32_e32 v0, v52, v52
	s_delay_alu instid0(VALU_DEP_1) | instskip(NEXT) | instid1(VALU_DEP_1)
	v_fmaak_f32 v1, s3, v0, 0x3ca908c9
	v_fmaak_f32 v1, v0, v1, 0xbd5c1c4e
	s_delay_alu instid0(VALU_DEP_1) | instskip(NEXT) | instid1(VALU_DEP_1)
	v_fmaak_f32 v1, v0, v1, 0x3e088382
	v_fmaak_f32 v1, v0, v1, 0xbeaaaa99
	s_delay_alu instid0(VALU_DEP_1) | instskip(NEXT) | instid1(VALU_DEP_1)
	v_mul_f32_e64 v1, |v52|, v1
	v_fma_f32 v51, v0, v1, |v52|
.LBB63_17:                              ;   in Loop: Header=BB63_9 Depth=1
	s_or_b32 exec_lo, exec_lo, s24
	s_mul_u64 s[24:25], s[4:5], s[10:11]
	s_wait_dscnt 0x0
	s_lshl_b64 s[24:25], s[24:25], 2
	s_barrier_signal -1
	s_add_nc_u64 s[24:25], s[8:9], s[24:25]
	s_barrier_wait -1
	v_lshl_add_u64 v[2:3], v[84:85], 2, s[24:25]
	v_lshl_add_u64 v[4:5], v[88:89], 2, s[24:25]
	v_lshl_add_u64 v[0:1], v[76:77], 2, s[24:25]
	v_lshl_add_u64 v[10:11], v[96:97], 2, s[24:25]
	v_lshl_add_u64 v[12:13], v[98:99], 2, s[24:25]
	v_add_nc_u64_e32 v[6:7], v[2:3], v[72:73]
	v_lshl_add_u64 v[2:3], v[92:93], 2, s[24:25]
	v_add_nc_u64_e32 v[8:9], v[4:5], v[72:73]
	v_lshl_add_u64 v[4:5], v[94:95], 2, s[24:25]
	;; [unrolled: 2-line block ×3, first 2 shown]
	v_add_nc_u64_e32 v[16:17], v[2:3], v[72:73]
	v_add_nc_u64_e32 v[20:21], v[10:11], v[72:73]
	;; [unrolled: 1-line block ×5, first 2 shown]
	s_clause 0x7
	global_load_b128 v[0:3], v[0:1], off
	global_load_b128 v[4:7], v[6:7], off
	;; [unrolled: 1-line block ×8, first 2 shown]
	v_cvt_f32_f16_e32 v34, v34
	v_bfi_b32 v51, 0x7fffffff, v51, v52
	v_add_nc_u32_e32 v138, 0x1800, v106
	v_add_nc_u32_e32 v137, 0x2000, v106
	;; [unrolled: 1-line block ×3, first 2 shown]
	s_delay_alu instid0(VALU_DEP_4) | instskip(SKIP_1) | instid1(VALU_DEP_2)
	v_dual_fmac_f32 v34, s35, v51 :: v_dual_add_nc_u32 v135, 0x3000, v106
	v_dual_max_num_f32 v51, v33, v33 :: v_dual_add_nc_u32 v134, 0x3800, v106
	v_add_f32_e32 v52, 0x40051340, v34
	s_delay_alu instid0(VALU_DEP_1) | instskip(SKIP_3) | instid1(VALU_DEP_1)
	v_max_num_f32_e32 v51, v51, v52
	ds_bpermute_b32 v44, v44, v51
	s_wait_dscnt 0x0
	v_max_num_f32_e32 v44, v44, v44
	v_max_num_f32_e32 v44, v51, v44
	ds_bpermute_b32 v45, v45, v44
	s_wait_dscnt 0x0
	v_max_num_f32_e32 v45, v45, v45
	s_delay_alu instid0(VALU_DEP_1) | instskip(SKIP_3) | instid1(VALU_DEP_1)
	v_max_num_f32_e32 v44, v44, v45
	ds_bpermute_b32 v45, v46, v44
	s_wait_dscnt 0x0
	v_dual_max_num_f32 v46, v50, v50 :: v_dual_max_num_f32 v45, v45, v45
	v_max_num_f32_e32 v44, v44, v45
	ds_bpermute_b32 v45, v47, v44
	v_max_num_f32_e32 v47, v48, v48
	s_delay_alu instid0(VALU_DEP_1) | instskip(NEXT) | instid1(VALU_DEP_1)
	v_max_num_f32_e32 v102, v47, v46
	v_dual_sub_f32 v35, v35, v102 :: v_dual_sub_f32 v32, v32, v102
	s_delay_alu instid0(VALU_DEP_1) | instskip(NEXT) | instid1(VALU_DEP_2)
	v_mul_f32_e32 v47, 0x3fb8aa3b, v35
	v_cmp_ngt_f32_e32 vcc_lo, 0xc2ce8ed0, v32
	s_wait_dscnt 0x0
	v_max_num_f32_e32 v45, v45, v45
	s_delay_alu instid0(VALU_DEP_3) | instskip(NEXT) | instid1(VALU_DEP_2)
	v_fma_f32 v50, 0x3fb8aa3b, v35, -v47
	v_max_num_f32_e32 v44, v44, v45
	ds_bpermute_b32 v45, v49, v44
	s_wait_dscnt 0x0
	v_dual_mul_f32 v46, 0x3fb8aa3b, v32 :: v_dual_max_num_f32 v45, v45, v45
	s_delay_alu instid0(VALU_DEP_1) | instskip(SKIP_1) | instid1(VALU_DEP_2)
	v_fma_f32 v48, 0x3fb8aa3b, v32, -v46
	v_rndne_f32_e32 v49, v46
	v_dual_max_num_f32 v103, v44, v45 :: v_dual_fmac_f32 v48, 0x32a5705f, v32
	v_rndne_f32_e32 v44, v47
	s_delay_alu instid0(VALU_DEP_3) | instskip(SKIP_1) | instid1(VALU_DEP_4)
	v_sub_f32_e32 v45, v46, v49
	v_cvt_i32_f32_e32 v46, v49
	v_sub_f32_e32 v33, v33, v103
	v_fmac_f32_e32 v50, 0x32a5705f, v35
	v_dual_sub_f32 v49, v34, v103 :: v_dual_sub_f32 v34, v47, v44
	v_add_f32_e32 v45, v45, v48
	s_delay_alu instid0(VALU_DEP_4) | instskip(SKIP_1) | instid1(VALU_DEP_4)
	v_mul_f32_e32 v47, 0x3fb8aa3b, v33
	v_cvt_i32_f32_e32 v44, v44
	v_add_f32_e32 v34, v34, v50
	s_delay_alu instid0(VALU_DEP_4) | instskip(NEXT) | instid1(VALU_DEP_3)
	v_exp_f32_e32 v45, v45
	v_fma_f32 v50, 0x3fb8aa3b, v33, -v47
	v_rndne_f32_e32 v51, v47
	s_delay_alu instid0(VALU_DEP_3) | instskip(NEXT) | instid1(VALU_DEP_2)
	v_exp_f32_e32 v34, v34
	v_fmac_f32_e32 v50, 0x32a5705f, v33
	s_delay_alu instid0(TRANS32_DEP_2) | instskip(NEXT) | instid1(TRANS32_DEP_1)
	v_ldexp_f32 v45, v45, v46
	v_ldexp_f32 v34, v34, v44
	s_delay_alu instid0(VALU_DEP_2) | instskip(SKIP_1) | instid1(VALU_DEP_3)
	v_cndmask_b32_e32 v45, 0, v45, vcc_lo
	v_cmp_ngt_f32_e32 vcc_lo, 0xc2ce8ed0, v35
	v_cndmask_b32_e32 v34, 0, v34, vcc_lo
	v_cmp_nlt_f32_e32 vcc_lo, 0x42b17218, v32
	s_delay_alu instid0(VALU_DEP_4) | instskip(SKIP_1) | instid1(VALU_DEP_4)
	v_cndmask_b32_e32 v32, 0x7f800000, v45, vcc_lo
	v_cmp_nlt_f32_e32 vcc_lo, 0x42b17218, v35
	v_cndmask_b32_e32 v34, 0x7f800000, v34, vcc_lo
	v_cmp_ngt_f32_e32 vcc_lo, 0xc2ce8ed0, v33
	v_mul_f32_e32 v48, 0x3fb8aa3b, v49
	s_delay_alu instid0(VALU_DEP_1) | instskip(SKIP_2) | instid1(VALU_DEP_3)
	v_fma_f32 v52, 0x3fb8aa3b, v49, -v48
	v_rndne_f32_e32 v53, v48
	v_sub_f32_e32 v54, v47, v51
	v_fmac_f32_e32 v52, 0x32a5705f, v49
	s_delay_alu instid0(VALU_DEP_3) | instskip(NEXT) | instid1(VALU_DEP_3)
	v_sub_f32_e32 v48, v48, v53
	v_dual_add_f32 v44, v54, v50 :: v_dual_add_nc_u32 v47, v121, v105
	v_cvt_i32_f32_e32 v50, v53
	s_delay_alu instid0(VALU_DEP_3) | instskip(SKIP_1) | instid1(VALU_DEP_4)
	v_add_f32_e32 v46, v48, v52
	v_cvt_i32_f32_e32 v48, v51
	v_exp_f32_e32 v44, v44
	s_delay_alu instid0(VALU_DEP_2) | instskip(NEXT) | instid1(TRANS32_DEP_2)
	v_exp_f32_e32 v46, v46
	v_ldexp_f32 v44, v44, v48
	s_delay_alu instid0(TRANS32_DEP_1) | instskip(SKIP_1) | instid1(VALU_DEP_3)
	v_ldexp_f32 v45, v46, v50
	v_cvt_f16_f32_e32 v46, v32
	v_cndmask_b32_e32 v35, 0, v44, vcc_lo
	v_cmp_ngt_f32_e32 vcc_lo, 0xc2ce8ed0, v49
	s_delay_alu instid0(VALU_DEP_3) | instskip(SKIP_3) | instid1(VALU_DEP_4)
	v_and_b32_e32 v46, 0xffff, v46
	v_cndmask_b32_e32 v44, 0, v45, vcc_lo
	v_cmp_nlt_f32_e32 vcc_lo, 0x42b17218, v33
	v_add_nc_u32_e32 v45, 0x800, v106
	v_mul_u32_u24_e32 v46, 0x10001, v46
	v_cndmask_b32_e32 v33, 0x7f800000, v35, vcc_lo
	v_cmp_nlt_f32_e32 vcc_lo, 0x42b17218, v49
	s_delay_alu instid0(VALU_DEP_3) | instskip(SKIP_4) | instid1(VALU_DEP_2)
	v_pk_mul_f16 v43, v43, v46
	v_pk_mul_f16 v42, v42, v46
	;; [unrolled: 1-line block ×3, first 2 shown]
	v_cndmask_b32_e32 v35, 0x7f800000, v44, vcc_lo
	v_add_nc_u32_e32 v44, 0x1000, v106
	v_cvt_pk_f16_f32 v49, v34, v35
	v_pk_fma_f32 v[82:83], v[82:83], v[32:33], v[34:35]
	ds_store_b32 v47, v49
	s_wait_loadcnt 0x7
	ds_store_b128 v119, v[0:3]
	s_wait_loadcnt 0x6
	ds_store_b128 v122, v[4:7]
	;; [unrolled: 2-line block ×8, first 2 shown]
	s_wait_dscnt 0x0
	s_barrier_signal -1
	s_barrier_wait -1
	ds_load_b128 v[0:3], v121
	ds_load_2addr_b64 v[28:31], v106 offset1:32
	s_wait_dscnt 0x1
	v_and_b32_e32 v35, 0xffff, v0
	v_lshrrev_b32_e32 v0, 16, v0
	v_cvt_f16_f32_e32 v48, v33
	v_lshrrev_b32_e32 v139, 16, v3
	v_and_b32_e32 v3, 0xffff, v3
	v_mul_u32_u24_e32 v35, 0x10001, v35
	v_mul_u32_u24_e32 v0, 0x10001, v0
	v_and_b32_e32 v48, 0xffff, v48
	v_mul_u32_u24_e32 v139, 0x10001, v139
	v_mul_u32_u24_e32 v3, 0x10001, v3
	s_delay_alu instid0(VALU_DEP_3)
	v_mul_u32_u24_e32 v47, 0x10001, v48
	ds_load_b128 v[60:63], v121 offset:16
	ds_load_b128 v[24:27], v121 offset:32
	;; [unrolled: 1-line block ×3, first 2 shown]
	ds_load_2addr_b64 v[48:51], v106 offset0:64 offset1:96
	ds_load_2addr_b64 v[140:143], v106 offset0:128 offset1:160
	ds_load_2addr_b64 v[144:147], v106 offset0:192 offset1:224
	ds_load_2addr_b64 v[20:23], v45 offset1:32
	ds_load_2addr_b64 v[12:15], v45 offset0:64 offset1:96
	ds_load_2addr_b64 v[4:7], v45 offset0:128 offset1:160
	;; [unrolled: 1-line block ×3, first 2 shown]
	s_wait_dscnt 0xa
	v_pk_fma_f16 v45, v31, v35, v41
	ds_load_2addr_b64 v[56:59], v44 offset1:32
	ds_load_2addr_b64 v[52:55], v44 offset0:64 offset1:96
	v_pk_mul_f16 v32, v39, v47
	v_pk_mul_f16 v33, v37, v47
	;; [unrolled: 1-line block ×3, first 2 shown]
	v_lshrrev_b32_e32 v37, 16, v1
	v_pk_fma_f16 v38, v29, v35, v43
	v_pk_fma_f16 v39, v30, v35, v42
	v_pk_mul_f16 v35, v28, v35
	v_and_b32_e32 v1, 0xffff, v1
	v_pk_fma_f16 v29, v29, v0, v32
	v_pk_fma_f16 v30, v30, v0, v33
	;; [unrolled: 1-line block ×3, first 2 shown]
	v_pk_mul_f16 v0, v28, v0
	v_lshrrev_b32_e32 v28, 16, v2
	v_and_b32_e32 v2, 0xffff, v2
	v_mul_u32_u24_e32 v1, 0x10001, v1
	v_mul_u32_u24_e32 v37, 0x10001, v37
	v_pk_fma_f16 v46, v40, v46, v35
	v_pk_fma_f16 v0, v36, v47, v0
	v_mul_u32_u24_e32 v2, 0x10001, v2
	s_wait_dscnt 0x8
	v_pk_fma_f16 v36, v49, v1, v38
	v_pk_fma_f16 v29, v49, v37, v29
	;; [unrolled: 1-line block ×5, first 2 shown]
	v_mul_u32_u24_e32 v28, 0x10001, v28
	v_pk_fma_f16 v30, v50, v37, v30
	v_pk_fma_f16 v31, v51, v37, v31
	;; [unrolled: 1-line block ×3, first 2 shown]
	v_and_b32_e32 v37, 0xffff, v60
	s_wait_dscnt 0x7
	v_pk_fma_f16 v36, v141, v2, v36
	v_pk_fma_f16 v29, v141, v28, v29
	;; [unrolled: 1-line block ×8, first 2 shown]
	v_lshrrev_b32_e32 v2, 16, v60
	v_mul_u32_u24_e32 v60, 0x10001, v37
	s_wait_dscnt 0x6
	v_pk_fma_f16 v140, v145, v3, v36
	v_pk_fma_f16 v141, v145, v139, v29
	;; [unrolled: 1-line block ×5, first 2 shown]
	v_and_b32_e32 v3, 0xffff, v61
	ds_load_2addr_b64 v[32:35], v44 offset0:128 offset1:160
	ds_load_2addr_b64 v[40:43], v44 offset0:192 offset1:224
	ds_load_2addr_b64 v[48:51], v138 offset1:32
	ds_load_2addr_b64 v[44:47], v138 offset0:64 offset1:96
	v_pk_fma_f16 v143, v146, v139, v30
	v_pk_fma_f16 v146, v147, v139, v31
	;; [unrolled: 1-line block ×3, first 2 shown]
	ds_load_2addr_b64 v[36:39], v138 offset0:128 offset1:160
	ds_load_2addr_b64 v[28:31], v138 offset0:192 offset1:224
	s_wait_dscnt 0xb
	v_pk_fma_f16 v138, v21, v60, v140
	v_pk_fma_f16 v139, v22, v60, v142
	;; [unrolled: 1-line block ×4, first 2 shown]
	v_lshrrev_b32_e32 v60, 16, v61
	v_mul_u32_u24_e32 v2, 0x10001, v2
	v_mul_u32_u24_e32 v3, 0x10001, v3
	s_delay_alu instid0(VALU_DEP_3) | instskip(NEXT) | instid1(VALU_DEP_3)
	v_mul_u32_u24_e32 v60, 0x10001, v60
	v_pk_fma_f16 v61, v21, v2, v141
	v_pk_fma_f16 v141, v22, v2, v143
	;; [unrolled: 1-line block ×4, first 2 shown]
	v_and_b32_e32 v2, 0xffff, v62
	s_wait_dscnt 0xa
	v_pk_fma_f16 v138, v13, v3, v138
	v_pk_fma_f16 v139, v14, v3, v139
	;; [unrolled: 1-line block ×4, first 2 shown]
	v_lshrrev_b32_e32 v3, 16, v62
	v_mul_u32_u24_e32 v2, 0x10001, v2
	v_pk_fma_f16 v61, v13, v60, v61
	v_pk_fma_f16 v62, v14, v60, v141
	v_pk_fma_f16 v141, v15, v60, v142
	v_pk_fma_f16 v60, v12, v60, v0
	v_lshrrev_b32_e32 v142, 16, v63
	v_and_b32_e32 v63, 0xffff, v63
	v_mul_u32_u24_e32 v143, 0x10001, v3
	s_wait_dscnt 0x9
	v_pk_fma_f16 v138, v5, v2, v138
	v_pk_fma_f16 v139, v6, v2, v139
	;; [unrolled: 1-line block ×8, first 2 shown]
	v_and_b32_e32 v143, 0xffff, v24
	v_mul_u32_u24_e32 v63, 0x10001, v63
	v_lshrrev_b32_e32 v24, 16, v24
	v_mul_u32_u24_e32 v142, 0x10001, v142
	ds_load_2addr_b64 v[20:23], v137 offset1:32
	ds_load_2addr_b64 v[12:15], v137 offset0:64 offset1:96
	ds_load_2addr_b64 v[0:3], v137 offset0:128 offset1:160
	ds_load_2addr_b64 v[4:7], v137 offset0:192 offset1:224
	v_mul_u32_u24_e32 v137, 0x10001, v143
	s_wait_dscnt 0xc
	v_pk_fma_f16 v138, v9, v63, v138
	v_pk_fma_f16 v61, v9, v142, v61
	;; [unrolled: 1-line block ×8, first 2 shown]
	v_lshrrev_b32_e32 v142, 16, v25
	v_and_b32_e32 v25, 0xffff, v25
	v_mul_u32_u24_e32 v24, 0x10001, v24
	s_wait_dscnt 0xb
	v_pk_fma_f16 v138, v57, v137, v138
	v_pk_fma_f16 v139, v58, v137, v139
	;; [unrolled: 1-line block ×4, first 2 shown]
	v_and_b32_e32 v137, 0xffff, v26
	v_mul_u32_u24_e32 v25, 0x10001, v25
	v_pk_fma_f16 v57, v57, v24, v61
	v_pk_fma_f16 v58, v58, v24, v62
	;; [unrolled: 1-line block ×4, first 2 shown]
	s_wait_dscnt 0xa
	v_pk_fma_f16 v60, v53, v25, v138
	v_pk_fma_f16 v62, v54, v25, v139
	;; [unrolled: 1-line block ×4, first 2 shown]
	v_mul_u32_u24_e32 v137, 0x10001, v137
	v_lshrrev_b32_e32 v143, 16, v27
	v_and_b32_e32 v144, 0xffff, v27
	ds_load_2addr_b64 v[8:11], v136 offset1:32
	s_wait_dscnt 0xa
	v_pk_fma_f16 v60, v33, v137, v60
	v_pk_fma_f16 v62, v34, v137, v62
	;; [unrolled: 1-line block ×4, first 2 shown]
	v_and_b32_e32 v137, 0xffff, v16
	v_lshrrev_b32_e32 v16, 16, v16
	v_mul_u32_u24_e32 v142, 0x10001, v142
	v_mul_u32_u24_e32 v143, 0x10001, v143
	s_delay_alu instid0(VALU_DEP_4) | instskip(NEXT) | instid1(VALU_DEP_4)
	v_mul_u32_u24_e32 v137, 0x10001, v137
	v_mul_u32_u24_e32 v16, 0x10001, v16
	s_delay_alu instid0(VALU_DEP_4)
	v_pk_fma_f16 v61, v53, v142, v57
	v_pk_fma_f16 v138, v54, v142, v58
	;; [unrolled: 1-line block ×4, first 2 shown]
	v_lshrrev_b32_e32 v142, 16, v26
	ds_load_b128 v[56:59], v121 offset:64
	ds_load_b128 v[52:55], v121 offset:80
	ds_load_2addr_b64 v[24:27], v136 offset0:64 offset1:96
	v_mul_u32_u24_e32 v142, 0x10001, v142
	s_delay_alu instid0(VALU_DEP_1)
	v_pk_fma_f16 v61, v33, v142, v61
	v_pk_fma_f16 v138, v34, v142, v138
	;; [unrolled: 1-line block ×4, first 2 shown]
	v_mul_u32_u24_e32 v142, 0x10001, v144
	s_wait_dscnt 0xc
	v_pk_fma_f16 v61, v41, v143, v61
	v_pk_fma_f16 v138, v42, v143, v138
	;; [unrolled: 1-line block ×8, first 2 shown]
	ds_load_2addr_b64 v[32:35], v136 offset0:128 offset1:160
	ds_load_2addr_b64 v[40:43], v136 offset0:192 offset1:224
	v_and_b32_e32 v136, 0xffff, v17
	s_wait_dscnt 0xd
	v_pk_fma_f16 v60, v49, v137, v60
	v_pk_fma_f16 v61, v49, v16, v61
	;; [unrolled: 1-line block ×8, first 2 shown]
	v_dual_lshrrev_b32 v16, 16, v17 :: v_dual_lshrrev_b32 v141, 16, v18
	v_lshrrev_b32_e32 v142, 16, v19
	v_mul_u32_u24_e32 v17, 0x10001, v136
	v_and_b32_e32 v136, 0xffff, v18
	s_delay_alu instid0(VALU_DEP_4)
	v_mul_u32_u24_e32 v144, 0x10001, v16
	v_and_b32_e32 v143, 0xffff, v19
	v_mul_u32_u24_e32 v141, 0x10001, v141
	s_wait_dscnt 0xc
	v_pk_fma_f16 v60, v45, v17, v60
	v_pk_fma_f16 v62, v46, v17, v62
	;; [unrolled: 1-line block ×4, first 2 shown]
	v_mul_u32_u24_e32 v136, 0x10001, v136
	v_pk_fma_f16 v61, v45, v144, v61
	v_pk_fma_f16 v138, v46, v144, v138
	;; [unrolled: 1-line block ×4, first 2 shown]
	s_wait_dscnt 0x4
	v_lshrrev_b32_e32 v144, 16, v56
	v_pk_fma_f16 v60, v37, v136, v60
	v_pk_fma_f16 v62, v38, v136, v62
	;; [unrolled: 1-line block ×4, first 2 shown]
	v_and_b32_e32 v56, 0xffff, v56
	v_pk_fma_f16 v61, v37, v141, v61
	v_pk_fma_f16 v136, v38, v141, v138
	;; [unrolled: 1-line block ×4, first 2 shown]
	v_mul_u32_u24_e32 v36, 0x10001, v143
	v_mul_u32_u24_e32 v142, 0x10001, v142
	v_lshrrev_b32_e32 v140, 16, v57
	v_and_b32_e32 v57, 0xffff, v57
	v_mul_u32_u24_e32 v56, 0x10001, v56
	v_pk_fma_f16 v60, v29, v36, v60
	v_pk_fma_f16 v62, v30, v36, v62
	;; [unrolled: 1-line block ×8, first 2 shown]
	v_mul_u32_u24_e32 v142, 0x10001, v144
	v_dual_lshrrev_b32 v141, 16, v58 :: v_dual_lshrrev_b32 v143, 16, v59
	v_and_b32_e32 v58, 0xffff, v58
	v_pk_fma_f16 v60, v21, v56, v60
	v_pk_fma_f16 v62, v22, v56, v62
	v_pk_fma_f16 v139, v23, v56, v139
	v_pk_fma_f16 v56, v20, v56, v63
	v_pk_fma_f16 v61, v21, v142, v61
	v_pk_fma_f16 v136, v22, v142, v136
	v_pk_fma_f16 v138, v23, v142, v138
	v_pk_fma_f16 v137, v20, v142, v137
	v_mul_u32_u24_e32 v57, 0x10001, v57
	v_mul_u32_u24_e32 v140, 0x10001, v140
	v_and_b32_e32 v59, 0xffff, v59
	v_mul_u32_u24_e32 v58, 0x10001, v58
	ds_load_2addr_b64 v[48:51], v135 offset1:32
	v_pk_fma_f16 v60, v13, v57, v60
	v_pk_fma_f16 v62, v14, v57, v62
	;; [unrolled: 1-line block ×8, first 2 shown]
	v_mul_u32_u24_e32 v138, 0x10001, v141
	ds_load_b128 v[16:19], v121 offset:96
	ds_load_b128 v[20:23], v121 offset:112
	ds_load_2addr_b64 v[44:47], v135 offset0:64 offset1:96
	ds_load_2addr_b64 v[36:39], v135 offset0:128 offset1:160
	;; [unrolled: 1-line block ×3, first 2 shown]
	s_wait_dscnt 0x9
	v_dual_lshrrev_b32 v135, 16, v52 :: v_dual_lshrrev_b32 v63, 16, v53
	v_and_b32_e32 v52, 0xffff, v52
	v_pk_fma_f16 v60, v1, v58, v60
	v_pk_fma_f16 v62, v2, v58, v62
	;; [unrolled: 1-line block ×4, first 2 shown]
	v_mul_u32_u24_e32 v59, 0x10001, v59
	v_mul_u32_u24_e32 v139, 0x10001, v143
	v_pk_fma_f16 v1, v1, v138, v13
	v_pk_fma_f16 v2, v2, v138, v14
	;; [unrolled: 1-line block ×4, first 2 shown]
	v_and_b32_e32 v53, 0xffff, v53
	v_mul_u32_u24_e32 v52, 0x10001, v52
	v_mul_u32_u24_e32 v135, 0x10001, v135
	v_pk_fma_f16 v12, v5, v59, v60
	v_pk_fma_f16 v1, v5, v139, v1
	;; [unrolled: 1-line block ×8, first 2 shown]
	v_dual_lshrrev_b32 v142, 16, v54 :: v_dual_lshrrev_b32 v144, 16, v55
	v_and_b32_e32 v54, 0xffff, v54
	v_mul_u32_u24_e32 v53, 0x10001, v53
	v_mul_u32_u24_e32 v63, 0x10001, v63
	v_pk_fma_f16 v1, v9, v135, v1
	v_pk_fma_f16 v2, v10, v135, v2
	;; [unrolled: 1-line block ×4, first 2 shown]
	v_and_b32_e32 v55, 0xffff, v55
	v_mul_u32_u24_e32 v54, 0x10001, v54
	v_mul_u32_u24_e32 v140, 0x10001, v142
	v_pk_fma_f16 v3, v11, v135, v3
	s_wait_dscnt 0x8
	v_pk_fma_f16 v1, v25, v63, v1
	v_pk_fma_f16 v2, v26, v63, v2
	;; [unrolled: 1-line block ×5, first 2 shown]
	s_wait_dscnt 0x4
	v_dual_lshrrev_b32 v57, 16, v16 :: v_dual_lshrrev_b32 v61, 16, v17
	v_and_b32_e32 v16, 0xffff, v16
	v_mul_u32_u24_e32 v55, 0x10001, v55
	v_mul_u32_u24_e32 v141, 0x10001, v144
	v_pk_fma_f16 v5, v10, v52, v5
	v_pk_fma_f16 v6, v11, v52, v6
	;; [unrolled: 1-line block ×8, first 2 shown]
	v_and_b32_e32 v17, 0xffff, v17
	v_mul_u32_u24_e32 v16, 0x10001, v16
	v_mul_u32_u24_e32 v57, 0x10001, v57
	v_pk_fma_f16 v5, v26, v53, v5
	v_pk_fma_f16 v6, v27, v53, v6
	;; [unrolled: 1-line block ×8, first 2 shown]
	v_dual_lshrrev_b32 v136, 16, v18 :: v_dual_lshrrev_b32 v11, 16, v19
	v_and_b32_e32 v18, 0xffff, v18
	v_mul_u32_u24_e32 v17, 0x10001, v17
	v_mul_u32_u24_e32 v61, 0x10001, v61
	v_pk_fma_f16 v5, v34, v54, v5
	v_pk_fma_f16 v6, v35, v54, v6
	;; [unrolled: 1-line block ×8, first 2 shown]
	v_mul_u32_u24_e32 v18, 0x10001, v18
	v_mul_u32_u24_e32 v136, 0x10001, v136
	v_pk_fma_f16 v5, v42, v55, v5
	v_pk_fma_f16 v6, v43, v55, v6
	;; [unrolled: 1-line block ×3, first 2 shown]
	s_wait_dscnt 0x2
	v_pk_fma_f16 v1, v45, v61, v1
	v_pk_fma_f16 v8, v46, v61, v2
	;; [unrolled: 1-line block ×8, first 2 shown]
	s_wait_dscnt 0x1
	v_pk_fma_f16 v9, v36, v18, v2
	v_pk_fma_f16 v10, v36, v136, v0
	v_pk_fma_f16 v12, v37, v136, v1
	ds_load_2addr_b64 v[0:3], v134 offset1:32
	v_and_b32_e32 v58, 0xffff, v19
	v_pk_fma_f16 v4, v45, v17, v4
	v_pk_fma_f16 v5, v46, v17, v5
	;; [unrolled: 1-line block ×3, first 2 shown]
	v_mul_u32_u24_e32 v11, 0x10001, v11
	v_mul_u32_u24_e32 v14, 0x10001, v58
	v_pk_fma_f16 v4, v37, v18, v4
	v_pk_fma_f16 v13, v38, v18, v5
	;; [unrolled: 1-line block ×3, first 2 shown]
	v_and_b32_e32 v18, 0xffff, v20
	v_lshrrev_b32_e32 v19, 16, v20
	v_pk_fma_f16 v16, v39, v136, v7
	s_wait_dscnt 0x1
	v_pk_fma_f16 v17, v29, v14, v4
	ds_load_2addr_b64 v[4:7], v134 offset0:64 offset1:96
	v_pk_fma_f16 v8, v38, v136, v8
	v_pk_fma_f16 v9, v28, v14, v9
	;; [unrolled: 1-line block ×3, first 2 shown]
	v_mul_u32_u24_e32 v18, 0x10001, v18
	v_mul_u32_u24_e32 v19, 0x10001, v19
	v_pk_fma_f16 v12, v29, v11, v12
	v_pk_fma_f16 v13, v30, v14, v13
	;; [unrolled: 1-line block ×5, first 2 shown]
	s_wait_dscnt 0x1
	v_pk_fma_f16 v16, v0, v18, v9
	v_pk_fma_f16 v0, v0, v19, v10
	v_and_b32_e32 v9, 0xffff, v21
	v_lshrrev_b32_e32 v10, 16, v21
	v_pk_fma_f16 v17, v1, v18, v17
	v_pk_fma_f16 v1, v1, v19, v12
	;; [unrolled: 1-line block ×4, first 2 shown]
	v_mul_u32_u24_e32 v13, 0x10001, v9
	v_mul_u32_u24_e32 v20, 0x10001, v10
	ds_load_2addr_b64 v[8:11], v134 offset0:128 offset1:160
	v_pk_fma_f16 v14, v3, v18, v14
	v_pk_fma_f16 v3, v3, v19, v15
	s_wait_dscnt 0x1
	v_pk_fma_f16 v15, v4, v13, v16
	v_pk_fma_f16 v4, v4, v20, v0
	v_pk_fma_f16 v16, v5, v13, v17
	v_pk_fma_f16 v5, v5, v20, v1
	v_pk_fma_f16 v12, v6, v13, v12
	v_pk_fma_f16 v6, v6, v20, v2
	v_pk_fma_f16 v13, v7, v13, v14
	v_pk_fma_f16 v7, v7, v20, v3
	ds_load_2addr_b64 v[0:3], v134 offset0:192 offset1:224
	s_wait_dscnt 0x0
	s_barrier_signal -1
	s_barrier_wait -1
	s_load_b32 s5, s[20:21], 0x4
	v_and_b32_e32 v17, 0xffff, v22
	v_lshrrev_b32_e32 v18, 16, v22
	s_delay_alu instid0(VALU_DEP_2) | instskip(NEXT) | instid1(VALU_DEP_2)
	v_mul_u32_u24_e32 v14, 0x10001, v17
	v_mul_u32_u24_e32 v17, 0x10001, v18
	v_lshrrev_b32_e32 v18, 16, v23
	s_delay_alu instid0(VALU_DEP_3) | instskip(NEXT) | instid1(VALU_DEP_3)
	v_pk_fma_f16 v15, v8, v14, v15
	v_pk_fma_f16 v4, v8, v17, v4
	v_and_b32_e32 v8, 0xffff, v23
	v_pk_fma_f16 v16, v9, v14, v16
	v_pk_fma_f16 v5, v9, v17, v5
	;; [unrolled: 1-line block ×3, first 2 shown]
	v_mul_u32_u24_e32 v12, 0x10001, v18
	v_mul_u32_u24_e32 v8, 0x10001, v8
	v_pk_fma_f16 v6, v10, v17, v6
	v_pk_fma_f16 v10, v11, v14, v13
	;; [unrolled: 1-line block ×3, first 2 shown]
	s_wait_kmcnt 0x0
	s_lshl_b32 s5, s5, 5
	v_pk_fma_f16 v40, v0, v8, v15
	v_pk_fma_f16 v36, v0, v12, v4
	;; [unrolled: 1-line block ×8, first 2 shown]
	s_add_co_i32 s4, s5, s4
	s_delay_alu instid0(SALU_CYCLE_1)
	s_cmp_ge_i32 s4, s28
	s_cbranch_scc1 .LBB63_19
; %bb.18:                               ;   in Loop: Header=BB63_9 Depth=1
	v_dual_mov_b32 v32, v102 :: v_dual_mov_b32 v33, v103
	s_branch .LBB63_9
.LBB63_19:
	v_mov_b32_e32 v3, v107
.LBB63_20:
	v_cmp_lt_i32_e32 vcc_lo, v133, v108
	s_cmp_lg_u64 s[12:13], 0
	s_cselect_b32 s3, -1, 0
	s_cmp_eq_u32 s29, 0
	v_cndmask_b32_e32 v0, v3, v133, vcc_lo
	v_cmp_lt_i32_e32 vcc_lo, v129, v108
	s_cselect_b32 s4, -1, 0
	s_delay_alu instid0(SALU_CYCLE_1) | instskip(SKIP_2) | instid1(VALU_DEP_2)
	s_and_b32 s3, s4, s3
	v_cndmask_b32_e32 v2, v3, v129, vcc_lo
	v_cmp_lt_i32_e32 vcc_lo, v130, v108
	v_dual_lshlrev_b32 v2, 2, v2 :: v_dual_lshlrev_b32 v1, 2, v0
	ds_bpermute_b32 v0, v1, v82
	ds_bpermute_b32 v1, v1, v83
	s_wait_dscnt 0x0
	v_pk_add_f32 v[0:1], v[82:83], v[0:1]
	ds_bpermute_b32 v4, v2, v0
	ds_bpermute_b32 v5, v2, v1
	v_cndmask_b32_e32 v2, v3, v130, vcc_lo
	v_cmp_lt_i32_e32 vcc_lo, v131, v108
	s_delay_alu instid0(VALU_DEP_2)
	v_lshlrev_b32_e32 v2, 2, v2
	s_wait_dscnt 0x0
	v_pk_add_f32 v[0:1], v[0:1], v[4:5]
	ds_bpermute_b32 v4, v2, v0
	ds_bpermute_b32 v5, v2, v1
	v_cndmask_b32_e32 v2, v3, v131, vcc_lo
	v_cmp_lt_i32_e32 vcc_lo, v132, v108
	s_delay_alu instid0(VALU_DEP_2)
	v_lshlrev_b32_e32 v2, 2, v2
	s_wait_dscnt 0x0
	v_pk_add_f32 v[0:1], v[0:1], v[4:5]
	ds_bpermute_b32 v4, v2, v0
	ds_bpermute_b32 v5, v2, v1
	v_cndmask_b32_e32 v2, v3, v132, vcc_lo
	s_and_b32 vcc_lo, exec_lo, s3
	s_delay_alu instid0(VALU_DEP_1)
	v_lshlrev_b32_e32 v3, 2, v2
	s_wait_dscnt 0x0
	v_pk_add_f32 v[0:1], v[0:1], v[4:5]
	ds_bpermute_b32 v2, v3, v0
	ds_bpermute_b32 v3, v3, v1
	s_wait_dscnt 0x0
	v_pk_add_f32 v[0:1], v[0:1], v[2:3]
	v_add_nc_u32_e32 v2, s33, v64
	s_cbranch_vccz .LBB63_22
; %bb.21:
	s_delay_alu instid0(VALU_DEP_1) | instskip(NEXT) | instid1(VALU_DEP_1)
	v_dual_ashrrev_i32 v3, 31, v2 :: v_dual_max_num_f32 v7, v103, v103
	v_lshl_add_u64 v[4:5], v[2:3], 2, s[12:13]
	v_max_num_f32_e32 v3, v102, v102
	global_load_b64 v[4:5], v[4:5], off
	s_wait_loadcnt 0x0
	v_dual_max_num_f32 v6, v4, v4 :: v_dual_max_num_f32 v8, v5, v5
	s_delay_alu instid0(VALU_DEP_1) | instskip(NEXT) | instid1(VALU_DEP_1)
	v_max_num_f32_e32 v6, v3, v6
	v_dual_max_num_f32 v7, v7, v8 :: v_dual_sub_f32 v3, v102, v6
	s_delay_alu instid0(VALU_DEP_1) | instskip(SKIP_2) | instid1(VALU_DEP_3)
	v_dual_sub_f32 v8, v4, v6 :: v_dual_sub_f32 v9, v103, v7
	v_sub_f32_e32 v10, v5, v7
	v_mov_b64_e32 v[102:103], v[6:7]
	v_dual_mul_f32 v4, 0x3fb8aa3b, v3 :: v_dual_mul_f32 v5, 0x3fb8aa3b, v8
	s_delay_alu instid0(VALU_DEP_4) | instskip(SKIP_1) | instid1(VALU_DEP_3)
	v_mul_f32_e32 v11, 0x3fb8aa3b, v9
	v_cmp_ngt_f32_e32 vcc_lo, 0xc2ce8ed0, v3
	v_fma_f32 v13, 0x3fb8aa3b, v3, -v4
	v_rndne_f32_e32 v14, v4
	s_delay_alu instid0(VALU_DEP_4) | instskip(SKIP_2) | instid1(VALU_DEP_4)
	v_rndne_f32_e32 v18, v11
	v_fma_f32 v17, 0x3fb8aa3b, v9, -v11
	v_rndne_f32_e32 v16, v5
	v_dual_fmac_f32 v13, 0x32a5705f, v3 :: v_dual_sub_f32 v4, v4, v14
	s_delay_alu instid0(VALU_DEP_4) | instskip(SKIP_2) | instid1(VALU_DEP_4)
	v_sub_f32_e32 v11, v11, v18
	v_mul_f32_e32 v12, 0x3fb8aa3b, v10
	v_fma_f32 v15, 0x3fb8aa3b, v8, -v5
	v_dual_sub_f32 v5, v5, v16 :: v_dual_add_f32 v4, v4, v13
	v_cvt_i32_f32_e32 v13, v14
	s_delay_alu instid0(VALU_DEP_4) | instskip(SKIP_4) | instid1(VALU_DEP_3)
	v_fma_f32 v19, 0x3fb8aa3b, v10, -v12
	v_rndne_f32_e32 v20, v12
	v_fmac_f32_e32 v17, 0x32a5705f, v9
	v_exp_f32_e32 v4, v4
	v_cvt_i32_f32_e32 v14, v18
	v_sub_f32_e32 v12, v12, v20
	s_delay_alu instid0(TRANS32_DEP_1) | instskip(SKIP_2) | instid1(VALU_DEP_3)
	v_ldexp_f32 v4, v4, v13
	v_fmac_f32_e32 v19, 0x32a5705f, v10
	v_cvt_i32_f32_e32 v13, v20
	v_cndmask_b32_e32 v4, 0, v4, vcc_lo
	s_delay_alu instid0(VALU_DEP_3) | instskip(SKIP_2) | instid1(VALU_DEP_3)
	v_dual_fmac_f32 v15, 0x32a5705f, v8 :: v_dual_add_f32 v12, v12, v19
	v_add_f32_e32 v11, v11, v17
	v_cmp_ngt_f32_e32 vcc_lo, 0xc2ce8ed0, v9
	v_add_f32_e32 v5, v5, v15
	v_cvt_i32_f32_e32 v15, v16
	s_delay_alu instid0(VALU_DEP_4) | instskip(SKIP_1) | instid1(VALU_DEP_2)
	v_exp_f32_e32 v11, v11
	v_exp_f32_e32 v12, v12
	;; [unrolled: 1-line block ×3, first 2 shown]
	s_delay_alu instid0(TRANS32_DEP_3) | instskip(NEXT) | instid1(TRANS32_DEP_2)
	v_ldexp_f32 v11, v11, v14
	v_ldexp_f32 v12, v12, v13
	s_delay_alu instid0(VALU_DEP_2) | instskip(SKIP_1) | instid1(TRANS32_DEP_1)
	v_cndmask_b32_e32 v11, 0, v11, vcc_lo
	v_cmp_nlt_f32_e32 vcc_lo, 0x42b17218, v3
	v_ldexp_f32 v3, v5, v15
	v_cndmask_b32_e32 v4, 0x7f800000, v4, vcc_lo
	v_cmp_nlt_f32_e32 vcc_lo, 0x42b17218, v9
	s_delay_alu instid0(VALU_DEP_2) | instskip(SKIP_2) | instid1(VALU_DEP_3)
	v_cvt_f16_f32_e32 v9, v4
	v_cndmask_b32_e32 v5, 0x7f800000, v11, vcc_lo
	v_cmp_ngt_f32_e32 vcc_lo, 0xc2ce8ed0, v8
	v_and_b32_e32 v13, 0xffff, v9
	v_cndmask_b32_e32 v3, 0, v3, vcc_lo
	v_cmp_ngt_f32_e32 vcc_lo, 0xc2ce8ed0, v10
	v_cndmask_b32_e32 v11, 0, v12, vcc_lo
	v_cvt_f16_f32_e32 v12, v5
	v_cmp_nlt_f32_e32 vcc_lo, 0x42b17218, v8
	v_cndmask_b32_e32 v8, 0x7f800000, v3, vcc_lo
	v_cmp_nlt_f32_e32 vcc_lo, 0x42b17218, v10
	s_delay_alu instid0(VALU_DEP_4) | instskip(SKIP_2) | instid1(VALU_DEP_3)
	v_and_b32_e32 v3, 0xffff, v12
	v_mul_u32_u24_e32 v10, 0x10001, v13
	v_cndmask_b32_e32 v9, 0x7f800000, v11, vcc_lo
	v_mul_u32_u24_e32 v3, 0x10001, v3
	s_delay_alu instid0(VALU_DEP_3)
	v_pk_mul_f16 v40, v40, v10
	v_pk_mul_f16 v43, v43, v10
	;; [unrolled: 1-line block ×3, first 2 shown]
	v_pk_fma_f32 v[0:1], v[0:1], v[4:5], v[8:9]
	v_pk_mul_f16 v41, v41, v10
	v_pk_mul_f16 v36, v36, v3
	;; [unrolled: 1-line block ×5, first 2 shown]
.LBB63_22:
	s_mov_b32 s3, exec_lo
	v_cmpx_gt_i32_e64 s22, v104
	s_cbranch_execz .LBB63_31
; %bb.23:
	s_load_b32 s0, s[0:1], 0xd4
	v_mov_b32_e32 v4, 1.0
	s_wait_kmcnt 0x0
	s_cmp_lg_u32 s0, 1
	s_cselect_b32 s3, -1, 0
	s_cmp_eq_u32 s0, 1
	s_cselect_b32 s1, -1, 0
	s_and_b32 vcc_lo, exec_lo, s3
	s_cbranch_vccnz .LBB63_25
; %bb.24:
	v_div_scale_f32 v3, null, v0, v0, 1.0
	s_delay_alu instid0(VALU_DEP_1) | instskip(SKIP_1) | instid1(TRANS32_DEP_1)
	v_rcp_f32_e32 v4, v3
	v_nop
	v_fma_f32 v5, -v3, v4, 1.0
	s_delay_alu instid0(VALU_DEP_1) | instskip(SKIP_1) | instid1(VALU_DEP_1)
	v_fmac_f32_e32 v4, v5, v4
	v_div_scale_f32 v5, vcc_lo, 1.0, v0, 1.0
	v_mul_f32_e32 v6, v5, v4
	s_delay_alu instid0(VALU_DEP_1) | instskip(NEXT) | instid1(VALU_DEP_1)
	v_fma_f32 v7, -v3, v6, v5
	v_fmac_f32_e32 v6, v7, v4
	s_delay_alu instid0(VALU_DEP_1) | instskip(NEXT) | instid1(VALU_DEP_1)
	v_fma_f32 v3, -v3, v6, v5
	v_div_fmas_f32 v3, v3, v4, v6
	s_delay_alu instid0(VALU_DEP_1)
	v_div_fixup_f32 v4, v3, v0, 1.0
.LBB63_25:
	v_mad_u32 v3, s2, s22, v104
	v_dual_mov_b32 v13, 0 :: v_dual_lshrrev_b32 v5, 16, v43
	v_dual_lshrrev_b32 v11, 16, v42 :: v_dual_lshrrev_b32 v15, 16, v41
	v_cvt_f32_f16_e32 v6, v40
	v_cvt_f32_f16_e32 v8, v43
	s_delay_alu instid0(VALU_DEP_4)
	v_cvt_f32_f16_e32 v9, v5
	v_cvt_f32_f16_e32 v10, v42
	;; [unrolled: 1-line block ×4, first 2 shown]
	v_mad_u32 v2, v3, s23, v2
	v_lshrrev_b32_e32 v3, 16, v40
	v_cvt_f32_f16_e32 v15, v15
	v_cmp_eq_u32_e32 vcc_lo, 0, v65
	v_pk_mul_f32 v[8:9], v[4:5], v[8:9] op_sel_hi:[0,1]
	v_pk_mul_f32 v[10:11], v[4:5], v[10:11] op_sel_hi:[0,1]
	v_cvt_f32_f16_e32 v7, v3
	s_and_b32 s2, vcc_lo, s3
	s_delay_alu instid0(VALU_DEP_1) | instskip(SKIP_1) | instid1(VALU_DEP_1)
	v_pk_mul_f32 v[6:7], v[4:5], v[6:7] op_sel_hi:[0,1]
	v_mad_u32 v2, s0, v2, s29
	v_lshl_add_u32 v12, v2, 8, v105
	s_delay_alu instid0(VALU_DEP_1) | instskip(SKIP_1) | instid1(VALU_DEP_1)
	v_lshl_add_u64 v[16:17], v[12:13], 2, s[16:17]
	v_add_nc_u32_e32 v12, 0x80, v12
	v_lshl_add_u64 v[18:19], v[12:13], 2, s[16:17]
	v_pk_mul_f32 v[12:13], v[4:5], v[14:15] op_sel_hi:[0,1]
	s_clause 0x1
	global_store_b128 v[16:17], v[6:9], off
	global_store_b128 v[18:19], v[10:13], off
	s_wait_xcnt 0x0
	s_and_saveexec_b32 s3, s2
	s_cbranch_execz .LBB63_27
; %bb.26:
	v_dual_mov_b32 v4, v102 :: v_dual_mov_b32 v5, v0
	global_store_b64 v2, v[4:5], s[18:19] scale_offset
.LBB63_27:
	s_wait_xcnt 0x0
	s_or_b32 exec_lo, exec_lo, s3
	v_mov_b32_e32 v0, 1.0
	s_and_not1_b32 vcc_lo, exec_lo, s1
	s_cbranch_vccnz .LBB63_29
; %bb.28:
	v_div_scale_f32 v0, null, v1, v1, 1.0
	s_delay_alu instid0(VALU_DEP_1) | instskip(SKIP_1) | instid1(TRANS32_DEP_1)
	v_rcp_f32_e32 v3, v0
	v_nop
	v_fma_f32 v4, -v0, v3, 1.0
	s_delay_alu instid0(VALU_DEP_1) | instskip(SKIP_1) | instid1(VALU_DEP_1)
	v_fmac_f32_e32 v3, v4, v3
	v_div_scale_f32 v4, vcc_lo, 1.0, v1, 1.0
	v_mul_f32_e32 v5, v4, v3
	s_delay_alu instid0(VALU_DEP_1) | instskip(NEXT) | instid1(VALU_DEP_1)
	v_fma_f32 v6, -v0, v5, v4
	v_fmac_f32_e32 v5, v6, v3
	s_delay_alu instid0(VALU_DEP_1) | instskip(NEXT) | instid1(VALU_DEP_1)
	v_fma_f32 v0, -v0, v5, v4
	v_div_fmas_f32 v0, v0, v3, v5
	s_delay_alu instid0(VALU_DEP_1)
	v_div_fixup_f32 v0, v0, v1, 1.0
.LBB63_29:
	v_dual_mov_b32 v9, 0 :: v_dual_add_nc_u32 v2, s0, v2
	v_dual_lshrrev_b32 v3, 16, v36 :: v_dual_lshrrev_b32 v6, 16, v39
	v_dual_lshrrev_b32 v10, 16, v37 :: v_dual_lshrrev_b32 v14, 16, v38
	s_delay_alu instid0(VALU_DEP_3) | instskip(SKIP_1) | instid1(VALU_DEP_4)
	v_lshl_add_u32 v8, v2, 8, v105
	v_cvt_f32_f16_e32 v4, v36
	v_cvt_f32_f16_e32 v5, v3
	;; [unrolled: 1-line block ×4, first 2 shown]
	v_lshl_add_u64 v[12:13], v[8:9], 2, s[16:17]
	v_add_nc_u32_e32 v8, 0x80, v8
	v_cvt_f32_f16_e32 v11, v10
	v_cvt_f32_f16_e32 v10, v37
	v_cvt_f32_f16_e32 v15, v14
	v_cvt_f32_f16_e32 v14, v38
	v_pk_mul_f32 v[4:5], v[0:1], v[4:5] op_sel_hi:[0,1]
	v_pk_mul_f32 v[6:7], v[0:1], v[6:7] op_sel_hi:[0,1]
	v_lshl_add_u64 v[16:17], v[8:9], 2, s[16:17]
	v_pk_mul_f32 v[8:9], v[0:1], v[10:11] op_sel_hi:[0,1]
	v_pk_mul_f32 v[10:11], v[0:1], v[14:15] op_sel_hi:[0,1]
	s_clause 0x1
	global_store_b128 v[12:13], v[4:7], off
	global_store_b128 v[16:17], v[8:11], off
	s_wait_xcnt 0x0
	s_and_b32 exec_lo, exec_lo, s2
	s_cbranch_execz .LBB63_31
; %bb.30:
	v_mov_b32_e32 v0, v103
	global_store_b64 v2, v[0:1], s[18:19] scale_offset
.LBB63_31:
	s_sendmsg sendmsg(MSG_DEALLOC_VGPRS)
	s_endpgm
	.section	.rodata,"a",@progbits
	.p2align	6, 0x0
	.amdhsa_kernel _ZL15flash_attn_tileILi256ELi256ELi2ELi4ELb1EEvPKcS1_S1_S1_S1_PKiPfP15HIP_vector_typeIfLj2EEffffjfiS5_IjLj3EEiiiiiiiiiiiliiliiiiil
		.amdhsa_group_segment_fixed_size 21504
		.amdhsa_private_segment_fixed_size 0
		.amdhsa_kernarg_size 464
		.amdhsa_user_sgpr_count 2
		.amdhsa_user_sgpr_dispatch_ptr 0
		.amdhsa_user_sgpr_queue_ptr 0
		.amdhsa_user_sgpr_kernarg_segment_ptr 1
		.amdhsa_user_sgpr_dispatch_id 0
		.amdhsa_user_sgpr_kernarg_preload_length 0
		.amdhsa_user_sgpr_kernarg_preload_offset 0
		.amdhsa_user_sgpr_private_segment_size 0
		.amdhsa_wavefront_size32 1
		.amdhsa_uses_dynamic_stack 0
		.amdhsa_enable_private_segment 0
		.amdhsa_system_sgpr_workgroup_id_x 1
		.amdhsa_system_sgpr_workgroup_id_y 1
		.amdhsa_system_sgpr_workgroup_id_z 1
		.amdhsa_system_sgpr_workgroup_info 0
		.amdhsa_system_vgpr_workitem_id 1
		.amdhsa_next_free_vgpr 148
		.amdhsa_next_free_sgpr 42
		.amdhsa_named_barrier_count 0
		.amdhsa_reserve_vcc 1
		.amdhsa_float_round_mode_32 0
		.amdhsa_float_round_mode_16_64 0
		.amdhsa_float_denorm_mode_32 3
		.amdhsa_float_denorm_mode_16_64 3
		.amdhsa_fp16_overflow 0
		.amdhsa_memory_ordered 1
		.amdhsa_forward_progress 1
		.amdhsa_inst_pref_size 82
		.amdhsa_round_robin_scheduling 0
		.amdhsa_exception_fp_ieee_invalid_op 0
		.amdhsa_exception_fp_denorm_src 0
		.amdhsa_exception_fp_ieee_div_zero 0
		.amdhsa_exception_fp_ieee_overflow 0
		.amdhsa_exception_fp_ieee_underflow 0
		.amdhsa_exception_fp_ieee_inexact 0
		.amdhsa_exception_int_div_zero 0
	.end_amdhsa_kernel
	.section	.text._ZL15flash_attn_tileILi256ELi256ELi2ELi4ELb1EEvPKcS1_S1_S1_S1_PKiPfP15HIP_vector_typeIfLj2EEffffjfiS5_IjLj3EEiiiiiiiiiiiliiliiiiil,"axG",@progbits,_ZL15flash_attn_tileILi256ELi256ELi2ELi4ELb1EEvPKcS1_S1_S1_S1_PKiPfP15HIP_vector_typeIfLj2EEffffjfiS5_IjLj3EEiiiiiiiiiiiliiliiiiil,comdat
.Lfunc_end63:
	.size	_ZL15flash_attn_tileILi256ELi256ELi2ELi4ELb1EEvPKcS1_S1_S1_S1_PKiPfP15HIP_vector_typeIfLj2EEffffjfiS5_IjLj3EEiiiiiiiiiiiliiliiiiil, .Lfunc_end63-_ZL15flash_attn_tileILi256ELi256ELi2ELi4ELb1EEvPKcS1_S1_S1_S1_PKiPfP15HIP_vector_typeIfLj2EEffffjfiS5_IjLj3EEiiiiiiiiiiiliiliiiiil
                                        ; -- End function
	.set _ZL15flash_attn_tileILi256ELi256ELi2ELi4ELb1EEvPKcS1_S1_S1_S1_PKiPfP15HIP_vector_typeIfLj2EEffffjfiS5_IjLj3EEiiiiiiiiiiiliiliiiiil.num_vgpr, 148
	.set _ZL15flash_attn_tileILi256ELi256ELi2ELi4ELb1EEvPKcS1_S1_S1_S1_PKiPfP15HIP_vector_typeIfLj2EEffffjfiS5_IjLj3EEiiiiiiiiiiiliiliiiiil.num_agpr, 0
	.set _ZL15flash_attn_tileILi256ELi256ELi2ELi4ELb1EEvPKcS1_S1_S1_S1_PKiPfP15HIP_vector_typeIfLj2EEffffjfiS5_IjLj3EEiiiiiiiiiiiliiliiiiil.numbered_sgpr, 42
	.set _ZL15flash_attn_tileILi256ELi256ELi2ELi4ELb1EEvPKcS1_S1_S1_S1_PKiPfP15HIP_vector_typeIfLj2EEffffjfiS5_IjLj3EEiiiiiiiiiiiliiliiiiil.num_named_barrier, 0
	.set _ZL15flash_attn_tileILi256ELi256ELi2ELi4ELb1EEvPKcS1_S1_S1_S1_PKiPfP15HIP_vector_typeIfLj2EEffffjfiS5_IjLj3EEiiiiiiiiiiiliiliiiiil.private_seg_size, 0
	.set _ZL15flash_attn_tileILi256ELi256ELi2ELi4ELb1EEvPKcS1_S1_S1_S1_PKiPfP15HIP_vector_typeIfLj2EEffffjfiS5_IjLj3EEiiiiiiiiiiiliiliiiiil.uses_vcc, 1
	.set _ZL15flash_attn_tileILi256ELi256ELi2ELi4ELb1EEvPKcS1_S1_S1_S1_PKiPfP15HIP_vector_typeIfLj2EEffffjfiS5_IjLj3EEiiiiiiiiiiiliiliiiiil.uses_flat_scratch, 0
	.set _ZL15flash_attn_tileILi256ELi256ELi2ELi4ELb1EEvPKcS1_S1_S1_S1_PKiPfP15HIP_vector_typeIfLj2EEffffjfiS5_IjLj3EEiiiiiiiiiiiliiliiiiil.has_dyn_sized_stack, 0
	.set _ZL15flash_attn_tileILi256ELi256ELi2ELi4ELb1EEvPKcS1_S1_S1_S1_PKiPfP15HIP_vector_typeIfLj2EEffffjfiS5_IjLj3EEiiiiiiiiiiiliiliiiiil.has_recursion, 0
	.set _ZL15flash_attn_tileILi256ELi256ELi2ELi4ELb1EEvPKcS1_S1_S1_S1_PKiPfP15HIP_vector_typeIfLj2EEffffjfiS5_IjLj3EEiiiiiiiiiiiliiliiiiil.has_indirect_call, 0
	.section	.AMDGPU.csdata,"",@progbits
; Kernel info:
; codeLenInByte = 10420
; TotalNumSgprs: 44
; NumVgprs: 148
; ScratchSize: 0
; MemoryBound: 0
; FloatMode: 240
; IeeeMode: 1
; LDSByteSize: 21504 bytes/workgroup (compile time only)
; SGPRBlocks: 0
; VGPRBlocks: 9
; NumSGPRsForWavesPerEU: 44
; NumVGPRsForWavesPerEU: 148
; NamedBarCnt: 0
; Occupancy: 6
; WaveLimiterHint : 1
; COMPUTE_PGM_RSRC2:SCRATCH_EN: 0
; COMPUTE_PGM_RSRC2:USER_SGPR: 2
; COMPUTE_PGM_RSRC2:TRAP_HANDLER: 0
; COMPUTE_PGM_RSRC2:TGID_X_EN: 1
; COMPUTE_PGM_RSRC2:TGID_Y_EN: 1
; COMPUTE_PGM_RSRC2:TGID_Z_EN: 1
; COMPUTE_PGM_RSRC2:TIDIG_COMP_CNT: 1
	.section	.text._ZL15flash_attn_tileILi256ELi256ELi1ELi4ELb1EEvPKcS1_S1_S1_S1_PKiPfP15HIP_vector_typeIfLj2EEffffjfiS5_IjLj3EEiiiiiiiiiiiliiliiiiil,"axG",@progbits,_ZL15flash_attn_tileILi256ELi256ELi1ELi4ELb1EEvPKcS1_S1_S1_S1_PKiPfP15HIP_vector_typeIfLj2EEffffjfiS5_IjLj3EEiiiiiiiiiiiliiliiiiil,comdat
	.globl	_ZL15flash_attn_tileILi256ELi256ELi1ELi4ELb1EEvPKcS1_S1_S1_S1_PKiPfP15HIP_vector_typeIfLj2EEffffjfiS5_IjLj3EEiiiiiiiiiiiliiliiiiil ; -- Begin function _ZL15flash_attn_tileILi256ELi256ELi1ELi4ELb1EEvPKcS1_S1_S1_S1_PKiPfP15HIP_vector_typeIfLj2EEffffjfiS5_IjLj3EEiiiiiiiiiiiliiliiiiil
	.p2align	8
	.type	_ZL15flash_attn_tileILi256ELi256ELi1ELi4ELb1EEvPKcS1_S1_S1_S1_PKiPfP15HIP_vector_typeIfLj2EEffffjfiS5_IjLj3EEiiiiiiiiiiiliiliiiiil,@function
_ZL15flash_attn_tileILi256ELi256ELi1ELi4ELb1EEvPKcS1_S1_S1_S1_PKiPfP15HIP_vector_typeIfLj2EEffffjfiS5_IjLj3EEiiiiiiiiiiiliiliiiiil: ; @_ZL15flash_attn_tileILi256ELi256ELi1ELi4ELb1EEvPKcS1_S1_S1_S1_PKiPfP15HIP_vector_typeIfLj2EEffffjfiS5_IjLj3EEiiiiiiiiiiiliiliiiiil
; %bb.0:
	s_clause 0x1
	s_load_b128 s[20:23], s[0:1], 0x5c
	s_load_b64 s[30:31], s[0:1], 0x80
	s_bfe_u32 s5, ttmp6, 0x40014
	s_lshr_b32 s4, ttmp7, 16
	s_add_co_i32 s5, s5, 1
	s_bfe_u32 s6, ttmp6, 0x40008
	s_mul_i32 s5, s4, s5
	s_load_b64 s[36:37], s[0:1], 0xb8
	s_add_co_i32 s6, s6, s5
	s_mov_b64 s[34:35], 0
	s_wait_kmcnt 0x0
	s_ashr_i32 s2, s23, 31
	s_delay_alu instid0(SALU_CYCLE_1) | instskip(NEXT) | instid1(SALU_CYCLE_1)
	s_lshr_b32 s2, s2, 30
	s_add_co_i32 s2, s23, s2
	s_delay_alu instid0(SALU_CYCLE_1) | instskip(NEXT) | instid1(SALU_CYCLE_1)
	s_ashr_i32 s3, s2, 2
	s_cvt_f32_u32 s2, s3
	s_sub_co_i32 s8, 0, s3
	s_delay_alu instid0(SALU_CYCLE_2) | instskip(SKIP_1) | instid1(TRANS32_DEP_1)
	v_rcp_iflag_f32_e32 v1, s2
	v_nop
	v_readfirstlane_b32 s2, v1
	s_mul_f32 s2, s2, 0x4f7ffffe
	s_delay_alu instid0(SALU_CYCLE_3) | instskip(SKIP_1) | instid1(SALU_CYCLE_2)
	s_cvt_u32_f32 s7, s2
	s_getreg_b32 s2, hwreg(HW_REG_IB_STS2, 6, 4)
	s_mul_i32 s8, s8, s7
	s_delay_alu instid0(SALU_CYCLE_1) | instskip(NEXT) | instid1(SALU_CYCLE_1)
	s_mul_hi_u32 s8, s7, s8
	s_add_co_i32 s7, s7, s8
	s_cmp_eq_u32 s2, 0
	s_cselect_b32 s4, s4, s6
	s_delay_alu instid0(SALU_CYCLE_1) | instskip(NEXT) | instid1(SALU_CYCLE_1)
	s_mul_hi_u32 s5, s4, s7
	s_mul_i32 s6, s5, s3
	s_add_co_i32 s7, s5, 1
	s_sub_co_i32 s6, s4, s6
	s_delay_alu instid0(SALU_CYCLE_1)
	s_sub_co_i32 s8, s6, s3
	s_cmp_ge_u32 s6, s3
	s_cselect_b32 s5, s7, s5
	s_cselect_b32 s6, s8, s6
	s_add_co_i32 s7, s5, 1
	s_cmp_ge_u32 s6, s3
	s_cselect_b32 s28, s7, s5
	s_abs_i32 s3, s31
	s_lshl_b32 s4, s4, 2
	s_cvt_f32_u32 s5, s3
	s_sub_co_i32 s6, 0, s3
	s_mul_i32 s7, s28, s23
	s_abs_i32 s8, s23
	v_rcp_iflag_f32_e32 v1, s5
	s_sub_co_i32 s33, s4, s7
	v_nop
	s_delay_alu instid0(TRANS32_DEP_1) | instskip(SKIP_1) | instid1(SALU_CYCLE_3)
	v_readfirstlane_b32 s5, v1
	s_mul_f32 s5, s5, 0x4f7ffffe
	s_cvt_u32_f32 s5, s5
	s_delay_alu instid0(SALU_CYCLE_3) | instskip(NEXT) | instid1(SALU_CYCLE_1)
	s_mul_i32 s6, s6, s5
	s_mul_hi_u32 s6, s5, s6
	s_delay_alu instid0(SALU_CYCLE_1) | instskip(NEXT) | instid1(SALU_CYCLE_1)
	s_add_co_i32 s5, s5, s6
	s_mul_hi_u32 s4, s8, s5
	s_xor_b32 s5, s23, s31
	s_mul_i32 s6, s4, s3
	s_ashr_i32 s24, s5, 31
	s_sub_co_i32 s5, s8, s6
	s_add_co_i32 s6, s4, 1
	s_sub_co_i32 s7, s5, s3
	s_cmp_ge_u32 s5, s3
	s_cselect_b32 s4, s6, s4
	s_cselect_b32 s5, s7, s5
	s_add_co_i32 s6, s4, 1
	s_cmp_ge_u32 s5, s3
	s_cselect_b32 s3, s6, s4
	s_load_b512 s[4:19], s[0:1], 0x0
	s_xor_b32 s3, s3, s24
	s_delay_alu instid0(SALU_CYCLE_1) | instskip(NEXT) | instid1(SALU_CYCLE_1)
	s_sub_co_i32 s29, s3, s24
	s_abs_i32 s38, s29
	s_delay_alu instid0(SALU_CYCLE_1) | instskip(NEXT) | instid1(SALU_CYCLE_3)
	s_cvt_f32_u32 s3, s38
	v_rcp_iflag_f32_e32 v1, s3
	s_mov_b32 s3, 0
	v_nop
	s_delay_alu instid0(TRANS32_DEP_1)
	v_readfirstlane_b32 s24, v1
	s_wait_kmcnt 0x0
	s_cmp_eq_u64 s[10:11], 0
	s_cbranch_scc1 .LBB64_2
; %bb.1:
	s_abs_i32 s25, s36
	s_abs_i32 s31, s28
	s_cvt_f32_u32 s26, s25
	s_sub_co_i32 s27, 0, s25
	s_delay_alu instid0(SALU_CYCLE_2) | instskip(SKIP_1) | instid1(TRANS32_DEP_1)
	v_rcp_iflag_f32_e32 v1, s26
	v_nop
	v_readfirstlane_b32 s26, v1
	s_mul_f32 s26, s26, 0x4f7ffffe
	s_delay_alu instid0(SALU_CYCLE_3) | instskip(NEXT) | instid1(SALU_CYCLE_3)
	s_cvt_u32_f32 s26, s26
	s_mul_i32 s27, s27, s26
	s_delay_alu instid0(SALU_CYCLE_1) | instskip(NEXT) | instid1(SALU_CYCLE_1)
	s_mul_hi_u32 s27, s26, s27
	s_add_co_i32 s26, s26, s27
	s_delay_alu instid0(SALU_CYCLE_1) | instskip(SKIP_2) | instid1(SALU_CYCLE_1)
	s_mul_hi_u32 s34, s31, s26
	s_load_b64 s[26:27], s[0:1], 0xc8
	s_mul_i32 s34, s34, s25
	s_sub_co_i32 s31, s31, s34
	s_ashr_i32 s34, s28, 31
	s_sub_co_i32 s35, s31, s25
	s_cmp_ge_u32 s31, s25
	s_cselect_b32 s31, s35, s31
	s_delay_alu instid0(SALU_CYCLE_1) | instskip(SKIP_2) | instid1(SALU_CYCLE_1)
	s_sub_co_i32 s35, s31, s25
	s_cmp_ge_u32 s31, s25
	s_cselect_b32 s25, s35, s31
	s_xor_b32 s25, s25, s34
	s_delay_alu instid0(SALU_CYCLE_1) | instskip(NEXT) | instid1(SALU_CYCLE_1)
	s_sub_co_i32 s34, s25, s34
	s_ashr_i32 s35, s34, 31
	s_wait_kmcnt 0x0
	s_mul_u64 s[26:27], s[26:27], s[34:35]
	s_delay_alu instid0(SALU_CYCLE_1)
	s_add_nc_u64 s[34:35], s[10:11], s[26:27]
.LBB64_2:
	s_bfe_u32 s10, ttmp6, 0x4000c
	v_dual_lshrrev_b32 v1, 10, v0 :: v_dual_mov_b32 v73, 0
	s_add_co_i32 s10, s10, 1
	s_and_b32 s11, ttmp6, 15
	s_mul_i32 s10, ttmp9, s10
	s_delay_alu instid0(VALU_DEP_1)
	v_bfe_u32 v1, v1, 2, 8
	s_add_co_i32 s11, s11, s10
	s_cmp_eq_u32 s2, 0
	s_load_b96 s[40:42], s[0:1], 0x70
	s_cselect_b32 s10, ttmp9, s11
	v_bfe_u32 v72, v0, 10, 2
	v_add_nc_u32_e32 v110, s10, v1
	v_and_b32_e32 v111, 0x3ff, v0
	v_mov_b32_e32 v3, v73
	s_delay_alu instid0(VALU_DEP_3) | instskip(NEXT) | instid1(VALU_DEP_1)
	v_mul_hi_u32 v1, s20, v110
	v_dual_lshlrev_b32 v8, 4, v111 :: v_dual_add_nc_u32 v1, v110, v1
	s_wait_kmcnt 0x0
	s_mov_b32 s20, s41
	s_mul_i32 s26, s33, s41
	s_delay_alu instid0(SALU_CYCLE_1) | instskip(SKIP_4) | instid1(VALU_DEP_1)
	s_ashr_i32 s27, s26, 31
	v_lshrrev_b32_e32 v1, s21, v1
	s_ashr_i32 s21, s41, 31
	s_ashr_i32 s41, s40, 31
	s_lshr_b64 s[20:21], s[20:21], 2
	v_mul_lo_u32 v1, v1, s22
	v_mul_u64_e32 v[4:5], s[20:21], v[72:73]
	s_lshr_b64 s[20:21], s[40:41], 2
	s_delay_alu instid0(VALU_DEP_2) | instskip(SKIP_2) | instid1(VALU_DEP_3)
	v_sub_nc_u32_e32 v2, v110, v1
	v_bfe_u32 v1, v0, 10, 10
	v_mov_b32_e32 v9, v73
	v_mul_u64_e32 v[6:7], s[20:21], v[2:3]
	s_mul_i32 s20, s28, s42
	s_delay_alu instid0(VALU_DEP_3) | instskip(SKIP_3) | instid1(SALU_CYCLE_1)
	v_lshlrev_b32_e32 v0, 9, v1
	s_ashr_i32 s21, s20, 31
	s_cmp_eq_u64 s[14:15], 0
	s_add_nc_u64 s[4:5], s[4:5], s[20:21]
	s_add_nc_u64 s[4:5], s[4:5], s[26:27]
	v_add_nc_u32_e32 v112, 0x4200, v0
	v_lshl_add_u64 v[4:5], v[4:5], 2, s[4:5]
	s_load_b32 s4, s[0:1], 0x40
	s_delay_alu instid0(VALU_DEP_1) | instskip(NEXT) | instid1(VALU_DEP_1)
	v_lshl_add_u64 v[4:5], v[6:7], 2, v[4:5]
	v_add_nc_u64_e32 v[12:13], v[4:5], v[8:9]
	s_clause 0x1
	global_load_b128 v[4:7], v[12:13], off
	global_load_b128 v[8:11], v[12:13], off offset:512
	s_wait_loadcnt 0x1
	s_wait_kmcnt 0x0
	v_fma_mixlo_f16 v3, s4, v4, 0
	v_fma_mixlo_f16 v4, s4, v5, 0
	;; [unrolled: 1-line block ×4, first 2 shown]
	s_wait_loadcnt 0x0
	v_fma_mixlo_f16 v7, s4, v8, 0
	v_fma_mixlo_f16 v8, s4, v9, 0
	v_dual_lshlrev_b32 v109, 3, v111 :: v_dual_lshlrev_b32 v4, 16, v4
	v_fma_mixlo_f16 v9, s4, v10, 0
	v_fma_mixlo_f16 v10, s4, v11, 0
	v_and_b32_e32 v3, 0xffff, v3
	v_dual_lshlrev_b32 v6, 16, v6 :: v_dual_lshlrev_b32 v8, 16, v8
	v_and_b32_e32 v7, 0xffff, v7
	v_and_b32_e32 v5, 0xffff, v5
	s_delay_alu instid0(VALU_DEP_4) | instskip(SKIP_1) | instid1(VALU_DEP_4)
	v_dual_lshlrev_b32 v10, 16, v10 :: v_dual_bitop2_b32 v3, v4, v3 bitop3:0x54
	v_and_b32_e32 v9, 0xffff, v9
	v_or_b32_e32 v8, v8, v7
	v_add_nc_u32_e32 v11, v112, v109
	v_or3_b32 v5, v6, v5, 0
	v_or3_b32 v4, 0, 0, v3
	;; [unrolled: 1-line block ×4, first 2 shown]
	ds_store_2addr_b64 v11, v[4:5], v[6:7] offset1:32
	s_wait_dscnt 0x0
	s_barrier_signal -1
	s_barrier_wait -1
	s_cbranch_scc1 .LBB64_4
; %bb.3:
	s_load_b32 s4, s[0:1], 0xd0
	s_wait_kmcnt 0x0
	s_mul_i32 s4, s4, s28
	s_delay_alu instid0(SALU_CYCLE_1)
	s_add_co_i32 s4, s4, s10
	s_load_b32 s30, s[14:15], s4 offset:0x0 scale_offset
.LBB64_4:
	s_wait_xcnt 0x0
	s_bfe_u32 s4, ttmp6, 0x40010
	s_and_b32 s5, ttmp7, 0xffff
	s_add_co_i32 s4, s4, 1
	s_bfe_u32 s10, ttmp6, 0x40004
	s_mul_i32 s4, s5, s4
	v_lshlrev_b32_e32 v73, 2, v111
	s_add_co_i32 s10, s10, s4
	s_cmp_eq_u32 s2, 0
	v_mbcnt_lo_u32_b32 v113, -1, 0
	s_cselect_b32 s31, s5, s10
	s_mov_b32 s2, 0
	s_lshl_b32 s4, s31, 5
	s_wait_kmcnt 0x0
	s_cmp_lt_i32 s4, s30
	s_cbranch_scc1 .LBB64_7
; %bb.5:
	v_mbcnt_lo_u32_b32 v3, -1, 0
	s_delay_alu instid0(VALU_DEP_1)
	v_dual_mov_b32 v116, 32 :: v_dual_bitop2_b32 v135, 16, v3 bitop3:0x14
	v_xor_b32_e32 v136, 8, v3
	v_xor_b32_e32 v137, 4, v3
	;; [unrolled: 1-line block ×4, first 2 shown]
	s_and_not1_b32 vcc_lo, exec_lo, s2
	s_cbranch_vccz .LBB64_8
; %bb.6:
	v_dual_mov_b32 v45, 0 :: v_dual_mov_b32 v140, 0
	v_dual_mov_b32 v108, 0xfeffffff :: v_dual_mov_b32 v33, 0
	;; [unrolled: 1-line block ×3, first 2 shown]
	s_branch .LBB64_16
.LBB64_7:
                                        ; implicit-def: $vgpr3
                                        ; implicit-def: $vgpr116
                                        ; implicit-def: $vgpr135
                                        ; implicit-def: $vgpr136
                                        ; implicit-def: $vgpr137
                                        ; implicit-def: $vgpr138
                                        ; implicit-def: $vgpr139
.LBB64_8:
	s_mul_f32 s5, s24, 0x4f7ffffe
	s_clause 0x1
	s_load_b128 s[24:27], s[0:1], 0x98
	s_load_b64 s[20:21], s[0:1], 0x8c
	s_sub_co_i32 s10, 0, s38
	s_abs_i32 s2, s33
	s_cvt_u32_f32 s5, s5
	s_mov_b32 s11, s3
	s_ashr_i32 s14, s33, 31
	s_ashr_i32 s15, s29, 31
	s_mul_i32 s10, s10, s5
	s_ashr_i32 s37, s37, 1
	s_mul_hi_u32 s10, s5, s10
	s_ashr_i32 s29, s28, 31
	s_add_co_i32 s10, s5, s10
	s_xor_b32 s5, s14, s15
	s_mul_u64 s[10:11], s[2:3], s[10:11]
	s_clause 0x1
	s_load_b64 s[40:41], s[0:1], 0xa8
	s_load_b32 s36, s[0:1], 0x54
	s_mul_i32 s3, s11, s38
	v_mad_u32 v125, v2, s37, v111
	s_sub_co_i32 s2, s2, s3
	s_wait_kmcnt 0x0
	s_ashr_i32 s10, s26, 2
	s_ashr_i32 s14, s20, 2
	s_add_co_i32 s3, s11, 1
	s_sub_co_i32 s15, s2, s38
	s_cmp_ge_u32 s2, s38
	v_mul_lo_u32 v74, s14, v1
	s_cselect_b32 s3, s3, s11
	s_cselect_b32 s2, s15, s2
	s_add_co_i32 s11, s3, 1
	s_cmp_ge_u32 s2, s38
	v_mul_lo_u32 v84, s10, v1
	s_cselect_b32 s2, s11, s3
	v_lshl_add_u32 v123, v1, 6, 0x4a00
	s_xor_b32 s11, s2, s5
	v_lshlrev_b32_e32 v78, 2, v73
	s_sub_co_i32 s5, s11, s5
	s_and_b32 s11, s20, -4
	s_mul_u64 s[2:3], s[24:25], s[28:29]
	v_add_nc_u32_e32 v76, s11, v74
	s_add_nc_u64 s[2:3], s[6:7], s[2:3]
	s_mul_i32 s6, s5, s21
	v_ashrrev_i32_e32 v75, 31, v74
	s_ashr_i32 s7, s6, 31
	v_add_nc_u32_e32 v80, s11, v76
	s_add_nc_u64 s[6:7], s[2:3], s[6:7]
	s_mul_u64 s[2:3], s[40:41], s[28:29]
	s_mul_i32 s20, s5, s27
	s_add_nc_u64 s[2:3], s[8:9], s[2:3]
	v_dual_add_nc_u32 v82, s11, v80 :: v_dual_ashrrev_i32 v81, 31, v80
	s_ashr_i32 s21, s20, 31
	v_ashrrev_i32_e32 v77, 31, v76
	s_add_nc_u64 s[8:9], s[2:3], s[20:21]
	s_delay_alu instid0(VALU_DEP_2) | instskip(SKIP_1) | instid1(SALU_CYCLE_1)
	v_add_nc_u32_e32 v86, s11, v82
	s_and_b32 s2, s26, -4
	v_dual_ashrrev_i32 v83, 31, v82 :: v_dual_add_nc_u32 v90, s2, v84
	v_mad_u32_u24 v114, 0x210, v1, v78
	s_delay_alu instid0(VALU_DEP_3) | instskip(SKIP_1) | instid1(VALU_DEP_3)
	v_dual_add_nc_u32 v88, s11, v86 :: v_dual_ashrrev_i32 v87, 31, v86
	v_lshl_add_u32 v1, v1, 9, v78
	v_dual_mov_b32 v79, 0 :: v_dual_add_nc_u32 v118, 0x18c0, v114
	s_delay_alu instid0(VALU_DEP_3) | instskip(SKIP_2) | instid1(VALU_DEP_3)
	v_dual_add_nc_u32 v92, s11, v88 :: v_dual_ashrrev_i32 v89, 31, v88
	v_add_nc_u32_e32 v94, s2, v90
	v_dual_mov_b32 v116, 32 :: v_dual_add_nc_u32 v115, 0x840, v114
	v_dual_add_nc_u32 v96, s11, v92 :: v_dual_ashrrev_i32 v93, 31, v92
	s_delay_alu instid0(VALU_DEP_3) | instskip(SKIP_1) | instid1(VALU_DEP_3)
	v_add_nc_u32_e32 v98, s2, v94
	v_dual_mov_b32 v32, v79 :: v_dual_add_nc_u32 v117, 0x1080, v114
	v_dual_ashrrev_i32 v97, 31, v96 :: v_dual_ashrrev_i32 v91, 31, v90
	s_delay_alu instid0(VALU_DEP_3) | instskip(SKIP_2) | instid1(VALU_DEP_3)
	v_add_nc_u32_e32 v100, s2, v98
	v_dual_mov_b32 v44, v79 :: v_dual_add_nc_u32 v119, 0x2100, v114
	v_dual_mov_b32 v33, v79 :: v_dual_add_nc_u32 v120, 0x2940, v114
	v_add_nc_u32_e32 v102, s2, v100
	v_dual_mov_b32 v34, v79 :: v_dual_add_nc_u32 v121, 0x3180, v114
	v_dual_mov_b32 v45, v79 :: v_dual_add_nc_u32 v122, 0x39c0, v114
	s_delay_alu instid0(VALU_DEP_3) | instskip(SKIP_3) | instid1(VALU_DEP_4)
	v_dual_add_nc_u32 v104, s2, v102 :: v_dual_ashrrev_i32 v103, 31, v102
	v_ashrrev_i32_e32 v99, 31, v98
	v_mul_u32_u24_e32 v124, 0x210, v111
	v_lshl_add_u32 v126, v111, 1, v123
	v_dual_add_nc_u32 v106, s2, v104 :: v_dual_add_nc_u32 v127, v0, v78
	v_ashrrev_i32_e32 v85, 31, v84
	v_add_nc_u32_e32 v128, 0x800, v1
	v_add_nc_u32_e32 v129, 0x1000, v1
	v_dual_ashrrev_i32 v95, 31, v94 :: v_dual_ashrrev_i32 v101, 31, v100
	v_add_nc_u32_e32 v130, 0x1800, v1
	v_add_nc_u32_e32 v131, 0x2000, v1
	;; [unrolled: 1-line block ×4, first 2 shown]
	v_dual_ashrrev_i32 v105, 31, v104 :: v_dual_ashrrev_i32 v107, 31, v106
	v_add_nc_u32_e32 v134, 0x3800, v1
	v_mov_b32_e32 v35, 0xfeffffff
	s_ashr_i32 s15, s14, 31
	s_ashr_i32 s11, s10, 31
	s_add_nc_u64 s[20:21], s[0:1], 0xd0
	s_mov_b32 s24, 0xbbbac73d
.LBB64_9:                               ; =>This Inner Loop Header: Depth=1
	s_ashr_i32 s5, s4, 31
	v_mov_b32_e32 v38, 0
	s_mul_u64 s[2:3], s[4:5], s[14:15]
                                        ; implicit-def: $vgpr37
	s_delay_alu instid0(SALU_CYCLE_1) | instskip(NEXT) | instid1(SALU_CYCLE_1)
	s_lshl_b64 s[2:3], s[2:3], 2
	s_add_nc_u64 s[2:3], s[6:7], s[2:3]
	s_delay_alu instid0(SALU_CYCLE_1)
	v_lshl_add_u64 v[0:1], v[74:75], 2, s[2:3]
	v_lshl_add_u64 v[2:3], v[76:77], 2, s[2:3]
	;; [unrolled: 1-line block ×6, first 2 shown]
	v_add_nc_u64_e32 v[0:1], v[0:1], v[78:79]
	v_lshl_add_u64 v[12:13], v[92:93], 2, s[2:3]
	v_lshl_add_u64 v[14:15], v[96:97], 2, s[2:3]
	v_add_nc_u64_e32 v[16:17], v[2:3], v[78:79]
	v_add_nc_u64_e32 v[18:19], v[4:5], v[78:79]
	;; [unrolled: 1-line block ×7, first 2 shown]
	s_clause 0x7
	global_load_b128 v[0:3], v[0:1], off
	global_load_b128 v[4:7], v[16:17], off
	;; [unrolled: 1-line block ×8, first 2 shown]
	s_wait_loadcnt 0x7
	ds_store_b128 v114, v[0:3]
	s_wait_loadcnt 0x6
	ds_store_b128 v115, v[4:7]
	;; [unrolled: 2-line block ×8, first 2 shown]
	s_wait_dscnt 0x0
	s_barrier_signal -1
	s_barrier_wait -1
	ds_load_b128 v[0:3], v124
	ds_load_b128 v[4:7], v112
	v_add_nc_u32_e32 v8, s4, v125
	s_wait_dscnt 0x0
	;;#ASMSTART
	v_dot2_f32_f16 v38, v0, v4, v38
	;;#ASMEND
	;;#ASMSTART
	v_dot2_f32_f16 v38, v1, v5, v38
	;;#ASMEND
	;;#ASMSTART
	v_dot2_f32_f16 v38, v2, v6, v38
	;;#ASMEND
	;;#ASMSTART
	v_dot2_f32_f16 v38, v3, v7, v38
	;;#ASMEND
	ds_load_b128 v[0:3], v124 offset:16
	ds_load_b128 v[4:7], v112 offset:16
	s_wait_dscnt 0x0
	;;#ASMSTART
	v_dot2_f32_f16 v38, v0, v4, v38
	;;#ASMEND
	;;#ASMSTART
	v_dot2_f32_f16 v38, v1, v5, v38
	;;#ASMEND
	;;#ASMSTART
	v_dot2_f32_f16 v38, v2, v6, v38
	;;#ASMEND
	;;#ASMSTART
	v_dot2_f32_f16 v38, v3, v7, v38
	;;#ASMEND
	ds_load_b128 v[0:3], v124 offset:32
	ds_load_b128 v[4:7], v112 offset:32
	;; [unrolled: 15-line block ×31, first 2 shown]
	s_wait_dscnt 0x0
	;;#ASMSTART
	v_dot2_f32_f16 v38, v0, v4, v38
	;;#ASMEND
	;;#ASMSTART
	v_dot2_f32_f16 v38, v1, v5, v38
	;;#ASMEND
	;;#ASMSTART
	v_dot2_f32_f16 v38, v2, v6, v38
	;;#ASMEND
	;;#ASMSTART
	v_dot2_f32_f16 v38, v3, v7, v38
	;;#ASMEND
	global_load_u16 v36, v8, s[34:35] scale_offset
	v_cmp_ngt_f32_e64 s2, 0x3f200000, |v38|
	s_wait_xcnt 0x0
	s_and_saveexec_b32 s3, s2
	s_delay_alu instid0(SALU_CYCLE_1)
	s_xor_b32 s2, exec_lo, s3
	s_cbranch_execz .LBB64_11
; %bb.10:                               ;   in Loop: Header=BB64_9 Depth=1
	v_add_f32_e64 v0, |v38|, |v38|
	s_delay_alu instid0(VALU_DEP_1) | instskip(SKIP_1) | instid1(VALU_DEP_2)
	v_mul_f32_e32 v1, 0x3fb8aa3b, v0
	v_cmp_ngt_f32_e32 vcc_lo, 0xc2ce8ed0, v0
	v_rndne_f32_e32 v2, v1
	v_fma_f32 v3, 0x3fb8aa3b, v0, -v1
	s_delay_alu instid0(VALU_DEP_2) | instskip(NEXT) | instid1(VALU_DEP_2)
	v_sub_f32_e32 v1, v1, v2
	v_fmac_f32_e32 v3, 0x32a5705f, v0
	v_cvt_i32_f32_e32 v2, v2
	s_delay_alu instid0(VALU_DEP_2) | instskip(NEXT) | instid1(VALU_DEP_1)
	v_add_f32_e32 v1, v1, v3
	v_exp_f32_e32 v1, v1
	v_nop
	s_delay_alu instid0(TRANS32_DEP_1) | instskip(NEXT) | instid1(VALU_DEP_1)
	v_ldexp_f32 v1, v1, v2
	v_cndmask_b32_e32 v1, 0, v1, vcc_lo
	v_cmp_nlt_f32_e32 vcc_lo, 0x42b17218, v0
	s_delay_alu instid0(VALU_DEP_2) | instskip(NEXT) | instid1(VALU_DEP_1)
	v_cndmask_b32_e32 v0, 0x7f800000, v1, vcc_lo
	v_add_f32_e32 v0, 1.0, v0
	s_delay_alu instid0(VALU_DEP_1) | instskip(SKIP_1) | instid1(TRANS32_DEP_1)
	v_rcp_f32_e32 v0, v0
	v_nop
	v_fma_f32 v37, v0, -2.0, 1.0
.LBB64_11:                              ;   in Loop: Header=BB64_9 Depth=1
	s_and_not1_saveexec_b32 s2, s2
	s_cbranch_execz .LBB64_13
; %bb.12:                               ;   in Loop: Header=BB64_9 Depth=1
	v_mul_f32_e32 v0, v38, v38
	s_delay_alu instid0(VALU_DEP_1) | instskip(NEXT) | instid1(VALU_DEP_1)
	v_fmaak_f32 v1, s24, v0, 0x3ca908c9
	v_fmaak_f32 v1, v0, v1, 0xbd5c1c4e
	s_delay_alu instid0(VALU_DEP_1) | instskip(NEXT) | instid1(VALU_DEP_1)
	v_fmaak_f32 v1, v0, v1, 0x3e088382
	v_fmaak_f32 v1, v0, v1, 0xbeaaaa99
	s_delay_alu instid0(VALU_DEP_1) | instskip(NEXT) | instid1(VALU_DEP_1)
	v_mul_f32_e64 v1, |v38|, v1
	v_fma_f32 v37, v0, v1, |v38|
.LBB64_13:                              ;   in Loop: Header=BB64_9 Depth=1
	s_or_b32 exec_lo, exec_lo, s2
	s_mul_u64 s[2:3], s[4:5], s[10:11]
	s_wait_loadcnt 0x0
	s_lshl_b64 s[2:3], s[2:3], 2
	s_barrier_signal -1
	s_add_nc_u64 s[2:3], s[8:9], s[2:3]
	s_barrier_wait -1
	v_lshl_add_u64 v[2:3], v[90:91], 2, s[2:3]
	v_lshl_add_u64 v[4:5], v[94:95], 2, s[2:3]
	v_lshl_add_u64 v[0:1], v[84:85], 2, s[2:3]
	v_lshl_add_u64 v[10:11], v[102:103], 2, s[2:3]
	v_lshl_add_u64 v[12:13], v[104:105], 2, s[2:3]
	v_add_nc_u64_e32 v[6:7], v[2:3], v[78:79]
	v_lshl_add_u64 v[2:3], v[98:99], 2, s[2:3]
	v_add_nc_u64_e32 v[8:9], v[4:5], v[78:79]
	v_lshl_add_u64 v[4:5], v[100:101], 2, s[2:3]
	;; [unrolled: 2-line block ×3, first 2 shown]
	v_add_nc_u64_e32 v[16:17], v[2:3], v[78:79]
	v_add_nc_u64_e32 v[20:21], v[10:11], v[78:79]
	;; [unrolled: 1-line block ×5, first 2 shown]
	s_clause 0x7
	global_load_b128 v[0:3], v[0:1], off
	global_load_b128 v[4:7], v[6:7], off
	;; [unrolled: 1-line block ×8, first 2 shown]
	v_xor_b32_e32 v135, 16, v113
	v_bfi_b32 v37, 0x7fffffff, v37, v38
	v_add_nc_u32_e32 v65, 0x2800, v109
	v_add_nc_u32_e32 v64, 0x3000, v109
	;; [unrolled: 1-line block ×3, first 2 shown]
	v_xor_b32_e32 v137, 4, v113
	v_fma_mix_f32 v36, s36, v37, v36 op_sel_hi:[0,0,1]
	v_max_num_f32_e32 v37, v35, v35
	v_cmp_gt_i32_e32 vcc_lo, 32, v135
	v_xor_b32_e32 v139, 1, v113
	s_delay_alu instid0(VALU_DEP_4) | instskip(NEXT) | instid1(VALU_DEP_1)
	v_dual_add_f32 v39, 0x40051340, v36 :: v_dual_cndmask_b32 v38, v113, v135
	v_dual_max_num_f32 v37, v37, v39 :: v_dual_lshlrev_b32 v38, 2, v38
	ds_bpermute_b32 v38, v38, v37
	s_wait_dscnt 0x0
	v_dual_max_num_f32 v38, v38, v38 :: v_dual_bitop2_b32 v136, 8, v113 bitop3:0x14
	s_delay_alu instid0(VALU_DEP_1) | instskip(NEXT) | instid1(VALU_DEP_2)
	v_cmp_gt_i32_e32 vcc_lo, 32, v136
	v_max_num_f32_e32 v37, v37, v38
	v_cndmask_b32_e32 v39, v113, v136, vcc_lo
	v_cmp_gt_i32_e32 vcc_lo, 32, v137
	s_delay_alu instid0(VALU_DEP_2) | instskip(SKIP_3) | instid1(VALU_DEP_1)
	v_lshlrev_b32_e32 v39, 2, v39
	ds_bpermute_b32 v38, v39, v37
	s_wait_dscnt 0x0
	v_dual_cndmask_b32 v39, v113, v137 :: v_dual_max_num_f32 v38, v38, v38
	v_dual_lshlrev_b32 v39, 2, v39 :: v_dual_max_num_f32 v37, v37, v38
	ds_bpermute_b32 v38, v39, v37
	s_wait_dscnt 0x0
	v_dual_max_num_f32 v38, v38, v38 :: v_dual_bitop2_b32 v138, 2, v113 bitop3:0x14
	s_delay_alu instid0(VALU_DEP_1) | instskip(NEXT) | instid1(VALU_DEP_2)
	v_cmp_gt_i32_e32 vcc_lo, 32, v138
	v_max_num_f32_e32 v37, v37, v38
	v_cndmask_b32_e32 v39, v113, v138, vcc_lo
	v_cmp_gt_i32_e32 vcc_lo, 32, v139
	s_delay_alu instid0(VALU_DEP_2) | instskip(SKIP_3) | instid1(VALU_DEP_1)
	v_lshlrev_b32_e32 v39, 2, v39
	ds_bpermute_b32 v38, v39, v37
	s_wait_dscnt 0x0
	v_dual_cndmask_b32 v39, v113, v139 :: v_dual_max_num_f32 v38, v38, v38
	v_dual_lshlrev_b32 v39, 2, v39 :: v_dual_max_num_f32 v37, v37, v38
	ds_bpermute_b32 v38, v39, v37
	s_wait_dscnt 0x0
	v_max_num_f32_e32 v38, v38, v38
	s_delay_alu instid0(VALU_DEP_1) | instskip(NEXT) | instid1(VALU_DEP_1)
	v_max_num_f32_e32 v108, v37, v38
	v_sub_f32_e32 v36, v36, v108
	s_delay_alu instid0(VALU_DEP_1) | instskip(SKIP_3) | instid1(VALU_DEP_4)
	v_mul_f32_e32 v37, 0x3fb8aa3b, v36
	v_sub_f32_e32 v35, v35, v108
	v_cmp_ngt_f32_e32 vcc_lo, 0xc2ce8ed0, v36
	v_cmp_nlt_f32_e64 s3, 0x42b17218, v36
	v_rndne_f32_e32 v40, v37
	s_delay_alu instid0(VALU_DEP_4) | instskip(SKIP_1) | instid1(VALU_DEP_3)
	v_mul_f32_e32 v38, 0x3fb8aa3b, v35
	v_fma_f32 v39, 0x3fb8aa3b, v36, -v37
	v_sub_f32_e32 v37, v37, v40
	s_delay_alu instid0(VALU_DEP_3) | instskip(SKIP_1) | instid1(VALU_DEP_1)
	v_fma_f32 v41, 0x3fb8aa3b, v35, -v38
	v_rndne_f32_e32 v42, v38
	v_dual_sub_f32 v38, v38, v42 :: v_dual_fmac_f32 v41, 0x32a5705f, v35
	v_fmac_f32_e32 v39, 0x32a5705f, v36
	v_cmp_ngt_f32_e64 s2, 0xc2ce8ed0, v35
	s_delay_alu instid0(VALU_DEP_2) | instskip(SKIP_2) | instid1(VALU_DEP_3)
	v_dual_add_f32 v38, v38, v41 :: v_dual_add_f32 v37, v37, v39
	v_cvt_i32_f32_e32 v39, v40
	v_cvt_i32_f32_e32 v40, v42
	v_exp_f32_e32 v38, v38
	s_delay_alu instid0(VALU_DEP_3) | instskip(NEXT) | instid1(TRANS32_DEP_2)
	v_exp_f32_e32 v37, v37
	v_ldexp_f32 v36, v38, v40
	s_delay_alu instid0(TRANS32_DEP_1) | instskip(SKIP_1) | instid1(VALU_DEP_2)
	v_ldexp_f32 v37, v37, v39
	v_add_nc_u32_e32 v40, 0x800, v109
	v_cndmask_b32_e32 v37, 0, v37, vcc_lo
	v_cmp_nlt_f32_e32 vcc_lo, 0x42b17218, v35
	v_cndmask_b32_e64 v35, 0, v36, s2
	s_delay_alu instid0(VALU_DEP_3) | instskip(NEXT) | instid1(VALU_DEP_2)
	v_cndmask_b32_e64 v140, 0x7f800000, v37, s3
	v_cndmask_b32_e32 v35, 0x7f800000, v35, vcc_lo
	s_delay_alu instid0(VALU_DEP_2)
	v_cvt_f16_f32_e64 v36, v140
	ds_store_b16 v126, v36
	s_wait_loadcnt 0x7
	ds_store_b128 v127, v[0:3]
	s_wait_loadcnt 0x6
	ds_store_b128 v128, v[4:7]
	;; [unrolled: 2-line block ×8, first 2 shown]
	s_wait_dscnt 0x0
	s_barrier_signal -1
	s_barrier_wait -1
	ds_load_b128 v[6:9], v123
	v_cvt_f16_f32_e32 v37, v35
	ds_load_2addr_b64 v[10:13], v109 offset1:32
	v_fmac_f32_e32 v140, v34, v35
	v_add_nc_u32_e32 v4, 0x1000, v109
	v_add_nc_u32_e32 v5, 0x1800, v109
	v_and_b32_e32 v0, 0xffff, v37
	v_add_nc_u32_e32 v18, 0x2000, v109
	s_delay_alu instid0(VALU_DEP_2) | instskip(NEXT) | instid1(VALU_DEP_1)
	v_mul_u32_u24_e32 v19, 0x10001, v0
	v_pk_mul_f16 v50, v33, v19
	v_pk_mul_f16 v51, v32, v19
	ds_load_b128 v[36:39], v123 offset:16
	ds_load_b128 v[32:35], v123 offset:32
	;; [unrolled: 1-line block ×3, first 2 shown]
	ds_load_2addr_b64 v[14:17], v109 offset0:64 offset1:96
	ds_load_2addr_b64 v[46:49], v109 offset0:128 offset1:160
	ds_load_2addr_b64 v[142:145], v109 offset0:192 offset1:224
	ds_load_2addr_b64 v[146:149], v40 offset1:32
	ds_load_2addr_b64 v[150:153], v40 offset0:64 offset1:96
	ds_load_2addr_b64 v[154:157], v40 offset0:128 offset1:160
	;; [unrolled: 1-line block ×3, first 2 shown]
	ds_load_2addr_b64 v[24:27], v4 offset1:32
	s_wait_dscnt 0xc
	v_and_b32_e32 v28, 0xffff, v6
	s_delay_alu instid0(VALU_DEP_1)
	v_mul_u32_u24_e32 v56, 0x10001, v28
	ds_load_2addr_b64 v[28:31], v4 offset0:64 offset1:96
	ds_load_2addr_b64 v[40:43], v4 offset0:128 offset1:160
	;; [unrolled: 1-line block ×3, first 2 shown]
	v_lshrrev_b32_e32 v4, 16, v6
	ds_load_2addr_b64 v[60:63], v5 offset1:32
	ds_load_2addr_b64 v[68:71], v5 offset0:64 offset1:96
	s_wait_dscnt 0x10
	v_pk_mul_f16 v6, v10, v56
	v_pk_mul_f16 v11, v11, v56
	v_pk_fma_f16 v10, v12, v56, v50
	v_pk_fma_f16 v12, v13, v56, v51
	v_and_b32_e32 v13, 0xffff, v7
	v_mul_u32_u24_e32 v4, 0x10001, v4
	v_pk_fma_f16 v6, v45, v19, v6
	v_pk_fma_f16 v11, v44, v19, v11
	v_lshrrev_b32_e32 v7, 16, v7
	v_mul_u32_u24_e32 v13, 0x10001, v13
	s_wait_dscnt 0xc
	v_pk_fma_f16 v10, v16, v4, v10
	v_pk_fma_f16 v12, v17, v4, v12
	;; [unrolled: 1-line block ×4, first 2 shown]
	v_and_b32_e32 v11, 0xffff, v8
	s_wait_dscnt 0xb
	v_pk_fma_f16 v10, v48, v13, v10
	v_pk_fma_f16 v12, v49, v13, v12
	;; [unrolled: 1-line block ×4, first 2 shown]
	ds_load_2addr_b64 v[56:59], v5 offset0:128 offset1:160
	ds_load_2addr_b64 v[48:51], v5 offset0:192 offset1:224
	v_lshrrev_b32_e32 v5, 16, v8
	v_mul_u32_u24_e32 v7, 0x10001, v7
	v_mul_u32_u24_e32 v8, 0x10001, v11
	v_lshrrev_b32_e32 v19, 16, v9
	ds_load_2addr_b64 v[44:47], v18 offset1:32
	v_mul_u32_u24_e32 v13, 0x10001, v5
	s_wait_dscnt 0xd
	v_pk_fma_f16 v10, v144, v7, v10
	v_pk_fma_f16 v11, v145, v7, v12
	;; [unrolled: 1-line block ×4, first 2 shown]
	v_and_b32_e32 v12, 0xffff, v9
	s_wait_dscnt 0xc
	v_pk_fma_f16 v14, v148, v8, v10
	v_pk_fma_f16 v15, v149, v8, v11
	;; [unrolled: 1-line block ×4, first 2 shown]
	v_mul_u32_u24_e32 v66, 0x10001, v12
	s_wait_dscnt 0xb
	v_pk_fma_f16 v67, v152, v13, v14
	v_pk_fma_f16 v142, v153, v13, v15
	;; [unrolled: 1-line block ×4, first 2 shown]
	v_and_b32_e32 v143, 0xffff, v36
	v_mul_u32_u24_e32 v144, 0x10001, v19
	s_wait_dscnt 0xa
	v_pk_fma_f16 v67, v156, v66, v67
	v_pk_fma_f16 v142, v157, v66, v142
	;; [unrolled: 1-line block ×4, first 2 shown]
	v_lshrrev_b32_e32 v36, 16, v36
	v_mul_u32_u24_e32 v143, 0x10001, v143
	s_wait_dscnt 0x9
	v_pk_fma_f16 v67, v22, v144, v67
	v_pk_fma_f16 v142, v23, v144, v142
	;; [unrolled: 1-line block ×4, first 2 shown]
	v_and_b32_e32 v144, 0xffff, v37
	v_mul_u32_u24_e32 v36, 0x10001, v36
	s_wait_dscnt 0x8
	v_pk_fma_f16 v67, v26, v143, v67
	v_pk_fma_f16 v142, v27, v143, v142
	;; [unrolled: 1-line block ×4, first 2 shown]
	v_lshrrev_b32_e32 v37, 16, v37
	v_mul_u32_u24_e32 v143, 0x10001, v144
	s_wait_dscnt 0x7
	v_pk_fma_f16 v67, v30, v36, v67
	v_pk_fma_f16 v142, v31, v36, v142
	;; [unrolled: 1-line block ×4, first 2 shown]
	ds_load_2addr_b64 v[4:7], v18 offset0:64 offset1:96
	ds_load_2addr_b64 v[8:11], v18 offset0:128 offset1:160
	;; [unrolled: 1-line block ×3, first 2 shown]
	ds_load_2addr_b64 v[16:19], v65 offset1:32
	ds_load_2addr_b64 v[20:23], v65 offset0:64 offset1:96
	ds_load_2addr_b64 v[24:27], v65 offset0:128 offset1:160
	;; [unrolled: 1-line block ×3, first 2 shown]
	v_and_b32_e32 v65, 0xffff, v38
	s_wait_dscnt 0xd
	v_pk_fma_f16 v66, v42, v143, v67
	v_pk_fma_f16 v67, v43, v143, v142
	;; [unrolled: 1-line block ×4, first 2 shown]
	v_lshrrev_b32_e32 v144, 16, v39
	v_mul_u32_u24_e32 v37, 0x10001, v37
	v_mul_u32_u24_e32 v65, 0x10001, v65
	v_and_b32_e32 v39, 0xffff, v39
	v_and_b32_e32 v145, 0xffff, v32
	v_mul_u32_u24_e32 v144, 0x10001, v144
	s_wait_dscnt 0xc
	v_pk_fma_f16 v66, v54, v37, v66
	v_pk_fma_f16 v67, v55, v37, v67
	;; [unrolled: 1-line block ×4, first 2 shown]
	v_lshrrev_b32_e32 v37, 16, v38
	s_wait_dscnt 0xb
	v_pk_fma_f16 v38, v62, v65, v66
	v_pk_fma_f16 v143, v63, v65, v67
	;; [unrolled: 1-line block ×4, first 2 shown]
	v_mul_u32_u24_e32 v37, 0x10001, v37
	v_lshrrev_b32_e32 v146, 16, v32
	ds_load_2addr_b64 v[40:43], v64 offset1:32
	ds_load_2addr_b64 v[52:55], v64 offset0:64 offset1:96
	ds_load_2addr_b64 v[60:63], v64 offset0:128 offset1:160
	ds_load_2addr_b64 v[64:67], v64 offset0:192 offset1:224
	s_wait_dscnt 0xe
	v_pk_fma_f16 v38, v70, v37, v38
	v_pk_fma_f16 v70, v71, v37, v143
	;; [unrolled: 1-line block ×4, first 2 shown]
	v_mul_u32_u24_e32 v37, 0x10001, v39
	v_and_b32_e32 v147, 0xffff, v33
	v_dual_lshrrev_b32 v69, 16, v33 :: v_dual_lshrrev_b32 v71, 16, v34
	v_lshrrev_b32_e32 v142, 16, v35
	s_wait_dscnt 0xd
	v_pk_fma_f16 v58, v58, v37, v38
	v_pk_fma_f16 v59, v59, v37, v70
	;; [unrolled: 1-line block ×4, first 2 shown]
	v_mul_u32_u24_e32 v68, 0x10001, v145
	s_wait_dscnt 0xc
	v_pk_fma_f16 v58, v50, v144, v58
	v_pk_fma_f16 v59, v51, v144, v59
	;; [unrolled: 1-line block ×4, first 2 shown]
	v_and_b32_e32 v143, 0xffff, v34
	v_and_b32_e32 v148, 0xffff, v35
	ds_load_2addr_b64 v[32:35], v141 offset1:32
	ds_load_2addr_b64 v[36:39], v141 offset0:64 offset1:96
	ds_load_2addr_b64 v[48:51], v141 offset0:128 offset1:160
	v_dual_lshrrev_b32 v70, 16, v0 :: v_dual_lshrrev_b32 v144, 16, v1
	s_wait_dscnt 0xe
	v_pk_fma_f16 v46, v46, v68, v58
	v_pk_fma_f16 v47, v47, v68, v59
	;; [unrolled: 1-line block ×4, first 2 shown]
	v_dual_lshrrev_b32 v56, 16, v2 :: v_dual_lshrrev_b32 v57, 16, v3
	v_and_b32_e32 v58, 0xffff, v0
	v_and_b32_e32 v59, 0xffff, v1
	v_and_b32_e32 v68, 0xffff, v2
	v_and_b32_e32 v145, 0xffff, v3
	ds_load_2addr_b64 v[0:3], v141 offset0:192 offset1:224
	v_mul_u32_u24_e32 v141, 0x10001, v146
	v_mul_u32_u24_e32 v146, 0x10001, v147
	s_wait_dscnt 0x0
	s_barrier_signal -1
	s_barrier_wait -1
	v_pk_fma_f16 v6, v6, v141, v46
	v_pk_fma_f16 v7, v7, v141, v47
	v_pk_fma_f16 v4, v4, v141, v44
	v_pk_fma_f16 v5, v5, v141, v45
	v_mul_u32_u24_e32 v44, 0x10001, v69
	v_pk_fma_f16 v6, v10, v146, v6
	v_pk_fma_f16 v7, v11, v146, v7
	v_pk_fma_f16 v4, v8, v146, v4
	v_pk_fma_f16 v5, v9, v146, v5
	v_mul_u32_u24_e32 v8, 0x10001, v143
	;; [unrolled: 5-line block ×9, first 2 shown]
	v_pk_fma_f16 v6, v62, v8, v6
	v_pk_fma_f16 v7, v63, v8, v7
	;; [unrolled: 1-line block ×4, first 2 shown]
	s_load_b32 s2, s[20:21], 0x4
	v_mul_u32_u24_e32 v8, 0x10001, v68
	v_pk_fma_f16 v6, v66, v9, v6
	v_pk_fma_f16 v7, v67, v9, v7
	v_pk_fma_f16 v4, v64, v9, v4
	v_pk_fma_f16 v5, v65, v9, v5
	v_mul_u32_u24_e32 v9, 0x10001, v56
	v_pk_fma_f16 v6, v34, v8, v6
	v_pk_fma_f16 v7, v35, v8, v7
	v_pk_fma_f16 v4, v32, v8, v4
	v_pk_fma_f16 v5, v33, v8, v5
	v_mul_u32_u24_e32 v8, 0x10001, v145
	v_pk_fma_f16 v6, v38, v9, v6
	v_pk_fma_f16 v7, v39, v9, v7
	v_pk_fma_f16 v4, v36, v9, v4
	v_pk_fma_f16 v5, v37, v9, v5
	v_mul_u32_u24_e32 v9, 0x10001, v57
	v_pk_fma_f16 v6, v50, v8, v6
	v_pk_fma_f16 v7, v51, v8, v7
	v_pk_fma_f16 v4, v48, v8, v4
	v_pk_fma_f16 v5, v49, v8, v5
	s_wait_kmcnt 0x0
	s_lshl_b32 s2, s2, 5
	v_pk_fma_f16 v33, v2, v9, v6
	v_pk_fma_f16 v32, v3, v9, v7
	;; [unrolled: 1-line block ×4, first 2 shown]
	s_add_co_i32 s4, s2, s4
	s_delay_alu instid0(SALU_CYCLE_1)
	s_cmp_ge_i32 s4, s30
	s_cbranch_scc1 .LBB64_15
; %bb.14:                               ;   in Loop: Header=BB64_9 Depth=1
	v_dual_mov_b32 v35, v108 :: v_dual_mov_b32 v34, v140
	s_branch .LBB64_9
.LBB64_15:
	v_mov_b32_e32 v3, v113
.LBB64_16:
	v_cmp_lt_i32_e32 vcc_lo, v135, v116
	s_cmp_lg_u64 s[12:13], 0
	s_cselect_b32 s2, -1, 0
	s_cmp_eq_u32 s31, 0
	v_cndmask_b32_e32 v0, v3, v135, vcc_lo
	v_cmp_lt_i32_e32 vcc_lo, v136, v116
	s_cselect_b32 s3, -1, 0
	s_delay_alu instid0(SALU_CYCLE_1) | instskip(SKIP_3) | instid1(VALU_DEP_3)
	s_and_b32 s2, s3, s2
	v_cndmask_b32_e32 v1, v3, v136, vcc_lo
	v_lshlrev_b32_e32 v0, 2, v0
	v_cmp_lt_i32_e32 vcc_lo, v137, v116
	v_lshlrev_b32_e32 v1, 2, v1
	ds_bpermute_b32 v0, v0, v140
	v_cndmask_b32_e32 v2, v3, v137, vcc_lo
	v_cmp_lt_i32_e32 vcc_lo, v138, v116
	s_wait_dscnt 0x0
	v_add_f32_e32 v0, v140, v0
	ds_bpermute_b32 v1, v1, v0
	s_wait_dscnt 0x0
	v_dual_lshlrev_b32 v2, 2, v2 :: v_dual_add_f32 v0, v0, v1
	ds_bpermute_b32 v1, v2, v0
	v_cndmask_b32_e32 v2, v3, v138, vcc_lo
	v_cmp_lt_i32_e32 vcc_lo, v139, v116
	s_wait_dscnt 0x0
	s_delay_alu instid0(VALU_DEP_2) | instskip(SKIP_4) | instid1(VALU_DEP_1)
	v_dual_add_f32 v0, v0, v1 :: v_dual_lshlrev_b32 v2, 2, v2
	ds_bpermute_b32 v1, v2, v0
	s_wait_dscnt 0x0
	v_dual_add_f32 v0, v0, v1 :: v_dual_cndmask_b32 v2, v3, v139, vcc_lo
	s_and_b32 vcc_lo, exec_lo, s2
	v_lshlrev_b32_e32 v2, 2, v2
	ds_bpermute_b32 v1, v2, v0
	s_wait_dscnt 0x0
	v_dual_add_f32 v109, v0, v1 :: v_dual_add_nc_u32 v2, s33, v72
	s_cbranch_vccz .LBB64_18
; %bb.17:
	global_load_b32 v1, v2, s[12:13] scale_offset
	s_wait_loadcnt 0x0
	v_dual_max_num_f32 v0, v108, v108 :: v_dual_max_num_f32 v3, v1, v1
	s_delay_alu instid0(VALU_DEP_1) | instskip(NEXT) | instid1(VALU_DEP_1)
	v_max_num_f32_e32 v0, v0, v3
	v_sub_f32_e32 v3, v108, v0
	s_delay_alu instid0(VALU_DEP_1) | instskip(NEXT) | instid1(VALU_DEP_1)
	v_mul_f32_e32 v4, 0x3fb8aa3b, v3
	v_fma_f32 v5, 0x3fb8aa3b, v3, -v4
	s_delay_alu instid0(VALU_DEP_1) | instskip(SKIP_2) | instid1(VALU_DEP_2)
	v_fmac_f32_e32 v5, 0x32a5705f, v3
	v_sub_f32_e32 v1, v1, v0
	v_cmp_ngt_f32_e32 vcc_lo, 0xc2ce8ed0, v3
	v_mul_f32_e32 v7, 0x3fb8aa3b, v1
	v_rndne_f32_e32 v6, v4
	s_delay_alu instid0(VALU_DEP_2) | instskip(NEXT) | instid1(VALU_DEP_2)
	v_rndne_f32_e32 v8, v7
	v_sub_f32_e32 v4, v4, v6
	v_cvt_i32_f32_e32 v6, v6
	s_delay_alu instid0(VALU_DEP_2) | instskip(SKIP_2) | instid1(VALU_DEP_3)
	v_add_f32_e32 v4, v4, v5
	v_fma_f32 v5, 0x3fb8aa3b, v1, -v7
	v_sub_f32_e32 v7, v7, v8
	v_exp_f32_e32 v4, v4
	s_delay_alu instid0(VALU_DEP_2) | instskip(NEXT) | instid1(TRANS32_DEP_1)
	v_fmac_f32_e32 v5, 0x32a5705f, v1
	v_ldexp_f32 v4, v4, v6
	s_delay_alu instid0(VALU_DEP_2) | instskip(SKIP_1) | instid1(VALU_DEP_3)
	v_add_f32_e32 v5, v7, v5
	v_cvt_i32_f32_e32 v6, v8
	v_cndmask_b32_e32 v4, 0, v4, vcc_lo
	s_delay_alu instid0(VALU_DEP_3) | instskip(SKIP_1) | instid1(VALU_DEP_2)
	v_exp_f32_e32 v5, v5
	v_cmp_nlt_f32_e32 vcc_lo, 0x42b17218, v3
	v_cndmask_b32_e32 v3, 0x7f800000, v4, vcc_lo
	s_delay_alu instid0(TRANS32_DEP_1) | instskip(SKIP_1) | instid1(VALU_DEP_3)
	v_ldexp_f32 v4, v5, v6
	v_cmp_ngt_f32_e32 vcc_lo, 0xc2ce8ed0, v1
	v_cvt_f16_f32_e32 v5, v3
	s_delay_alu instid0(VALU_DEP_3) | instskip(SKIP_1) | instid1(VALU_DEP_3)
	v_cndmask_b32_e32 v4, 0, v4, vcc_lo
	v_cmp_nlt_f32_e32 vcc_lo, 0x42b17218, v1
	v_and_b32_e32 v5, 0xffff, v5
	s_delay_alu instid0(VALU_DEP_3) | instskip(NEXT) | instid1(VALU_DEP_2)
	v_cndmask_b32_e32 v1, 0x7f800000, v4, vcc_lo
	v_mul_u32_u24_e32 v4, 0x10001, v5
	s_delay_alu instid0(VALU_DEP_2) | instskip(NEXT) | instid1(VALU_DEP_2)
	v_fmac_f32_e32 v1, v109, v3
	v_pk_mul_f16 v45, v45, v4
	v_pk_mul_f16 v44, v44, v4
	;; [unrolled: 1-line block ×3, first 2 shown]
	s_delay_alu instid0(VALU_DEP_4)
	v_mov_b64_e32 v[108:109], v[0:1]
	v_pk_mul_f16 v32, v32, v4
	s_branch .LBB64_19
.LBB64_18:
	s_delay_alu instid0(VALU_DEP_1)
	v_mov_b32_e32 v1, v109
.LBB64_19:
	s_delay_alu instid0(VALU_DEP_1) | instskip(SKIP_3) | instid1(VALU_DEP_3)
	v_div_scale_f32 v5, null, v1, v1, 1.0
	v_mad_u32 v0, s28, s22, v110
	s_load_b32 s1, s[0:1], 0xd4
	v_div_scale_f32 v8, vcc_lo, 1.0, v1, 1.0
	v_rcp_f32_e32 v7, v5
	v_dual_lshrrev_b32 v16, 16, v33 :: v_dual_lshrrev_b32 v17, 16, v32
	v_cvt_f32_f16_e32 v4, v45
	v_cvt_f32_f16_e32 v6, v44
	;; [unrolled: 1-line block ×3, first 2 shown]
	s_wait_xcnt 0x0
	v_cmp_eq_u32_e64 s0, 0, v111
	v_fma_f32 v3, -v5, v7, 1.0
	v_mad_u32 v0, v0, s23, v2
	s_delay_alu instid0(VALU_DEP_2) | instskip(NEXT) | instid1(VALU_DEP_1)
	v_dual_fmac_f32 v7, v3, v7 :: v_dual_mov_b32 v3, 0
	v_mul_f32_e32 v9, v8, v7
	s_wait_kmcnt 0x0
	s_cmp_lg_u32 s1, 1
	s_delay_alu instid0(VALU_DEP_3) | instskip(SKIP_4) | instid1(VALU_DEP_2)
	v_mad_u32 v0, s1, v0, s31
	s_cselect_b32 s1, -1, 0
	v_fma_f32 v2, -v5, v9, v8
	v_lshrrev_b32_e32 v11, 16, v45
	s_and_b32 s0, s0, s1
	v_dual_fmac_f32 v9, v2, v7 :: v_dual_lshrrev_b32 v15, 16, v44
	s_delay_alu instid0(VALU_DEP_1) | instskip(NEXT) | instid1(VALU_DEP_3)
	v_fma_f32 v2, -v5, v9, v8
	v_cvt_f32_f16_e32 v5, v11
	v_cvt_f32_f16_e32 v8, v33
	;; [unrolled: 1-line block ×3, first 2 shown]
	s_delay_alu instid0(VALU_DEP_4) | instskip(SKIP_2) | instid1(VALU_DEP_3)
	v_div_fmas_f32 v7, v2, v7, v9
	v_lshl_add_u32 v2, v0, 8, v73
	v_cvt_f32_f16_e32 v9, v16
	v_div_fixup_f32 v1, v7, v1, 1.0
	s_delay_alu instid0(VALU_DEP_3) | instskip(SKIP_2) | instid1(VALU_DEP_4)
	v_lshl_add_u64 v[12:13], v[2:3], 2, s[16:17]
	v_add_nc_u32_e32 v2, 0x80, v2
	v_cvt_f32_f16_e32 v7, v15
	v_cndmask_b32_e64 v14, v1, 1.0, s1
	s_delay_alu instid0(VALU_DEP_3) | instskip(NEXT) | instid1(VALU_DEP_2)
	v_lshl_add_u64 v[16:17], v[2:3], 2, s[16:17]
	v_pk_mul_f32 v[2:3], v[14:15], v[4:5] op_sel_hi:[0,1]
	s_delay_alu instid0(VALU_DEP_4)
	v_pk_mul_f32 v[4:5], v[14:15], v[6:7] op_sel_hi:[0,1]
	v_pk_mul_f32 v[6:7], v[14:15], v[8:9] op_sel_hi:[0,1]
	;; [unrolled: 1-line block ×3, first 2 shown]
	s_clause 0x1
	global_store_b128 v[12:13], v[2:5], off
	global_store_b128 v[16:17], v[6:9], off
	s_wait_xcnt 0x0
	s_and_saveexec_b32 s1, s0
	s_cbranch_execz .LBB64_21
; %bb.20:
	global_store_b64 v0, v[108:109], s[18:19] scale_offset
.LBB64_21:
	s_sendmsg sendmsg(MSG_DEALLOC_VGPRS)
	s_endpgm
	.section	.rodata,"a",@progbits
	.p2align	6, 0x0
	.amdhsa_kernel _ZL15flash_attn_tileILi256ELi256ELi1ELi4ELb1EEvPKcS1_S1_S1_S1_PKiPfP15HIP_vector_typeIfLj2EEffffjfiS5_IjLj3EEiiiiiiiiiiiliiliiiiil
		.amdhsa_group_segment_fixed_size 19200
		.amdhsa_private_segment_fixed_size 0
		.amdhsa_kernarg_size 464
		.amdhsa_user_sgpr_count 2
		.amdhsa_user_sgpr_dispatch_ptr 0
		.amdhsa_user_sgpr_queue_ptr 0
		.amdhsa_user_sgpr_kernarg_segment_ptr 1
		.amdhsa_user_sgpr_dispatch_id 0
		.amdhsa_user_sgpr_kernarg_preload_length 0
		.amdhsa_user_sgpr_kernarg_preload_offset 0
		.amdhsa_user_sgpr_private_segment_size 0
		.amdhsa_wavefront_size32 1
		.amdhsa_uses_dynamic_stack 0
		.amdhsa_enable_private_segment 0
		.amdhsa_system_sgpr_workgroup_id_x 1
		.amdhsa_system_sgpr_workgroup_id_y 1
		.amdhsa_system_sgpr_workgroup_id_z 1
		.amdhsa_system_sgpr_workgroup_info 0
		.amdhsa_system_vgpr_workitem_id 1
		.amdhsa_next_free_vgpr 158
		.amdhsa_next_free_sgpr 43
		.amdhsa_named_barrier_count 0
		.amdhsa_reserve_vcc 1
		.amdhsa_float_round_mode_32 0
		.amdhsa_float_round_mode_16_64 0
		.amdhsa_float_denorm_mode_32 3
		.amdhsa_float_denorm_mode_16_64 3
		.amdhsa_fp16_overflow 0
		.amdhsa_memory_ordered 1
		.amdhsa_forward_progress 1
		.amdhsa_inst_pref_size 54
		.amdhsa_round_robin_scheduling 0
		.amdhsa_exception_fp_ieee_invalid_op 0
		.amdhsa_exception_fp_denorm_src 0
		.amdhsa_exception_fp_ieee_div_zero 0
		.amdhsa_exception_fp_ieee_overflow 0
		.amdhsa_exception_fp_ieee_underflow 0
		.amdhsa_exception_fp_ieee_inexact 0
		.amdhsa_exception_int_div_zero 0
	.end_amdhsa_kernel
	.section	.text._ZL15flash_attn_tileILi256ELi256ELi1ELi4ELb1EEvPKcS1_S1_S1_S1_PKiPfP15HIP_vector_typeIfLj2EEffffjfiS5_IjLj3EEiiiiiiiiiiiliiliiiiil,"axG",@progbits,_ZL15flash_attn_tileILi256ELi256ELi1ELi4ELb1EEvPKcS1_S1_S1_S1_PKiPfP15HIP_vector_typeIfLj2EEffffjfiS5_IjLj3EEiiiiiiiiiiiliiliiiiil,comdat
.Lfunc_end64:
	.size	_ZL15flash_attn_tileILi256ELi256ELi1ELi4ELb1EEvPKcS1_S1_S1_S1_PKiPfP15HIP_vector_typeIfLj2EEffffjfiS5_IjLj3EEiiiiiiiiiiiliiliiiiil, .Lfunc_end64-_ZL15flash_attn_tileILi256ELi256ELi1ELi4ELb1EEvPKcS1_S1_S1_S1_PKiPfP15HIP_vector_typeIfLj2EEffffjfiS5_IjLj3EEiiiiiiiiiiiliiliiiiil
                                        ; -- End function
	.set _ZL15flash_attn_tileILi256ELi256ELi1ELi4ELb1EEvPKcS1_S1_S1_S1_PKiPfP15HIP_vector_typeIfLj2EEffffjfiS5_IjLj3EEiiiiiiiiiiiliiliiiiil.num_vgpr, 158
	.set _ZL15flash_attn_tileILi256ELi256ELi1ELi4ELb1EEvPKcS1_S1_S1_S1_PKiPfP15HIP_vector_typeIfLj2EEffffjfiS5_IjLj3EEiiiiiiiiiiiliiliiiiil.num_agpr, 0
	.set _ZL15flash_attn_tileILi256ELi256ELi1ELi4ELb1EEvPKcS1_S1_S1_S1_PKiPfP15HIP_vector_typeIfLj2EEffffjfiS5_IjLj3EEiiiiiiiiiiiliiliiiiil.numbered_sgpr, 43
	.set _ZL15flash_attn_tileILi256ELi256ELi1ELi4ELb1EEvPKcS1_S1_S1_S1_PKiPfP15HIP_vector_typeIfLj2EEffffjfiS5_IjLj3EEiiiiiiiiiiiliiliiiiil.num_named_barrier, 0
	.set _ZL15flash_attn_tileILi256ELi256ELi1ELi4ELb1EEvPKcS1_S1_S1_S1_PKiPfP15HIP_vector_typeIfLj2EEffffjfiS5_IjLj3EEiiiiiiiiiiiliiliiiiil.private_seg_size, 0
	.set _ZL15flash_attn_tileILi256ELi256ELi1ELi4ELb1EEvPKcS1_S1_S1_S1_PKiPfP15HIP_vector_typeIfLj2EEffffjfiS5_IjLj3EEiiiiiiiiiiiliiliiiiil.uses_vcc, 1
	.set _ZL15flash_attn_tileILi256ELi256ELi1ELi4ELb1EEvPKcS1_S1_S1_S1_PKiPfP15HIP_vector_typeIfLj2EEffffjfiS5_IjLj3EEiiiiiiiiiiiliiliiiiil.uses_flat_scratch, 0
	.set _ZL15flash_attn_tileILi256ELi256ELi1ELi4ELb1EEvPKcS1_S1_S1_S1_PKiPfP15HIP_vector_typeIfLj2EEffffjfiS5_IjLj3EEiiiiiiiiiiiliiliiiiil.has_dyn_sized_stack, 0
	.set _ZL15flash_attn_tileILi256ELi256ELi1ELi4ELb1EEvPKcS1_S1_S1_S1_PKiPfP15HIP_vector_typeIfLj2EEffffjfiS5_IjLj3EEiiiiiiiiiiiliiliiiiil.has_recursion, 0
	.set _ZL15flash_attn_tileILi256ELi256ELi1ELi4ELb1EEvPKcS1_S1_S1_S1_PKiPfP15HIP_vector_typeIfLj2EEffffjfiS5_IjLj3EEiiiiiiiiiiiliiliiiiil.has_indirect_call, 0
	.section	.AMDGPU.csdata,"",@progbits
; Kernel info:
; codeLenInByte = 6856
; TotalNumSgprs: 45
; NumVgprs: 158
; ScratchSize: 0
; MemoryBound: 0
; FloatMode: 240
; IeeeMode: 1
; LDSByteSize: 19200 bytes/workgroup (compile time only)
; SGPRBlocks: 0
; VGPRBlocks: 9
; NumSGPRsForWavesPerEU: 45
; NumVGPRsForWavesPerEU: 158
; NamedBarCnt: 0
; Occupancy: 6
; WaveLimiterHint : 1
; COMPUTE_PGM_RSRC2:SCRATCH_EN: 0
; COMPUTE_PGM_RSRC2:USER_SGPR: 2
; COMPUTE_PGM_RSRC2:TRAP_HANDLER: 0
; COMPUTE_PGM_RSRC2:TGID_X_EN: 1
; COMPUTE_PGM_RSRC2:TGID_Y_EN: 1
; COMPUTE_PGM_RSRC2:TGID_Z_EN: 1
; COMPUTE_PGM_RSRC2:TIDIG_COMP_CNT: 1
	.section	.text._ZL15flash_attn_tileILi256ELi256ELi16ELi2ELb1EEvPKcS1_S1_S1_S1_PKiPfP15HIP_vector_typeIfLj2EEffffjfiS5_IjLj3EEiiiiiiiiiiiliiliiiiil,"axG",@progbits,_ZL15flash_attn_tileILi256ELi256ELi16ELi2ELb1EEvPKcS1_S1_S1_S1_PKiPfP15HIP_vector_typeIfLj2EEffffjfiS5_IjLj3EEiiiiiiiiiiiliiliiiiil,comdat
	.globl	_ZL15flash_attn_tileILi256ELi256ELi16ELi2ELb1EEvPKcS1_S1_S1_S1_PKiPfP15HIP_vector_typeIfLj2EEffffjfiS5_IjLj3EEiiiiiiiiiiiliiliiiiil ; -- Begin function _ZL15flash_attn_tileILi256ELi256ELi16ELi2ELb1EEvPKcS1_S1_S1_S1_PKiPfP15HIP_vector_typeIfLj2EEffffjfiS5_IjLj3EEiiiiiiiiiiiliiliiiiil
	.p2align	8
	.type	_ZL15flash_attn_tileILi256ELi256ELi16ELi2ELb1EEvPKcS1_S1_S1_S1_PKiPfP15HIP_vector_typeIfLj2EEffffjfiS5_IjLj3EEiiiiiiiiiiiliiliiiiil,@function
_ZL15flash_attn_tileILi256ELi256ELi16ELi2ELb1EEvPKcS1_S1_S1_S1_PKiPfP15HIP_vector_typeIfLj2EEffffjfiS5_IjLj3EEiiiiiiiiiiiliiliiiiil: ; @_ZL15flash_attn_tileILi256ELi256ELi16ELi2ELb1EEvPKcS1_S1_S1_S1_PKiPfP15HIP_vector_typeIfLj2EEffffjfiS5_IjLj3EEiiiiiiiiiiiliiliiiiil
; %bb.0:
	s_clause 0x1
	s_load_b128 s[20:23], s[0:1], 0x5c
	s_load_b64 s[30:31], s[0:1], 0x80
	s_bfe_u32 s5, ttmp6, 0x40014
	s_lshr_b32 s4, ttmp7, 16
	s_add_co_i32 s5, s5, 1
	s_bfe_u32 s6, ttmp6, 0x40008
	s_mul_i32 s5, s4, s5
	s_getreg_b32 s24, hwreg(HW_REG_IB_STS2, 6, 4)
	s_add_co_i32 s6, s6, s5
	s_load_b64 s[38:39], s[0:1], 0xb8
	s_mov_b32 s37, 0
	s_mov_b64 s[34:35], 0
	s_wait_kmcnt 0x0
	s_lshr_b32 s2, s23, 31
	s_delay_alu instid0(SALU_CYCLE_1) | instskip(NEXT) | instid1(SALU_CYCLE_1)
	s_add_co_i32 s2, s23, s2
	s_ashr_i32 s2, s2, 1
	s_delay_alu instid0(SALU_CYCLE_1) | instskip(SKIP_1) | instid1(SALU_CYCLE_2)
	s_cvt_f32_u32 s3, s2
	s_sub_co_i32 s7, 0, s2
	v_rcp_iflag_f32_e32 v1, s3
	v_nop
	s_delay_alu instid0(TRANS32_DEP_1) | instskip(SKIP_1) | instid1(SALU_CYCLE_3)
	v_readfirstlane_b32 s3, v1
	s_mul_f32 s3, s3, 0x4f7ffffe
	s_cvt_u32_f32 s3, s3
	s_delay_alu instid0(SALU_CYCLE_3) | instskip(NEXT) | instid1(SALU_CYCLE_1)
	s_mul_i32 s7, s7, s3
	s_mul_hi_u32 s7, s3, s7
	s_delay_alu instid0(SALU_CYCLE_1) | instskip(SKIP_2) | instid1(SALU_CYCLE_1)
	s_add_co_i32 s3, s3, s7
	s_cmp_eq_u32 s24, 0
	s_cselect_b32 s4, s4, s6
	s_mul_hi_u32 s3, s4, s3
	s_delay_alu instid0(SALU_CYCLE_1) | instskip(SKIP_2) | instid1(SALU_CYCLE_1)
	s_mul_i32 s5, s3, s2
	s_add_co_i32 s6, s3, 1
	s_sub_co_i32 s5, s4, s5
	s_sub_co_i32 s7, s5, s2
	s_cmp_ge_u32 s5, s2
	s_cselect_b32 s3, s6, s3
	s_cselect_b32 s5, s7, s5
	s_add_co_i32 s6, s3, 1
	s_cmp_ge_u32 s5, s2
	s_cselect_b32 s28, s6, s3
	s_abs_i32 s3, s31
	s_lshl_b32 s4, s4, 1
	s_cvt_f32_u32 s2, s3
	s_sub_co_i32 s5, 0, s3
	s_mul_i32 s6, s28, s23
	s_abs_i32 s7, s23
	v_rcp_iflag_f32_e32 v1, s2
	v_nop
	s_delay_alu instid0(TRANS32_DEP_1) | instskip(SKIP_1) | instid1(SALU_CYCLE_3)
	v_readfirstlane_b32 s2, v1
	s_mul_f32 s2, s2, 0x4f7ffffe
	s_cvt_u32_f32 s2, s2
	s_delay_alu instid0(SALU_CYCLE_3) | instskip(NEXT) | instid1(SALU_CYCLE_1)
	s_mul_i32 s5, s5, s2
	s_mul_hi_u32 s5, s2, s5
	s_delay_alu instid0(SALU_CYCLE_1)
	s_add_co_i32 s5, s2, s5
	s_sub_co_i32 s2, s4, s6
	s_mul_hi_u32 s4, s7, s5
	s_xor_b32 s5, s23, s31
	s_mul_i32 s6, s4, s3
	s_ashr_i32 s25, s5, 31
	s_sub_co_i32 s5, s7, s6
	s_add_co_i32 s6, s4, 1
	s_sub_co_i32 s7, s5, s3
	s_cmp_ge_u32 s5, s3
	s_cselect_b32 s4, s6, s4
	s_cselect_b32 s5, s7, s5
	s_add_co_i32 s6, s4, 1
	s_cmp_ge_u32 s5, s3
	s_cselect_b32 s3, s6, s4
	s_load_b512 s[4:19], s[0:1], 0x0
	s_xor_b32 s3, s3, s25
	s_delay_alu instid0(SALU_CYCLE_1) | instskip(NEXT) | instid1(SALU_CYCLE_1)
	s_sub_co_i32 s3, s3, s25
	s_abs_i32 s40, s3
	s_delay_alu instid0(SALU_CYCLE_1) | instskip(NEXT) | instid1(SALU_CYCLE_3)
	s_cvt_f32_u32 s25, s40
	v_rcp_iflag_f32_e32 v1, s25
	v_nop
	s_delay_alu instid0(TRANS32_DEP_1)
	v_readfirstlane_b32 s29, v1
	s_wait_kmcnt 0x0
	s_cmp_eq_u64 s[10:11], 0
	s_cbranch_scc1 .LBB65_2
; %bb.1:
	s_abs_i32 s25, s38
	s_abs_i32 s31, s28
	s_cvt_f32_u32 s26, s25
	s_sub_co_i32 s27, 0, s25
	s_delay_alu instid0(SALU_CYCLE_2) | instskip(SKIP_1) | instid1(TRANS32_DEP_1)
	v_rcp_iflag_f32_e32 v1, s26
	v_nop
	v_readfirstlane_b32 s26, v1
	s_mul_f32 s26, s26, 0x4f7ffffe
	s_delay_alu instid0(SALU_CYCLE_3) | instskip(NEXT) | instid1(SALU_CYCLE_3)
	s_cvt_u32_f32 s26, s26
	s_mul_i32 s27, s27, s26
	s_delay_alu instid0(SALU_CYCLE_1) | instskip(NEXT) | instid1(SALU_CYCLE_1)
	s_mul_hi_u32 s27, s26, s27
	s_add_co_i32 s26, s26, s27
	s_delay_alu instid0(SALU_CYCLE_1) | instskip(SKIP_2) | instid1(SALU_CYCLE_1)
	s_mul_hi_u32 s33, s31, s26
	s_load_b64 s[26:27], s[0:1], 0xc8
	s_mul_i32 s33, s33, s25
	s_sub_co_i32 s31, s31, s33
	s_ashr_i32 s33, s28, 31
	s_sub_co_i32 s34, s31, s25
	s_cmp_ge_u32 s31, s25
	s_cselect_b32 s31, s34, s31
	s_delay_alu instid0(SALU_CYCLE_1) | instskip(SKIP_2) | instid1(SALU_CYCLE_1)
	s_sub_co_i32 s34, s31, s25
	s_cmp_ge_u32 s31, s25
	s_cselect_b32 s25, s34, s31
	s_xor_b32 s25, s25, s33
	s_delay_alu instid0(SALU_CYCLE_1) | instskip(NEXT) | instid1(SALU_CYCLE_1)
	s_sub_co_i32 s34, s25, s33
	s_ashr_i32 s35, s34, 31
	s_wait_kmcnt 0x0
	s_mul_u64 s[26:27], s[26:27], s[34:35]
	s_delay_alu instid0(SALU_CYCLE_1)
	s_add_nc_u64 s[34:35], s[10:11], s[26:27]
.LBB65_2:
	v_bfe_u32 v1, v0, 10, 10
	s_bfe_u32 s10, ttmp6, 0x4000c
	s_and_b32 s11, ttmp6, 15
	s_add_co_i32 s10, s10, 1
	s_load_b96 s[44:46], s[0:1], 0x70
	v_lshlrev_b32_e32 v2, 2, v1
	s_mul_i32 s10, ttmp9, s10
	v_and_b32_e32 v98, 0x3ff, v0
	s_add_co_i32 s11, s11, s10
	s_cmp_eq_u32 s24, 0
	v_dual_lshlrev_b32 v97, 1, v1 :: v_dual_bitop2_b32 v40, 2, v2 bitop3:0x54
	s_cselect_b32 s10, ttmp9, s11
	v_lshlrev_b32_e32 v0, 11, v1
	s_lshl_b32 s33, s10, 4
	s_delay_alu instid0(VALU_DEP_2) | instskip(SKIP_1) | instid1(VALU_DEP_2)
	v_dual_lshrrev_b32 v94, 1, v40 :: v_dual_bitop2_b32 v41, 3, v2 bitop3:0x54
	v_dual_add_nc_u32 v99, s33, v97 :: v_dual_lshlrev_b32 v100, 3, v98
	v_dual_add_nc_u32 v95, s33, v94 :: v_dual_lshrrev_b32 v92, 1, v41
	s_delay_alu instid0(VALU_DEP_2) | instskip(SKIP_2) | instid1(VALU_DEP_2)
	v_mul_hi_u32 v3, v99, s20
	s_wait_kmcnt 0x0
	s_mul_i32 s26, s2, s45
	v_mul_hi_u32 v2, v95, s20
	v_add_nc_u32_e32 v93, s33, v92
	s_ashr_i32 s43, s45, 31
	s_mov_b32 s42, s45
	s_ashr_i32 s45, s44, 31
	s_ashr_i32 s27, s26, 31
	s_lshr_b64 s[44:45], s[44:45], 2
	s_delay_alu instid0(VALU_DEP_3) | instskip(SKIP_1) | instid1(VALU_DEP_4)
	v_dual_add_nc_u32 v5, v99, v3 :: v_dual_mov_b32 v3, 0
	v_lshlrev_b32_e32 v24, 4, v98
	v_add_nc_u32_e32 v2, v95, v2
	v_mul_hi_u32 v4, v93, s20
	s_delay_alu instid0(VALU_DEP_4) | instskip(NEXT) | instid1(VALU_DEP_3)
	v_dual_mov_b32 v7, v3 :: v_dual_mov_b32 v25, v3
	v_lshrrev_b32_e32 v2, s21, v2
	s_delay_alu instid0(VALU_DEP_1) | instskip(NEXT) | instid1(VALU_DEP_4)
	v_mul_lo_u32 v2, v2, s22
	v_dual_add_nc_u32 v4, v93, v4 :: v_dual_lshrrev_b32 v6, s21, v5
	s_delay_alu instid0(VALU_DEP_1) | instskip(NEXT) | instid1(VALU_DEP_2)
	v_dual_mov_b32 v5, v3 :: v_dual_lshrrev_b32 v4, s21, v4
	v_mul_lo_u32 v6, v6, s22
	s_delay_alu instid0(VALU_DEP_2) | instskip(SKIP_1) | instid1(VALU_DEP_2)
	v_mul_lo_u32 v8, v4, s22
	v_sub_nc_u32_e32 v4, v95, v2
	v_dual_sub_nc_u32 v2, v99, v6 :: v_dual_sub_nc_u32 v6, v93, v8
	s_delay_alu instid0(VALU_DEP_1) | instskip(NEXT) | instid1(VALU_DEP_3)
	v_mul_u64_e32 v[8:9], s[44:45], v[2:3]
	v_mul_u64_e32 v[4:5], s[44:45], v[4:5]
	v_add_nc_u32_e32 v3, 0x4400, v100
	s_delay_alu instid0(VALU_DEP_4) | instskip(SKIP_1) | instid1(SALU_CYCLE_1)
	v_mul_u64_e32 v[6:7], s[44:45], v[6:7]
	s_mul_i32 s44, s28, s46
	s_ashr_i32 s45, s44, 31
	s_delay_alu instid0(SALU_CYCLE_1) | instskip(NEXT) | instid1(SALU_CYCLE_1)
	s_add_nc_u64 s[4:5], s[4:5], s[44:45]
	s_add_nc_u64 s[4:5], s[4:5], s[26:27]
	s_and_b64 s[26:27], s[42:43], -4
	s_cmp_eq_u64 s[14:15], 0
	s_add_nc_u64 s[26:27], s[4:5], s[26:27]
	s_delay_alu instid0(VALU_DEP_4) | instskip(NEXT) | instid1(VALU_DEP_4)
	v_lshlrev_b64_e32 v[18:19], 2, v[8:9]
	v_lshl_add_u64 v[4:5], v[4:5], 2, s[4:5]
	s_delay_alu instid0(VALU_DEP_3) | instskip(NEXT) | instid1(VALU_DEP_2)
	v_lshl_add_u64 v[8:9], v[6:7], 2, s[26:27]
	v_add_nc_u64_e32 v[16:17], v[4:5], v[24:25]
	s_delay_alu instid0(VALU_DEP_4) | instskip(SKIP_1) | instid1(VALU_DEP_4)
	v_add_nc_u64_e32 v[20:21], s[4:5], v[18:19]
	v_add_nc_u64_e32 v[28:29], s[26:27], v[18:19]
	;; [unrolled: 1-line block ×3, first 2 shown]
	s_load_b32 s4, s[0:1], 0x40
	global_load_b128 v[4:7], v[16:17], off
	v_add_nc_u64_e32 v[36:37], v[20:21], v[24:25]
	v_add_nc_u64_e32 v[38:39], v[28:29], v[24:25]
	s_clause 0x6
	global_load_b128 v[8:11], v[16:17], off offset:512
	global_load_b128 v[12:15], v[26:27], off
	global_load_b128 v[16:19], v[26:27], off offset:512
	global_load_b128 v[20:23], v[36:37], off
	;; [unrolled: 2-line block ×3, first 2 shown]
	global_load_b128 v[32:35], v[38:39], off offset:512
	s_wait_xcnt 0x2
	v_lshl_add_u32 v37, v40, 9, v3
	v_add_nc_u32_e32 v36, v3, v0
	v_lshl_add_u32 v3, v41, 9, v3
	s_wait_loadcnt 0x7
	s_wait_kmcnt 0x0
	v_fma_mixlo_f16 v4, s4, v4, 0
	v_fma_mixlo_f16 v5, s4, v5, 0
	;; [unrolled: 1-line block ×4, first 2 shown]
	s_wait_loadcnt 0x6
	v_fma_mixlo_f16 v8, s4, v8, 0
	v_fma_mixlo_f16 v9, s4, v9, 0
	v_fma_mixlo_f16 v10, s4, v10, 0
	v_fma_mixlo_f16 v11, s4, v11, 0
	s_wait_loadcnt 0x5
	v_fma_mixlo_f16 v12, s4, v12, 0
	v_fma_mixlo_f16 v13, s4, v13, 0
	s_wait_loadcnt 0x4
	v_fma_mixlo_f16 v16, s4, v16, 0
	v_fma_mixlo_f16 v17, s4, v17, 0
	v_fma_mixlo_f16 v14, s4, v14, 0
	v_fma_mixlo_f16 v15, s4, v15, 0
	s_wait_loadcnt 0x3
	v_fma_mixlo_f16 v20, s4, v20, 0
	v_fma_mixlo_f16 v21, s4, v21, 0
	;; [unrolled: 8-line block ×3, first 2 shown]
	s_wait_loadcnt 0x0
	v_fma_mixlo_f16 v32, s4, v32, 0
	v_fma_mixlo_f16 v33, s4, v33, 0
	v_dual_lshlrev_b32 v5, 16, v5 :: v_dual_lshlrev_b32 v7, 16, v7
	v_and_b32_e32 v4, 0xffff, v4
	v_and_b32_e32 v6, 0xffff, v6
	v_dual_lshlrev_b32 v9, 16, v9 :: v_dual_lshlrev_b32 v11, 16, v11
	v_and_b32_e32 v8, 0xffff, v8
	v_and_b32_e32 v10, 0xffff, v10
	v_dual_lshlrev_b32 v13, 16, v13 :: v_dual_lshlrev_b32 v15, 16, v15
	v_and_b32_e32 v12, 0xffff, v12
	v_dual_lshlrev_b32 v17, 16, v17 :: v_dual_lshlrev_b32 v19, 16, v19
	v_and_b32_e32 v16, 0xffff, v16
	v_fma_mixlo_f16 v22, s4, v22, 0
	v_fma_mixlo_f16 v23, s4, v23, 0
	;; [unrolled: 1-line block ×4, first 2 shown]
	v_and_b32_e32 v14, 0xffff, v14
	s_delay_alu instid0(VALU_DEP_4) | instskip(SKIP_1) | instid1(VALU_DEP_4)
	v_dual_lshlrev_b32 v21, 16, v21 :: v_dual_lshlrev_b32 v23, 16, v23
	v_and_b32_e32 v20, 0xffff, v20
	v_dual_lshlrev_b32 v25, 16, v25 :: v_dual_lshlrev_b32 v27, 16, v27
	v_and_b32_e32 v24, 0xffff, v24
	v_fma_mixlo_f16 v30, s4, v30, 0
	v_fma_mixlo_f16 v31, s4, v31, 0
	;; [unrolled: 1-line block ×4, first 2 shown]
	v_and_b32_e32 v18, 0xffff, v18
	s_delay_alu instid0(VALU_DEP_4) | instskip(SKIP_1) | instid1(VALU_DEP_4)
	v_dual_lshlrev_b32 v29, 16, v29 :: v_dual_lshlrev_b32 v31, 16, v31
	v_and_b32_e32 v28, 0xffff, v28
	v_dual_lshlrev_b32 v33, 16, v33 :: v_dual_lshlrev_b32 v35, 16, v35
	v_and_b32_e32 v32, 0xffff, v32
	v_or_b32_e32 v4, v5, v4
	v_or3_b32 v5, v7, v6, 0
	v_or_b32_e32 v6, v9, v8
	v_or3_b32 v7, v11, v10, 0
	v_or_b32_e32 v8, v13, v12
	v_or_b32_e32 v10, v17, v16
	v_and_b32_e32 v22, 0xffff, v22
	v_and_b32_e32 v26, 0xffff, v26
	v_or3_b32 v9, v15, v14, 0
	v_or_b32_e32 v12, v21, v20
	v_or_b32_e32 v14, v25, v24
	v_and_b32_e32 v30, 0xffff, v30
	v_and_b32_e32 v34, 0xffff, v34
	v_or3_b32 v11, v19, v18, 0
	v_or_b32_e32 v16, v29, v28
	v_or_b32_e32 v18, v33, v32
	v_or3_b32 v4, 0, 0, v4
	v_or3_b32 v6, 0, 0, v6
	;; [unrolled: 1-line block ×12, first 2 shown]
	ds_store_2addr_b64 v37, v[4:5], v[6:7] offset1:32
	ds_store_2addr_b64 v3, v[8:9], v[10:11] offset1:32
	;; [unrolled: 1-line block ×3, first 2 shown]
	ds_store_2addr_b64 v36, v[16:17], v[18:19] offset0:64 offset1:96
	s_wait_dscnt 0x0
	s_barrier_signal -1
	s_barrier_wait -1
	s_cbranch_scc1 .LBB65_4
; %bb.3:
	s_load_b32 s4, s[0:1], 0xd0
	s_wait_kmcnt 0x0
	s_mul_i32 s4, s4, s28
	s_delay_alu instid0(SALU_CYCLE_1)
	s_add_co_i32 s4, s4, s10
	s_load_b32 s30, s[14:15], s4 offset:0x0 scale_offset
.LBB65_4:
	s_wait_xcnt 0x0
	s_bfe_u32 s4, ttmp6, 0x40010
	s_and_b32 s5, ttmp7, 0xffff
	s_add_co_i32 s4, s4, 1
	s_bfe_u32 s10, ttmp6, 0x40004
	s_mul_i32 s4, s5, s4
	v_lshlrev_b32_e32 v96, 2, v98
	s_add_co_i32 s10, s10, s4
	s_cmp_eq_u32 s24, 0
	v_mbcnt_lo_u32_b32 v101, -1, 0
	s_cselect_b32 s31, s5, s10
	s_mov_b32 s5, 0
	s_lshl_b32 s4, s31, 6
	s_wait_kmcnt 0x0
	s_cmp_lt_i32 s4, s30
	s_cbranch_scc1 .LBB65_7
; %bb.5:
	v_mbcnt_lo_u32_b32 v4, -1, 0
	s_delay_alu instid0(VALU_DEP_1)
	v_dual_mov_b32 v102, 32 :: v_dual_bitop2_b32 v120, 16, v4 bitop3:0x14
	v_xor_b32_e32 v119, 8, v4
	v_xor_b32_e32 v118, 4, v4
	;; [unrolled: 1-line block ×4, first 2 shown]
	s_and_not1_b32 vcc_lo, exec_lo, s5
	s_cbranch_vccz .LBB65_8
; %bb.6:
	v_dual_mov_b32 v26, 0 :: v_dual_mov_b32 v59, 0
	v_dual_mov_b32 v3, 0xfeffffff :: v_dual_mov_b32 v2, 0xfeffffff
	;; [unrolled: 1-line block ×3, first 2 shown]
	s_delay_alu instid0(VALU_DEP_3)
	v_dual_mov_b32 v58, v59 :: v_dual_mov_b32 v61, v59
	v_dual_mov_b32 v60, v59 :: v_dual_mov_b32 v35, 0
	;; [unrolled: 1-line block ×9, first 2 shown]
	s_branch .LBB65_44
.LBB65_7:
                                        ; implicit-def: $vgpr4
                                        ; implicit-def: $vgpr102
                                        ; implicit-def: $vgpr120
                                        ; implicit-def: $vgpr119
                                        ; implicit-def: $vgpr118
                                        ; implicit-def: $vgpr117
                                        ; implicit-def: $vgpr116
.LBB65_8:
	v_dual_mov_b32 v57, 0 :: v_dual_lshrrev_b32 v3, 4, v98
	v_add3_u32 v56, s33, v97, 1
	s_clause 0x1
	s_load_b128 s[24:27], s[0:1], 0x98
	s_load_b64 s[14:15], s[0:1], 0x8c
	s_mul_f32 s5, s29, 0x4f7ffffe
	s_mov_b32 s42, s20
	s_mov_b32 s43, s37
	s_ashr_i32 s44, s3, 31
	s_cvt_u32_f32 s3, s5
	v_mul_u64_e32 v[4:5], s[42:43], v[56:57]
	s_sub_co_i32 s10, 0, s40
	s_abs_i32 s36, s2
	s_mul_i32 s10, s10, s3
	s_mov_b32 s11, s37
	s_mul_hi_u32 s10, s3, s10
	s_ashr_i32 s41, s2, 31
	s_add_co_i32 s10, s3, s10
	s_ashr_i32 s5, s39, 1
	s_mul_u64 s[10:11], s[36:37], s[10:11]
	s_ashr_i32 s29, s28, 31
	s_mul_i32 s20, s11, s40
	v_dual_add_nc_u32 v3, v3, v97 :: v_dual_bitop2_b32 v4, 60, v96 bitop3:0x40
	s_sub_co_i32 s20, s36, s20
	s_wait_kmcnt 0x0
	s_ashr_i32 s10, s26, 2
	s_ashr_i32 s14, s14, 2
	s_xor_b32 s26, s41, s44
	s_add_co_i32 s36, s11, 1
	s_sub_co_i32 s37, s20, s40
	s_cmp_ge_u32 s20, s40
	v_mul_lo_u32 v62, s14, v3
	s_cselect_b32 s11, s36, s11
	s_cselect_b32 s20, s37, s20
	s_add_co_i32 s36, s11, 1
	s_cmp_ge_u32 s20, s40
	s_mul_u64 s[24:25], s[24:25], s[28:29]
	s_cselect_b32 s11, s36, s11
	s_add_nc_u64 s[6:7], s[6:7], s[24:25]
	s_xor_b32 s11, s11, s26
	v_lshlrev_b32_e32 v6, 2, v4
	s_sub_co_i32 s11, s11, s26
	v_add_nc_u32_e32 v5, v56, v5
	s_mul_i32 s24, s11, s15
	v_dual_mov_b32 v22, 0 :: v_dual_add_nc_u32 v107, 0x4400, v0
	s_ashr_i32 s25, s24, 31
	s_delay_alu instid0(VALU_DEP_2)
	v_lshrrev_b32_e32 v5, s21, v5
	s_add_nc_u64 s[6:7], s[6:7], s[24:25]
	s_mul_i32 s24, s11, s27
	s_lshl_b32 s11, s14, 4
	v_mad_u32_u24 v103, 0x110, v3, v6
	v_add_nc_u32_e32 v64, s11, v62
	v_mul_lo_u32 v6, s10, v1
	v_mul_lo_u32 v3, v5, s22
	v_ashrrev_i32_e32 v63, 31, v62
	s_clause 0x1
	s_load_b64 s[38:39], s[0:1], 0xa8
	s_load_b32 s3, s[0:1], 0x54
	v_add_nc_u32_e32 v66, s11, v64
	v_mul_lo_u32 v109, v2, s5
	v_dual_mov_b32 v71, v57 :: v_dual_add_nc_u32 v104, 0x1100, v103
	s_delay_alu instid0(VALU_DEP_3) | instskip(SKIP_1) | instid1(SALU_CYCLE_1)
	v_dual_ashrrev_i32 v65, 31, v64 :: v_dual_add_nc_u32 v68, s11, v66
	s_lshl_b32 s11, s10, 3
	v_dual_lshlrev_b32 v1, 9, v1 :: v_dual_add_nc_u32 v0, s11, v6
	v_dual_sub_nc_u32 v3, v56, v3 :: v_dual_ashrrev_i32 v7, 31, v6
	v_mov_b32_e32 v27, 0
	s_delay_alu instid0(VALU_DEP_3) | instskip(NEXT) | instid1(VALU_DEP_4)
	v_lshl_add_u32 v110, v96, 2, v1
	v_add_nc_u32_e32 v2, s11, v0
	s_delay_alu instid0(VALU_DEP_4) | instskip(SKIP_1) | instid1(VALU_DEP_3)
	v_mul_lo_u32 v111, v3, s5
	v_dual_mov_b32 v23, 0 :: v_dual_add_nc_u32 v112, 0x8400, v1
	v_dual_ashrrev_i32 v1, 31, v0 :: v_dual_add_nc_u32 v8, s11, v2
	v_ashrrev_i32_e32 v3, 31, v2
	v_lshlrev_b64_e32 v[72:73], 2, v[6:7]
	s_wait_kmcnt 0x0
	s_mul_u64 s[36:37], s[38:39], s[28:29]
	v_lshlrev_b64_e32 v[74:75], 2, v[0:1]
	v_ashrrev_i32_e32 v9, 31, v8
	v_lshlrev_b64_e32 v[76:77], 2, v[2:3]
	v_dual_mov_b32 v102, 32 :: v_dual_add_nc_u32 v105, 0x2200, v103
	v_dual_ashrrev_i32 v67, 31, v66 :: v_dual_ashrrev_i32 v69, 31, v68
	s_delay_alu instid0(VALU_DEP_4)
	v_lshlrev_b64_e32 v[78:79], 2, v[8:9]
	v_dual_mov_b32 v21, 0 :: v_dual_add_nc_u32 v106, 0x3300, v103
	v_mul_u32_u24_e32 v108, 0x110, v98
	v_dual_mov_b32 v28, 0 :: v_dual_add_nc_u32 v113, 0x1000, v110
	v_dual_mov_b32 v25, 0 :: v_dual_add_nc_u32 v114, 0x2000, v110
	;; [unrolled: 1-line block ×3, first 2 shown]
	v_dual_mov_b32 v37, 0xfeffffff :: v_dual_lshlrev_b32 v70, 2, v4
	v_dual_mov_b32 v29, 0 :: v_dual_mov_b32 v30, 0
	v_dual_mov_b32 v31, 0 :: v_dual_mov_b32 v32, 0
	;; [unrolled: 1-line block ×8, first 2 shown]
	s_add_nc_u64 s[8:9], s[8:9], s[36:37]
	s_ashr_i32 s25, s24, 31
	s_ashr_i32 s15, s14, 31
	s_add_nc_u64 s[8:9], s[8:9], s[24:25]
	s_ashr_i32 s11, s10, 31
	s_add_nc_u64 s[20:21], s[0:1], 0xd0
	s_mov_b32 s24, 0xbbbac73d
.LBB65_9:                               ; =>This Inner Loop Header: Depth=1
	s_ashr_i32 s5, s4, 31
	v_mov_b32_e32 v81, 0
	s_mul_u64 s[26:27], s[4:5], s[14:15]
	v_mov_b32_e32 v82, 0
	s_lshl_b64 s[26:27], s[26:27], 2
	s_delay_alu instid0(SALU_CYCLE_1) | instskip(NEXT) | instid1(SALU_CYCLE_1)
	s_add_nc_u64 s[26:27], s[6:7], s[26:27]
	v_lshl_add_u64 v[0:1], v[62:63], 2, s[26:27]
	v_lshl_add_u64 v[2:3], v[64:65], 2, s[26:27]
	;; [unrolled: 1-line block ×4, first 2 shown]
	s_delay_alu instid0(VALU_DEP_4) | instskip(NEXT) | instid1(VALU_DEP_4)
	v_add_nc_u64_e32 v[0:1], v[0:1], v[70:71]
	v_add_nc_u64_e32 v[2:3], v[2:3], v[70:71]
	s_delay_alu instid0(VALU_DEP_4) | instskip(NEXT) | instid1(VALU_DEP_4)
	v_add_nc_u64_e32 v[4:5], v[4:5], v[70:71]
	v_add_nc_u64_e32 v[6:7], v[6:7], v[70:71]
	s_clause 0x3
	global_load_b128 v[8:11], v[0:1], off
	global_load_b128 v[12:15], v[2:3], off
	;; [unrolled: 1-line block ×4, first 2 shown]
	s_wait_loadcnt 0x3
	ds_store_b128 v103, v[8:11]
	s_wait_loadcnt 0x2
	ds_store_b128 v104, v[12:15]
	;; [unrolled: 2-line block ×4, first 2 shown]
	s_wait_dscnt 0x0
	s_barrier_signal -1
	s_barrier_wait -1
	ds_load_b128 v[14:17], v108
	ds_load_b128 v[40:43], v107
	ds_load_b128 v[44:47], v107 offset:512
	ds_load_b128 v[48:51], v107 offset:1024
	v_dual_mov_b32 v12, 0 :: v_dual_mov_b32 v10, 0
	ds_load_b128 v[52:55], v107 offset:1536
	ds_load_b128 v[84:87], v108 offset:8704
	v_dual_mov_b32 v8, 0 :: v_dual_mov_b32 v13, 0
	v_dual_mov_b32 v11, 0 :: v_dual_mov_b32 v9, 0
	s_wait_dscnt 0x4
	;;#ASMSTART
	v_dot2_f32_f16 v12, v14, v40, v12
	;;#ASMEND
	;;#ASMSTART
	v_dot2_f32_f16 v12, v15, v41, v12
	;;#ASMEND
	;;#ASMSTART
	v_dot2_f32_f16 v12, v16, v42, v12
	;;#ASMEND
	;;#ASMSTART
	v_dot2_f32_f16 v12, v17, v43, v12
	;;#ASMEND
	s_wait_dscnt 0x3
	;;#ASMSTART
	v_dot2_f32_f16 v10, v14, v44, v10
	;;#ASMEND
	;;#ASMSTART
	v_dot2_f32_f16 v10, v15, v45, v10
	;;#ASMEND
	;;#ASMSTART
	v_dot2_f32_f16 v10, v16, v46, v10
	;;#ASMEND
	;;#ASMSTART
	v_dot2_f32_f16 v10, v17, v47, v10
	;;#ASMEND
	;; [unrolled: 13-line block ×5, first 2 shown]
	;;#ASMSTART
	v_dot2_f32_f16 v11, v84, v44, v11
	;;#ASMEND
	;;#ASMSTART
	v_dot2_f32_f16 v11, v85, v45, v11
	;;#ASMEND
	;; [unrolled: 3-line block ×12, first 2 shown]
	ds_load_b128 v[14:17], v108 offset:16
	ds_load_b128 v[40:43], v107 offset:16
	;; [unrolled: 1-line block ×6, first 2 shown]
	s_wait_dscnt 0x4
	;;#ASMSTART
	v_dot2_f32_f16 v12, v14, v40, v12
	;;#ASMEND
	;;#ASMSTART
	v_dot2_f32_f16 v12, v15, v41, v12
	;;#ASMEND
	;;#ASMSTART
	v_dot2_f32_f16 v12, v16, v42, v12
	;;#ASMEND
	;;#ASMSTART
	v_dot2_f32_f16 v12, v17, v43, v12
	;;#ASMEND
	s_wait_dscnt 0x3
	;;#ASMSTART
	v_dot2_f32_f16 v10, v14, v44, v10
	;;#ASMEND
	;;#ASMSTART
	v_dot2_f32_f16 v10, v15, v45, v10
	;;#ASMEND
	;;#ASMSTART
	v_dot2_f32_f16 v10, v16, v46, v10
	;;#ASMEND
	;;#ASMSTART
	v_dot2_f32_f16 v10, v17, v47, v10
	;;#ASMEND
	;; [unrolled: 13-line block ×5, first 2 shown]
	;;#ASMSTART
	v_dot2_f32_f16 v11, v84, v44, v11
	;;#ASMEND
	;;#ASMSTART
	v_dot2_f32_f16 v11, v85, v45, v11
	;;#ASMEND
	;; [unrolled: 3-line block ×12, first 2 shown]
	ds_load_b128 v[14:17], v108 offset:32
	ds_load_b128 v[40:43], v107 offset:32
	;; [unrolled: 1-line block ×6, first 2 shown]
	s_wait_dscnt 0x4
	;;#ASMSTART
	v_dot2_f32_f16 v12, v14, v40, v12
	;;#ASMEND
	;;#ASMSTART
	v_dot2_f32_f16 v12, v15, v41, v12
	;;#ASMEND
	;;#ASMSTART
	v_dot2_f32_f16 v12, v16, v42, v12
	;;#ASMEND
	;;#ASMSTART
	v_dot2_f32_f16 v12, v17, v43, v12
	;;#ASMEND
	s_wait_dscnt 0x3
	;;#ASMSTART
	v_dot2_f32_f16 v10, v14, v44, v10
	;;#ASMEND
	;;#ASMSTART
	v_dot2_f32_f16 v10, v15, v45, v10
	;;#ASMEND
	;;#ASMSTART
	v_dot2_f32_f16 v10, v16, v46, v10
	;;#ASMEND
	;;#ASMSTART
	v_dot2_f32_f16 v10, v17, v47, v10
	;;#ASMEND
	;; [unrolled: 13-line block ×5, first 2 shown]
	;;#ASMSTART
	v_dot2_f32_f16 v11, v84, v44, v11
	;;#ASMEND
	;;#ASMSTART
	v_dot2_f32_f16 v11, v85, v45, v11
	;;#ASMEND
	;; [unrolled: 3-line block ×12, first 2 shown]
	ds_load_b128 v[14:17], v108 offset:48
	ds_load_b128 v[40:43], v107 offset:48
	;; [unrolled: 1-line block ×6, first 2 shown]
	s_wait_dscnt 0x4
	;;#ASMSTART
	v_dot2_f32_f16 v12, v14, v40, v12
	;;#ASMEND
	;;#ASMSTART
	v_dot2_f32_f16 v12, v15, v41, v12
	;;#ASMEND
	;;#ASMSTART
	v_dot2_f32_f16 v12, v16, v42, v12
	;;#ASMEND
	;;#ASMSTART
	v_dot2_f32_f16 v12, v17, v43, v12
	;;#ASMEND
	s_wait_dscnt 0x3
	;;#ASMSTART
	v_dot2_f32_f16 v10, v14, v44, v10
	;;#ASMEND
	;;#ASMSTART
	v_dot2_f32_f16 v10, v15, v45, v10
	;;#ASMEND
	;;#ASMSTART
	v_dot2_f32_f16 v10, v16, v46, v10
	;;#ASMEND
	;;#ASMSTART
	v_dot2_f32_f16 v10, v17, v47, v10
	;;#ASMEND
	;; [unrolled: 13-line block ×5, first 2 shown]
	;;#ASMSTART
	v_dot2_f32_f16 v11, v84, v44, v11
	;;#ASMEND
	;;#ASMSTART
	v_dot2_f32_f16 v11, v85, v45, v11
	;;#ASMEND
	;; [unrolled: 3-line block ×12, first 2 shown]
	ds_load_b128 v[14:17], v108 offset:64
	ds_load_b128 v[40:43], v107 offset:64
	;; [unrolled: 1-line block ×6, first 2 shown]
	s_wait_dscnt 0x4
	;;#ASMSTART
	v_dot2_f32_f16 v12, v14, v40, v12
	;;#ASMEND
	;;#ASMSTART
	v_dot2_f32_f16 v12, v15, v41, v12
	;;#ASMEND
	;;#ASMSTART
	v_dot2_f32_f16 v12, v16, v42, v12
	;;#ASMEND
	;;#ASMSTART
	v_dot2_f32_f16 v12, v17, v43, v12
	;;#ASMEND
	s_wait_dscnt 0x3
	;;#ASMSTART
	v_dot2_f32_f16 v10, v14, v44, v10
	;;#ASMEND
	;;#ASMSTART
	v_dot2_f32_f16 v10, v15, v45, v10
	;;#ASMEND
	;;#ASMSTART
	v_dot2_f32_f16 v10, v16, v46, v10
	;;#ASMEND
	;;#ASMSTART
	v_dot2_f32_f16 v10, v17, v47, v10
	;;#ASMEND
	;; [unrolled: 13-line block ×5, first 2 shown]
	;;#ASMSTART
	v_dot2_f32_f16 v11, v84, v44, v11
	;;#ASMEND
	;;#ASMSTART
	v_dot2_f32_f16 v11, v85, v45, v11
	;;#ASMEND
	;; [unrolled: 3-line block ×12, first 2 shown]
	ds_load_b128 v[14:17], v108 offset:80
	ds_load_b128 v[40:43], v107 offset:80
	;; [unrolled: 1-line block ×6, first 2 shown]
	s_wait_dscnt 0x4
	;;#ASMSTART
	v_dot2_f32_f16 v12, v14, v40, v12
	;;#ASMEND
	;;#ASMSTART
	v_dot2_f32_f16 v12, v15, v41, v12
	;;#ASMEND
	;;#ASMSTART
	v_dot2_f32_f16 v12, v16, v42, v12
	;;#ASMEND
	;;#ASMSTART
	v_dot2_f32_f16 v12, v17, v43, v12
	;;#ASMEND
	s_wait_dscnt 0x3
	;;#ASMSTART
	v_dot2_f32_f16 v10, v14, v44, v10
	;;#ASMEND
	;;#ASMSTART
	v_dot2_f32_f16 v10, v15, v45, v10
	;;#ASMEND
	;;#ASMSTART
	v_dot2_f32_f16 v10, v16, v46, v10
	;;#ASMEND
	;;#ASMSTART
	v_dot2_f32_f16 v10, v17, v47, v10
	;;#ASMEND
	;; [unrolled: 13-line block ×5, first 2 shown]
	;;#ASMSTART
	v_dot2_f32_f16 v11, v84, v44, v11
	;;#ASMEND
	;;#ASMSTART
	v_dot2_f32_f16 v11, v85, v45, v11
	;;#ASMEND
	;; [unrolled: 3-line block ×12, first 2 shown]
	ds_load_b128 v[14:17], v108 offset:96
	ds_load_b128 v[40:43], v107 offset:96
	;; [unrolled: 1-line block ×6, first 2 shown]
	s_wait_dscnt 0x4
	;;#ASMSTART
	v_dot2_f32_f16 v12, v14, v40, v12
	;;#ASMEND
	;;#ASMSTART
	v_dot2_f32_f16 v12, v15, v41, v12
	;;#ASMEND
	;;#ASMSTART
	v_dot2_f32_f16 v12, v16, v42, v12
	;;#ASMEND
	;;#ASMSTART
	v_dot2_f32_f16 v12, v17, v43, v12
	;;#ASMEND
	s_wait_dscnt 0x3
	;;#ASMSTART
	v_dot2_f32_f16 v10, v14, v44, v10
	;;#ASMEND
	;;#ASMSTART
	v_dot2_f32_f16 v10, v15, v45, v10
	;;#ASMEND
	;;#ASMSTART
	v_dot2_f32_f16 v10, v16, v46, v10
	;;#ASMEND
	;;#ASMSTART
	v_dot2_f32_f16 v10, v17, v47, v10
	;;#ASMEND
	;; [unrolled: 13-line block ×5, first 2 shown]
	;;#ASMSTART
	v_dot2_f32_f16 v11, v84, v44, v11
	;;#ASMEND
	;;#ASMSTART
	v_dot2_f32_f16 v11, v85, v45, v11
	;;#ASMEND
	;; [unrolled: 3-line block ×12, first 2 shown]
	ds_load_b128 v[14:17], v108 offset:112
	ds_load_b128 v[40:43], v107 offset:112
	;; [unrolled: 1-line block ×6, first 2 shown]
	s_wait_dscnt 0x4
	;;#ASMSTART
	v_dot2_f32_f16 v12, v14, v40, v12
	;;#ASMEND
	;;#ASMSTART
	v_dot2_f32_f16 v12, v15, v41, v12
	;;#ASMEND
	;;#ASMSTART
	v_dot2_f32_f16 v12, v16, v42, v12
	;;#ASMEND
	;;#ASMSTART
	v_dot2_f32_f16 v12, v17, v43, v12
	;;#ASMEND
	s_wait_dscnt 0x3
	;;#ASMSTART
	v_dot2_f32_f16 v10, v14, v44, v10
	;;#ASMEND
	;;#ASMSTART
	v_dot2_f32_f16 v10, v15, v45, v10
	;;#ASMEND
	;;#ASMSTART
	v_dot2_f32_f16 v10, v16, v46, v10
	;;#ASMEND
	;;#ASMSTART
	v_dot2_f32_f16 v10, v17, v47, v10
	;;#ASMEND
	;; [unrolled: 13-line block ×5, first 2 shown]
	;;#ASMSTART
	v_dot2_f32_f16 v11, v84, v44, v11
	;;#ASMEND
	;;#ASMSTART
	v_dot2_f32_f16 v11, v85, v45, v11
	;;#ASMEND
	;; [unrolled: 3-line block ×12, first 2 shown]
	ds_load_b128 v[14:17], v108 offset:128
	ds_load_b128 v[40:43], v107 offset:128
	;; [unrolled: 1-line block ×6, first 2 shown]
	s_wait_dscnt 0x4
	;;#ASMSTART
	v_dot2_f32_f16 v12, v14, v40, v12
	;;#ASMEND
	;;#ASMSTART
	v_dot2_f32_f16 v12, v15, v41, v12
	;;#ASMEND
	;;#ASMSTART
	v_dot2_f32_f16 v12, v16, v42, v12
	;;#ASMEND
	;;#ASMSTART
	v_dot2_f32_f16 v12, v17, v43, v12
	;;#ASMEND
	s_wait_dscnt 0x3
	;;#ASMSTART
	v_dot2_f32_f16 v10, v14, v44, v10
	;;#ASMEND
	;;#ASMSTART
	v_dot2_f32_f16 v10, v15, v45, v10
	;;#ASMEND
	;;#ASMSTART
	v_dot2_f32_f16 v10, v16, v46, v10
	;;#ASMEND
	;;#ASMSTART
	v_dot2_f32_f16 v10, v17, v47, v10
	;;#ASMEND
	;; [unrolled: 13-line block ×5, first 2 shown]
	;;#ASMSTART
	v_dot2_f32_f16 v11, v84, v44, v11
	;;#ASMEND
	;;#ASMSTART
	v_dot2_f32_f16 v11, v85, v45, v11
	;;#ASMEND
	;; [unrolled: 3-line block ×12, first 2 shown]
	ds_load_b128 v[14:17], v108 offset:144
	ds_load_b128 v[40:43], v107 offset:144
	;; [unrolled: 1-line block ×6, first 2 shown]
	s_wait_dscnt 0x4
	;;#ASMSTART
	v_dot2_f32_f16 v12, v14, v40, v12
	;;#ASMEND
	;;#ASMSTART
	v_dot2_f32_f16 v12, v15, v41, v12
	;;#ASMEND
	;;#ASMSTART
	v_dot2_f32_f16 v12, v16, v42, v12
	;;#ASMEND
	;;#ASMSTART
	v_dot2_f32_f16 v12, v17, v43, v12
	;;#ASMEND
	s_wait_dscnt 0x3
	;;#ASMSTART
	v_dot2_f32_f16 v10, v14, v44, v10
	;;#ASMEND
	;;#ASMSTART
	v_dot2_f32_f16 v10, v15, v45, v10
	;;#ASMEND
	;;#ASMSTART
	v_dot2_f32_f16 v10, v16, v46, v10
	;;#ASMEND
	;;#ASMSTART
	v_dot2_f32_f16 v10, v17, v47, v10
	;;#ASMEND
	;; [unrolled: 13-line block ×5, first 2 shown]
	;;#ASMSTART
	v_dot2_f32_f16 v11, v84, v44, v11
	;;#ASMEND
	;;#ASMSTART
	v_dot2_f32_f16 v11, v85, v45, v11
	;;#ASMEND
	;; [unrolled: 3-line block ×12, first 2 shown]
	ds_load_b128 v[14:17], v108 offset:160
	ds_load_b128 v[40:43], v107 offset:160
	;; [unrolled: 1-line block ×6, first 2 shown]
	s_wait_dscnt 0x4
	;;#ASMSTART
	v_dot2_f32_f16 v12, v14, v40, v12
	;;#ASMEND
	;;#ASMSTART
	v_dot2_f32_f16 v12, v15, v41, v12
	;;#ASMEND
	;;#ASMSTART
	v_dot2_f32_f16 v12, v16, v42, v12
	;;#ASMEND
	;;#ASMSTART
	v_dot2_f32_f16 v12, v17, v43, v12
	;;#ASMEND
	s_wait_dscnt 0x3
	;;#ASMSTART
	v_dot2_f32_f16 v10, v14, v44, v10
	;;#ASMEND
	;;#ASMSTART
	v_dot2_f32_f16 v10, v15, v45, v10
	;;#ASMEND
	;;#ASMSTART
	v_dot2_f32_f16 v10, v16, v46, v10
	;;#ASMEND
	;;#ASMSTART
	v_dot2_f32_f16 v10, v17, v47, v10
	;;#ASMEND
	;; [unrolled: 13-line block ×5, first 2 shown]
	;;#ASMSTART
	v_dot2_f32_f16 v11, v84, v44, v11
	;;#ASMEND
	;;#ASMSTART
	v_dot2_f32_f16 v11, v85, v45, v11
	;;#ASMEND
	;; [unrolled: 3-line block ×12, first 2 shown]
	ds_load_b128 v[14:17], v108 offset:176
	ds_load_b128 v[40:43], v107 offset:176
	;; [unrolled: 1-line block ×6, first 2 shown]
	s_wait_dscnt 0x4
	;;#ASMSTART
	v_dot2_f32_f16 v12, v14, v40, v12
	;;#ASMEND
	;;#ASMSTART
	v_dot2_f32_f16 v12, v15, v41, v12
	;;#ASMEND
	;;#ASMSTART
	v_dot2_f32_f16 v12, v16, v42, v12
	;;#ASMEND
	;;#ASMSTART
	v_dot2_f32_f16 v12, v17, v43, v12
	;;#ASMEND
	s_wait_dscnt 0x3
	;;#ASMSTART
	v_dot2_f32_f16 v10, v14, v44, v10
	;;#ASMEND
	;;#ASMSTART
	v_dot2_f32_f16 v10, v15, v45, v10
	;;#ASMEND
	;;#ASMSTART
	v_dot2_f32_f16 v10, v16, v46, v10
	;;#ASMEND
	;;#ASMSTART
	v_dot2_f32_f16 v10, v17, v47, v10
	;;#ASMEND
	;; [unrolled: 13-line block ×5, first 2 shown]
	;;#ASMSTART
	v_dot2_f32_f16 v11, v84, v44, v11
	;;#ASMEND
	;;#ASMSTART
	v_dot2_f32_f16 v11, v85, v45, v11
	;;#ASMEND
	;; [unrolled: 3-line block ×12, first 2 shown]
	ds_load_b128 v[14:17], v108 offset:192
	ds_load_b128 v[40:43], v107 offset:192
	;; [unrolled: 1-line block ×6, first 2 shown]
	s_wait_dscnt 0x4
	;;#ASMSTART
	v_dot2_f32_f16 v12, v14, v40, v12
	;;#ASMEND
	;;#ASMSTART
	v_dot2_f32_f16 v12, v15, v41, v12
	;;#ASMEND
	;;#ASMSTART
	v_dot2_f32_f16 v12, v16, v42, v12
	;;#ASMEND
	;;#ASMSTART
	v_dot2_f32_f16 v12, v17, v43, v12
	;;#ASMEND
	s_wait_dscnt 0x3
	;;#ASMSTART
	v_dot2_f32_f16 v10, v14, v44, v10
	;;#ASMEND
	;;#ASMSTART
	v_dot2_f32_f16 v10, v15, v45, v10
	;;#ASMEND
	;;#ASMSTART
	v_dot2_f32_f16 v10, v16, v46, v10
	;;#ASMEND
	;;#ASMSTART
	v_dot2_f32_f16 v10, v17, v47, v10
	;;#ASMEND
	;; [unrolled: 13-line block ×5, first 2 shown]
	;;#ASMSTART
	v_dot2_f32_f16 v11, v84, v44, v11
	;;#ASMEND
	;;#ASMSTART
	v_dot2_f32_f16 v11, v85, v45, v11
	;;#ASMEND
	;; [unrolled: 3-line block ×12, first 2 shown]
	ds_load_b128 v[14:17], v108 offset:208
	ds_load_b128 v[40:43], v107 offset:208
	;; [unrolled: 1-line block ×6, first 2 shown]
	s_wait_dscnt 0x4
	;;#ASMSTART
	v_dot2_f32_f16 v12, v14, v40, v12
	;;#ASMEND
	;;#ASMSTART
	v_dot2_f32_f16 v12, v15, v41, v12
	;;#ASMEND
	;;#ASMSTART
	v_dot2_f32_f16 v12, v16, v42, v12
	;;#ASMEND
	;;#ASMSTART
	v_dot2_f32_f16 v12, v17, v43, v12
	;;#ASMEND
	s_wait_dscnt 0x3
	;;#ASMSTART
	v_dot2_f32_f16 v10, v14, v44, v10
	;;#ASMEND
	;;#ASMSTART
	v_dot2_f32_f16 v10, v15, v45, v10
	;;#ASMEND
	;;#ASMSTART
	v_dot2_f32_f16 v10, v16, v46, v10
	;;#ASMEND
	;;#ASMSTART
	v_dot2_f32_f16 v10, v17, v47, v10
	;;#ASMEND
	;; [unrolled: 13-line block ×5, first 2 shown]
	;;#ASMSTART
	v_dot2_f32_f16 v11, v84, v44, v11
	;;#ASMEND
	;;#ASMSTART
	v_dot2_f32_f16 v11, v85, v45, v11
	;;#ASMEND
	;; [unrolled: 3-line block ×12, first 2 shown]
	ds_load_b128 v[14:17], v108 offset:224
	ds_load_b128 v[40:43], v107 offset:224
	;; [unrolled: 1-line block ×6, first 2 shown]
	s_wait_dscnt 0x4
	;;#ASMSTART
	v_dot2_f32_f16 v12, v14, v40, v12
	;;#ASMEND
	;;#ASMSTART
	v_dot2_f32_f16 v12, v15, v41, v12
	;;#ASMEND
	;;#ASMSTART
	v_dot2_f32_f16 v12, v16, v42, v12
	;;#ASMEND
	;;#ASMSTART
	v_dot2_f32_f16 v12, v17, v43, v12
	;;#ASMEND
	s_wait_dscnt 0x3
	;;#ASMSTART
	v_dot2_f32_f16 v10, v14, v44, v10
	;;#ASMEND
	;;#ASMSTART
	v_dot2_f32_f16 v10, v15, v45, v10
	;;#ASMEND
	;;#ASMSTART
	v_dot2_f32_f16 v10, v16, v46, v10
	;;#ASMEND
	;;#ASMSTART
	v_dot2_f32_f16 v10, v17, v47, v10
	;;#ASMEND
	;; [unrolled: 13-line block ×5, first 2 shown]
	;;#ASMSTART
	v_dot2_f32_f16 v11, v84, v44, v11
	;;#ASMEND
	;;#ASMSTART
	v_dot2_f32_f16 v11, v85, v45, v11
	;;#ASMEND
	;; [unrolled: 3-line block ×12, first 2 shown]
	ds_load_b128 v[14:17], v108 offset:240
	ds_load_b128 v[40:43], v107 offset:240
	;; [unrolled: 1-line block ×6, first 2 shown]
	s_wait_dscnt 0x4
	;;#ASMSTART
	v_dot2_f32_f16 v12, v14, v40, v12
	;;#ASMEND
	;;#ASMSTART
	v_dot2_f32_f16 v12, v15, v41, v12
	;;#ASMEND
	;;#ASMSTART
	v_dot2_f32_f16 v12, v16, v42, v12
	;;#ASMEND
	;;#ASMSTART
	v_dot2_f32_f16 v12, v17, v43, v12
	;;#ASMEND
	s_wait_dscnt 0x3
	;;#ASMSTART
	v_dot2_f32_f16 v10, v14, v44, v10
	;;#ASMEND
	;;#ASMSTART
	v_dot2_f32_f16 v10, v15, v45, v10
	;;#ASMEND
	;;#ASMSTART
	v_dot2_f32_f16 v10, v16, v46, v10
	;;#ASMEND
	;;#ASMSTART
	v_dot2_f32_f16 v10, v17, v47, v10
	;;#ASMEND
	;; [unrolled: 13-line block ×5, first 2 shown]
	;;#ASMSTART
	v_dot2_f32_f16 v11, v84, v44, v11
	;;#ASMEND
	;;#ASMSTART
	v_dot2_f32_f16 v11, v85, v45, v11
	;;#ASMEND
	;; [unrolled: 3-line block ×12, first 2 shown]
	s_barrier_signal -1
	s_barrier_wait -1
	s_clause 0x3
	global_load_b128 v[14:17], v[0:1], off offset:256
	global_load_b128 v[40:43], v[2:3], off offset:256
	global_load_b128 v[44:47], v[4:5], off offset:256
	global_load_b128 v[48:51], v[6:7], off offset:256
	s_wait_loadcnt 0x3
	ds_store_b128 v103, v[14:17]
	s_wait_loadcnt 0x2
	ds_store_b128 v104, v[40:43]
	;; [unrolled: 2-line block ×4, first 2 shown]
	s_wait_dscnt 0x0
	s_barrier_signal -1
	s_barrier_wait -1
	ds_load_b128 v[0:3], v108
	ds_load_b128 v[4:7], v107 offset:256
	ds_load_b128 v[14:17], v107 offset:768
	;; [unrolled: 1-line block ×5, first 2 shown]
	s_wait_dscnt 0x4
	;;#ASMSTART
	v_dot2_f32_f16 v12, v0, v4, v12
	;;#ASMEND
	;;#ASMSTART
	v_dot2_f32_f16 v12, v1, v5, v12
	;;#ASMEND
	;;#ASMSTART
	v_dot2_f32_f16 v12, v2, v6, v12
	;;#ASMEND
	;;#ASMSTART
	v_dot2_f32_f16 v12, v3, v7, v12
	;;#ASMEND
	s_wait_dscnt 0x3
	;;#ASMSTART
	v_dot2_f32_f16 v10, v0, v14, v10
	;;#ASMEND
	;;#ASMSTART
	v_dot2_f32_f16 v10, v1, v15, v10
	;;#ASMEND
	;;#ASMSTART
	v_dot2_f32_f16 v10, v2, v16, v10
	;;#ASMEND
	;;#ASMSTART
	v_dot2_f32_f16 v10, v3, v17, v10
	;;#ASMEND
	;; [unrolled: 13-line block ×5, first 2 shown]
	;;#ASMSTART
	v_dot2_f32_f16 v11, v48, v14, v11
	;;#ASMEND
	;;#ASMSTART
	v_dot2_f32_f16 v11, v49, v15, v11
	;;#ASMEND
	;; [unrolled: 3-line block ×12, first 2 shown]
	ds_load_b128 v[0:3], v108 offset:16
	ds_load_b128 v[4:7], v107 offset:272
	;; [unrolled: 1-line block ×6, first 2 shown]
	s_wait_dscnt 0x4
	;;#ASMSTART
	v_dot2_f32_f16 v12, v0, v4, v12
	;;#ASMEND
	;;#ASMSTART
	v_dot2_f32_f16 v12, v1, v5, v12
	;;#ASMEND
	;;#ASMSTART
	v_dot2_f32_f16 v12, v2, v6, v12
	;;#ASMEND
	;;#ASMSTART
	v_dot2_f32_f16 v12, v3, v7, v12
	;;#ASMEND
	s_wait_dscnt 0x3
	;;#ASMSTART
	v_dot2_f32_f16 v10, v0, v14, v10
	;;#ASMEND
	;;#ASMSTART
	v_dot2_f32_f16 v10, v1, v15, v10
	;;#ASMEND
	;;#ASMSTART
	v_dot2_f32_f16 v10, v2, v16, v10
	;;#ASMEND
	;;#ASMSTART
	v_dot2_f32_f16 v10, v3, v17, v10
	;;#ASMEND
	;; [unrolled: 13-line block ×5, first 2 shown]
	;;#ASMSTART
	v_dot2_f32_f16 v11, v48, v14, v11
	;;#ASMEND
	;;#ASMSTART
	v_dot2_f32_f16 v11, v49, v15, v11
	;;#ASMEND
	;; [unrolled: 3-line block ×12, first 2 shown]
	ds_load_b128 v[0:3], v108 offset:32
	ds_load_b128 v[4:7], v107 offset:288
	;; [unrolled: 1-line block ×6, first 2 shown]
	s_wait_dscnt 0x4
	;;#ASMSTART
	v_dot2_f32_f16 v12, v0, v4, v12
	;;#ASMEND
	;;#ASMSTART
	v_dot2_f32_f16 v12, v1, v5, v12
	;;#ASMEND
	;;#ASMSTART
	v_dot2_f32_f16 v12, v2, v6, v12
	;;#ASMEND
	;;#ASMSTART
	v_dot2_f32_f16 v12, v3, v7, v12
	;;#ASMEND
	s_wait_dscnt 0x3
	;;#ASMSTART
	v_dot2_f32_f16 v10, v0, v14, v10
	;;#ASMEND
	;;#ASMSTART
	v_dot2_f32_f16 v10, v1, v15, v10
	;;#ASMEND
	;;#ASMSTART
	v_dot2_f32_f16 v10, v2, v16, v10
	;;#ASMEND
	;;#ASMSTART
	v_dot2_f32_f16 v10, v3, v17, v10
	;;#ASMEND
	;; [unrolled: 13-line block ×5, first 2 shown]
	;;#ASMSTART
	v_dot2_f32_f16 v11, v48, v14, v11
	;;#ASMEND
	;;#ASMSTART
	v_dot2_f32_f16 v11, v49, v15, v11
	;;#ASMEND
	;; [unrolled: 3-line block ×12, first 2 shown]
	ds_load_b128 v[0:3], v108 offset:48
	ds_load_b128 v[4:7], v107 offset:304
	;; [unrolled: 1-line block ×6, first 2 shown]
	s_wait_dscnt 0x4
	;;#ASMSTART
	v_dot2_f32_f16 v12, v0, v4, v12
	;;#ASMEND
	;;#ASMSTART
	v_dot2_f32_f16 v12, v1, v5, v12
	;;#ASMEND
	;;#ASMSTART
	v_dot2_f32_f16 v12, v2, v6, v12
	;;#ASMEND
	;;#ASMSTART
	v_dot2_f32_f16 v12, v3, v7, v12
	;;#ASMEND
	s_wait_dscnt 0x3
	;;#ASMSTART
	v_dot2_f32_f16 v10, v0, v14, v10
	;;#ASMEND
	;;#ASMSTART
	v_dot2_f32_f16 v10, v1, v15, v10
	;;#ASMEND
	;;#ASMSTART
	v_dot2_f32_f16 v10, v2, v16, v10
	;;#ASMEND
	;;#ASMSTART
	v_dot2_f32_f16 v10, v3, v17, v10
	;;#ASMEND
	s_wait_dscnt 0x2
	;;#ASMSTART
	v_dot2_f32_f16 v8, v0, v40, v8
	;;#ASMEND
	;;#ASMSTART
	v_dot2_f32_f16 v8, v1, v41, v8
	;;#ASMEND
	;;#ASMSTART
	v_dot2_f32_f16 v8, v2, v42, v8
	;;#ASMEND
	;;#ASMSTART
	v_dot2_f32_f16 v8, v3, v43, v8
	;;#ASMEND
	s_wait_dscnt 0x1
	;;#ASMSTART
	v_dot2_f32_f16 v81, v0, v44, v81
	;;#ASMEND
	;;#ASMSTART
	v_dot2_f32_f16 v81, v1, v45, v81
	;;#ASMEND
	;;#ASMSTART
	v_dot2_f32_f16 v81, v2, v46, v81
	;;#ASMEND
	;;#ASMSTART
	v_dot2_f32_f16 v81, v3, v47, v81
	;;#ASMEND
	s_wait_dscnt 0x0
	;;#ASMSTART
	v_dot2_f32_f16 v13, v48, v4, v13
	;;#ASMEND
	;;#ASMSTART
	v_dot2_f32_f16 v13, v49, v5, v13
	;;#ASMEND
	;;#ASMSTART
	v_dot2_f32_f16 v13, v50, v6, v13
	;;#ASMEND
	;;#ASMSTART
	v_dot2_f32_f16 v13, v51, v7, v13
	;;#ASMEND
	;;#ASMSTART
	v_dot2_f32_f16 v11, v48, v14, v11
	;;#ASMEND
	;;#ASMSTART
	v_dot2_f32_f16 v11, v49, v15, v11
	;;#ASMEND
	;; [unrolled: 3-line block ×12, first 2 shown]
	ds_load_b128 v[0:3], v108 offset:64
	ds_load_b128 v[4:7], v107 offset:320
	ds_load_b128 v[14:17], v107 offset:832
	ds_load_b128 v[40:43], v107 offset:1344
	ds_load_b128 v[44:47], v107 offset:1856
	ds_load_b128 v[48:51], v108 offset:8768
	s_wait_dscnt 0x4
	;;#ASMSTART
	v_dot2_f32_f16 v12, v0, v4, v12
	;;#ASMEND
	;;#ASMSTART
	v_dot2_f32_f16 v12, v1, v5, v12
	;;#ASMEND
	;;#ASMSTART
	v_dot2_f32_f16 v12, v2, v6, v12
	;;#ASMEND
	;;#ASMSTART
	v_dot2_f32_f16 v12, v3, v7, v12
	;;#ASMEND
	s_wait_dscnt 0x3
	;;#ASMSTART
	v_dot2_f32_f16 v10, v0, v14, v10
	;;#ASMEND
	;;#ASMSTART
	v_dot2_f32_f16 v10, v1, v15, v10
	;;#ASMEND
	;;#ASMSTART
	v_dot2_f32_f16 v10, v2, v16, v10
	;;#ASMEND
	;;#ASMSTART
	v_dot2_f32_f16 v10, v3, v17, v10
	;;#ASMEND
	;; [unrolled: 13-line block ×5, first 2 shown]
	;;#ASMSTART
	v_dot2_f32_f16 v11, v48, v14, v11
	;;#ASMEND
	;;#ASMSTART
	v_dot2_f32_f16 v11, v49, v15, v11
	;;#ASMEND
	;; [unrolled: 3-line block ×12, first 2 shown]
	ds_load_b128 v[0:3], v108 offset:80
	ds_load_b128 v[4:7], v107 offset:336
	;; [unrolled: 1-line block ×6, first 2 shown]
	s_wait_dscnt 0x4
	;;#ASMSTART
	v_dot2_f32_f16 v12, v0, v4, v12
	;;#ASMEND
	;;#ASMSTART
	v_dot2_f32_f16 v12, v1, v5, v12
	;;#ASMEND
	;;#ASMSTART
	v_dot2_f32_f16 v12, v2, v6, v12
	;;#ASMEND
	;;#ASMSTART
	v_dot2_f32_f16 v12, v3, v7, v12
	;;#ASMEND
	s_wait_dscnt 0x3
	;;#ASMSTART
	v_dot2_f32_f16 v10, v0, v14, v10
	;;#ASMEND
	;;#ASMSTART
	v_dot2_f32_f16 v10, v1, v15, v10
	;;#ASMEND
	;;#ASMSTART
	v_dot2_f32_f16 v10, v2, v16, v10
	;;#ASMEND
	;;#ASMSTART
	v_dot2_f32_f16 v10, v3, v17, v10
	;;#ASMEND
	;; [unrolled: 13-line block ×5, first 2 shown]
	;;#ASMSTART
	v_dot2_f32_f16 v11, v48, v14, v11
	;;#ASMEND
	;;#ASMSTART
	v_dot2_f32_f16 v11, v49, v15, v11
	;;#ASMEND
	;; [unrolled: 3-line block ×12, first 2 shown]
	ds_load_b128 v[0:3], v108 offset:96
	ds_load_b128 v[4:7], v107 offset:352
	;; [unrolled: 1-line block ×6, first 2 shown]
	s_wait_dscnt 0x4
	;;#ASMSTART
	v_dot2_f32_f16 v12, v0, v4, v12
	;;#ASMEND
	;;#ASMSTART
	v_dot2_f32_f16 v12, v1, v5, v12
	;;#ASMEND
	;;#ASMSTART
	v_dot2_f32_f16 v12, v2, v6, v12
	;;#ASMEND
	;;#ASMSTART
	v_dot2_f32_f16 v12, v3, v7, v12
	;;#ASMEND
	s_wait_dscnt 0x3
	;;#ASMSTART
	v_dot2_f32_f16 v10, v0, v14, v10
	;;#ASMEND
	;;#ASMSTART
	v_dot2_f32_f16 v10, v1, v15, v10
	;;#ASMEND
	;;#ASMSTART
	v_dot2_f32_f16 v10, v2, v16, v10
	;;#ASMEND
	;;#ASMSTART
	v_dot2_f32_f16 v10, v3, v17, v10
	;;#ASMEND
	;; [unrolled: 13-line block ×5, first 2 shown]
	;;#ASMSTART
	v_dot2_f32_f16 v11, v48, v14, v11
	;;#ASMEND
	;;#ASMSTART
	v_dot2_f32_f16 v11, v49, v15, v11
	;;#ASMEND
	;; [unrolled: 3-line block ×12, first 2 shown]
	ds_load_b128 v[0:3], v108 offset:112
	ds_load_b128 v[4:7], v107 offset:368
	;; [unrolled: 1-line block ×6, first 2 shown]
	s_wait_dscnt 0x4
	;;#ASMSTART
	v_dot2_f32_f16 v12, v0, v4, v12
	;;#ASMEND
	;;#ASMSTART
	v_dot2_f32_f16 v12, v1, v5, v12
	;;#ASMEND
	;;#ASMSTART
	v_dot2_f32_f16 v12, v2, v6, v12
	;;#ASMEND
	;;#ASMSTART
	v_dot2_f32_f16 v12, v3, v7, v12
	;;#ASMEND
	s_wait_dscnt 0x3
	;;#ASMSTART
	v_dot2_f32_f16 v10, v0, v14, v10
	;;#ASMEND
	;;#ASMSTART
	v_dot2_f32_f16 v10, v1, v15, v10
	;;#ASMEND
	;;#ASMSTART
	v_dot2_f32_f16 v10, v2, v16, v10
	;;#ASMEND
	;;#ASMSTART
	v_dot2_f32_f16 v10, v3, v17, v10
	;;#ASMEND
	;; [unrolled: 13-line block ×5, first 2 shown]
	;;#ASMSTART
	v_dot2_f32_f16 v11, v48, v14, v11
	;;#ASMEND
	;;#ASMSTART
	v_dot2_f32_f16 v11, v49, v15, v11
	;;#ASMEND
	;; [unrolled: 3-line block ×12, first 2 shown]
	ds_load_b128 v[0:3], v108 offset:128
	ds_load_b128 v[4:7], v107 offset:384
	;; [unrolled: 1-line block ×6, first 2 shown]
	s_wait_dscnt 0x4
	;;#ASMSTART
	v_dot2_f32_f16 v12, v0, v4, v12
	;;#ASMEND
	;;#ASMSTART
	v_dot2_f32_f16 v12, v1, v5, v12
	;;#ASMEND
	;;#ASMSTART
	v_dot2_f32_f16 v12, v2, v6, v12
	;;#ASMEND
	;;#ASMSTART
	v_dot2_f32_f16 v12, v3, v7, v12
	;;#ASMEND
	s_wait_dscnt 0x3
	;;#ASMSTART
	v_dot2_f32_f16 v10, v0, v14, v10
	;;#ASMEND
	;;#ASMSTART
	v_dot2_f32_f16 v10, v1, v15, v10
	;;#ASMEND
	;;#ASMSTART
	v_dot2_f32_f16 v10, v2, v16, v10
	;;#ASMEND
	;;#ASMSTART
	v_dot2_f32_f16 v10, v3, v17, v10
	;;#ASMEND
	;; [unrolled: 13-line block ×5, first 2 shown]
	;;#ASMSTART
	v_dot2_f32_f16 v11, v48, v14, v11
	;;#ASMEND
	;;#ASMSTART
	v_dot2_f32_f16 v11, v49, v15, v11
	;;#ASMEND
	;; [unrolled: 3-line block ×12, first 2 shown]
	ds_load_b128 v[0:3], v108 offset:144
	ds_load_b128 v[4:7], v107 offset:400
	;; [unrolled: 1-line block ×6, first 2 shown]
	s_wait_dscnt 0x4
	;;#ASMSTART
	v_dot2_f32_f16 v12, v0, v4, v12
	;;#ASMEND
	;;#ASMSTART
	v_dot2_f32_f16 v12, v1, v5, v12
	;;#ASMEND
	;;#ASMSTART
	v_dot2_f32_f16 v12, v2, v6, v12
	;;#ASMEND
	;;#ASMSTART
	v_dot2_f32_f16 v12, v3, v7, v12
	;;#ASMEND
	s_wait_dscnt 0x3
	;;#ASMSTART
	v_dot2_f32_f16 v10, v0, v14, v10
	;;#ASMEND
	;;#ASMSTART
	v_dot2_f32_f16 v10, v1, v15, v10
	;;#ASMEND
	;;#ASMSTART
	v_dot2_f32_f16 v10, v2, v16, v10
	;;#ASMEND
	;;#ASMSTART
	v_dot2_f32_f16 v10, v3, v17, v10
	;;#ASMEND
	;; [unrolled: 13-line block ×5, first 2 shown]
	;;#ASMSTART
	v_dot2_f32_f16 v11, v48, v14, v11
	;;#ASMEND
	;;#ASMSTART
	v_dot2_f32_f16 v11, v49, v15, v11
	;;#ASMEND
	;; [unrolled: 3-line block ×12, first 2 shown]
	ds_load_b128 v[0:3], v108 offset:160
	ds_load_b128 v[4:7], v107 offset:416
	;; [unrolled: 1-line block ×6, first 2 shown]
	s_wait_dscnt 0x4
	;;#ASMSTART
	v_dot2_f32_f16 v12, v0, v4, v12
	;;#ASMEND
	;;#ASMSTART
	v_dot2_f32_f16 v12, v1, v5, v12
	;;#ASMEND
	;;#ASMSTART
	v_dot2_f32_f16 v12, v2, v6, v12
	;;#ASMEND
	;;#ASMSTART
	v_dot2_f32_f16 v12, v3, v7, v12
	;;#ASMEND
	s_wait_dscnt 0x3
	;;#ASMSTART
	v_dot2_f32_f16 v10, v0, v14, v10
	;;#ASMEND
	;;#ASMSTART
	v_dot2_f32_f16 v10, v1, v15, v10
	;;#ASMEND
	;;#ASMSTART
	v_dot2_f32_f16 v10, v2, v16, v10
	;;#ASMEND
	;;#ASMSTART
	v_dot2_f32_f16 v10, v3, v17, v10
	;;#ASMEND
	;; [unrolled: 13-line block ×5, first 2 shown]
	;;#ASMSTART
	v_dot2_f32_f16 v11, v48, v14, v11
	;;#ASMEND
	;;#ASMSTART
	v_dot2_f32_f16 v11, v49, v15, v11
	;;#ASMEND
	;; [unrolled: 3-line block ×12, first 2 shown]
	ds_load_b128 v[0:3], v108 offset:176
	ds_load_b128 v[4:7], v107 offset:432
	;; [unrolled: 1-line block ×6, first 2 shown]
	s_wait_dscnt 0x4
	;;#ASMSTART
	v_dot2_f32_f16 v12, v0, v4, v12
	;;#ASMEND
	;;#ASMSTART
	v_dot2_f32_f16 v12, v1, v5, v12
	;;#ASMEND
	;;#ASMSTART
	v_dot2_f32_f16 v12, v2, v6, v12
	;;#ASMEND
	;;#ASMSTART
	v_dot2_f32_f16 v12, v3, v7, v12
	;;#ASMEND
	s_wait_dscnt 0x3
	;;#ASMSTART
	v_dot2_f32_f16 v10, v0, v14, v10
	;;#ASMEND
	;;#ASMSTART
	v_dot2_f32_f16 v10, v1, v15, v10
	;;#ASMEND
	;;#ASMSTART
	v_dot2_f32_f16 v10, v2, v16, v10
	;;#ASMEND
	;;#ASMSTART
	v_dot2_f32_f16 v10, v3, v17, v10
	;;#ASMEND
	;; [unrolled: 13-line block ×5, first 2 shown]
	;;#ASMSTART
	v_dot2_f32_f16 v11, v48, v14, v11
	;;#ASMEND
	;;#ASMSTART
	v_dot2_f32_f16 v11, v49, v15, v11
	;;#ASMEND
	;; [unrolled: 3-line block ×12, first 2 shown]
	ds_load_b128 v[0:3], v108 offset:192
	ds_load_b128 v[4:7], v107 offset:448
	;; [unrolled: 1-line block ×6, first 2 shown]
	s_wait_dscnt 0x4
	;;#ASMSTART
	v_dot2_f32_f16 v12, v0, v4, v12
	;;#ASMEND
	;;#ASMSTART
	v_dot2_f32_f16 v12, v1, v5, v12
	;;#ASMEND
	;;#ASMSTART
	v_dot2_f32_f16 v12, v2, v6, v12
	;;#ASMEND
	;;#ASMSTART
	v_dot2_f32_f16 v12, v3, v7, v12
	;;#ASMEND
	s_wait_dscnt 0x3
	;;#ASMSTART
	v_dot2_f32_f16 v10, v0, v14, v10
	;;#ASMEND
	;;#ASMSTART
	v_dot2_f32_f16 v10, v1, v15, v10
	;;#ASMEND
	;;#ASMSTART
	v_dot2_f32_f16 v10, v2, v16, v10
	;;#ASMEND
	;;#ASMSTART
	v_dot2_f32_f16 v10, v3, v17, v10
	;;#ASMEND
	;; [unrolled: 13-line block ×5, first 2 shown]
	;;#ASMSTART
	v_dot2_f32_f16 v11, v48, v14, v11
	;;#ASMEND
	;;#ASMSTART
	v_dot2_f32_f16 v11, v49, v15, v11
	;;#ASMEND
	;; [unrolled: 3-line block ×12, first 2 shown]
	ds_load_b128 v[0:3], v108 offset:208
	ds_load_b128 v[4:7], v107 offset:464
	;; [unrolled: 1-line block ×6, first 2 shown]
	s_wait_dscnt 0x4
	;;#ASMSTART
	v_dot2_f32_f16 v12, v0, v4, v12
	;;#ASMEND
	;;#ASMSTART
	v_dot2_f32_f16 v12, v1, v5, v12
	;;#ASMEND
	;;#ASMSTART
	v_dot2_f32_f16 v12, v2, v6, v12
	;;#ASMEND
	;;#ASMSTART
	v_dot2_f32_f16 v12, v3, v7, v12
	;;#ASMEND
	s_wait_dscnt 0x3
	;;#ASMSTART
	v_dot2_f32_f16 v10, v0, v14, v10
	;;#ASMEND
	;;#ASMSTART
	v_dot2_f32_f16 v10, v1, v15, v10
	;;#ASMEND
	;;#ASMSTART
	v_dot2_f32_f16 v10, v2, v16, v10
	;;#ASMEND
	;;#ASMSTART
	v_dot2_f32_f16 v10, v3, v17, v10
	;;#ASMEND
	;; [unrolled: 13-line block ×5, first 2 shown]
	;;#ASMSTART
	v_dot2_f32_f16 v11, v48, v14, v11
	;;#ASMEND
	;;#ASMSTART
	v_dot2_f32_f16 v11, v49, v15, v11
	;;#ASMEND
	;; [unrolled: 3-line block ×12, first 2 shown]
	ds_load_b128 v[0:3], v108 offset:224
	ds_load_b128 v[4:7], v107 offset:480
	;; [unrolled: 1-line block ×6, first 2 shown]
	s_wait_dscnt 0x4
	;;#ASMSTART
	v_dot2_f32_f16 v12, v0, v4, v12
	;;#ASMEND
	;;#ASMSTART
	v_dot2_f32_f16 v12, v1, v5, v12
	;;#ASMEND
	;;#ASMSTART
	v_dot2_f32_f16 v12, v2, v6, v12
	;;#ASMEND
	;;#ASMSTART
	v_dot2_f32_f16 v12, v3, v7, v12
	;;#ASMEND
	s_wait_dscnt 0x3
	;;#ASMSTART
	v_dot2_f32_f16 v10, v0, v14, v10
	;;#ASMEND
	;;#ASMSTART
	v_dot2_f32_f16 v10, v1, v15, v10
	;;#ASMEND
	;;#ASMSTART
	v_dot2_f32_f16 v10, v2, v16, v10
	;;#ASMEND
	;;#ASMSTART
	v_dot2_f32_f16 v10, v3, v17, v10
	;;#ASMEND
	;; [unrolled: 13-line block ×5, first 2 shown]
	;;#ASMSTART
	v_dot2_f32_f16 v11, v48, v14, v11
	;;#ASMEND
	;;#ASMSTART
	v_dot2_f32_f16 v11, v49, v15, v11
	;;#ASMEND
	;; [unrolled: 3-line block ×12, first 2 shown]
	ds_load_b128 v[0:3], v108 offset:240
	ds_load_b128 v[4:7], v107 offset:496
	;; [unrolled: 1-line block ×6, first 2 shown]
	s_wait_dscnt 0x4
	;;#ASMSTART
	v_dot2_f32_f16 v12, v0, v4, v12
	;;#ASMEND
	;;#ASMSTART
	v_dot2_f32_f16 v12, v1, v5, v12
	;;#ASMEND
	;;#ASMSTART
	v_dot2_f32_f16 v12, v2, v6, v12
	;;#ASMEND
	;;#ASMSTART
	v_dot2_f32_f16 v12, v3, v7, v12
	;;#ASMEND
	s_wait_dscnt 0x3
	;;#ASMSTART
	v_dot2_f32_f16 v10, v0, v14, v10
	;;#ASMEND
	;;#ASMSTART
	v_dot2_f32_f16 v10, v1, v15, v10
	;;#ASMEND
	;;#ASMSTART
	v_dot2_f32_f16 v10, v2, v16, v10
	;;#ASMEND
	;;#ASMSTART
	v_dot2_f32_f16 v10, v3, v17, v10
	;;#ASMEND
	;; [unrolled: 13-line block ×5, first 2 shown]
	;;#ASMSTART
	v_dot2_f32_f16 v11, v48, v14, v11
	;;#ASMEND
	;;#ASMSTART
	v_dot2_f32_f16 v11, v49, v15, v11
	;;#ASMEND
	;; [unrolled: 3-line block ×5, first 2 shown]
	v_cmp_ngt_f32_e64 s25, 0x3f200000, |v12|
	;;#ASMSTART
	v_dot2_f32_f16 v9, v49, v41, v9
	;;#ASMEND
	;;#ASMSTART
	v_dot2_f32_f16 v9, v50, v42, v9
	;;#ASMEND
	;; [unrolled: 3-line block ×7, first 2 shown]
                                        ; implicit-def: $vgpr2
	s_and_saveexec_b32 s26, s25
	s_delay_alu instid0(SALU_CYCLE_1)
	s_xor_b32 s25, exec_lo, s26
	s_cbranch_execz .LBB65_11
; %bb.10:                               ;   in Loop: Header=BB65_9 Depth=1
	v_add_f32_e64 v0, |v12|, |v12|
	s_delay_alu instid0(VALU_DEP_1) | instskip(SKIP_1) | instid1(VALU_DEP_2)
	v_mul_f32_e32 v1, 0x3fb8aa3b, v0
	v_cmp_ngt_f32_e32 vcc_lo, 0xc2ce8ed0, v0
	v_rndne_f32_e32 v2, v1
	v_fma_f32 v3, 0x3fb8aa3b, v0, -v1
	s_delay_alu instid0(VALU_DEP_2) | instskip(NEXT) | instid1(VALU_DEP_2)
	v_sub_f32_e32 v1, v1, v2
	v_fmac_f32_e32 v3, 0x32a5705f, v0
	v_cvt_i32_f32_e32 v2, v2
	s_delay_alu instid0(VALU_DEP_2) | instskip(NEXT) | instid1(VALU_DEP_1)
	v_add_f32_e32 v1, v1, v3
	v_exp_f32_e32 v1, v1
	v_nop
	s_delay_alu instid0(TRANS32_DEP_1) | instskip(NEXT) | instid1(VALU_DEP_1)
	v_ldexp_f32 v1, v1, v2
	v_cndmask_b32_e32 v1, 0, v1, vcc_lo
	v_cmp_nlt_f32_e32 vcc_lo, 0x42b17218, v0
	s_delay_alu instid0(VALU_DEP_2) | instskip(NEXT) | instid1(VALU_DEP_1)
	v_cndmask_b32_e32 v0, 0x7f800000, v1, vcc_lo
	v_add_f32_e32 v0, 1.0, v0
	s_delay_alu instid0(VALU_DEP_1) | instskip(SKIP_1) | instid1(TRANS32_DEP_1)
	v_rcp_f32_e32 v0, v0
	v_nop
	v_fma_f32 v2, v0, -2.0, 1.0
.LBB65_11:                              ;   in Loop: Header=BB65_9 Depth=1
	s_and_not1_saveexec_b32 s25, s25
	s_cbranch_execz .LBB65_13
; %bb.12:                               ;   in Loop: Header=BB65_9 Depth=1
	v_mul_f32_e32 v0, v12, v12
	s_delay_alu instid0(VALU_DEP_1) | instskip(NEXT) | instid1(VALU_DEP_1)
	v_fmaak_f32 v1, s24, v0, 0x3ca908c9
	v_fmaak_f32 v1, v0, v1, 0xbd5c1c4e
	s_delay_alu instid0(VALU_DEP_1) | instskip(NEXT) | instid1(VALU_DEP_1)
	v_fmaak_f32 v1, v0, v1, 0x3e088382
	v_fmaak_f32 v1, v0, v1, 0xbeaaaa99
	s_delay_alu instid0(VALU_DEP_1) | instskip(NEXT) | instid1(VALU_DEP_1)
	v_mul_f32_e64 v1, |v12|, v1
	v_fma_f32 v2, v0, v1, |v12|
.LBB65_13:                              ;   in Loop: Header=BB65_9 Depth=1
	s_or_b32 exec_lo, exec_lo, s25
	v_add_nc_u32_e32 v4, s4, v98
	v_cmp_ngt_f32_e64 s25, 0x3f200000, |v13|
                                        ; implicit-def: $vgpr3
	s_delay_alu instid0(VALU_DEP_2) | instskip(SKIP_3) | instid1(SALU_CYCLE_1)
	v_add_nc_u32_e32 v0, v4, v109
	global_load_u16 v5, v0, s[34:35] scale_offset
	s_wait_xcnt 0x0
	s_and_saveexec_b32 s26, s25
	s_xor_b32 s25, exec_lo, s26
	s_cbranch_execz .LBB65_15
; %bb.14:                               ;   in Loop: Header=BB65_9 Depth=1
	v_add_f32_e64 v1, |v13|, |v13|
	s_delay_alu instid0(VALU_DEP_1) | instskip(SKIP_1) | instid1(VALU_DEP_2)
	v_mul_f32_e32 v3, 0x3fb8aa3b, v1
	v_cmp_ngt_f32_e32 vcc_lo, 0xc2ce8ed0, v1
	v_rndne_f32_e32 v6, v3
	v_fma_f32 v7, 0x3fb8aa3b, v1, -v3
	s_delay_alu instid0(VALU_DEP_2) | instskip(NEXT) | instid1(VALU_DEP_2)
	v_sub_f32_e32 v3, v3, v6
	v_fmac_f32_e32 v7, 0x32a5705f, v1
	v_cvt_i32_f32_e32 v6, v6
	s_delay_alu instid0(VALU_DEP_2) | instskip(NEXT) | instid1(VALU_DEP_1)
	v_add_f32_e32 v3, v3, v7
	v_exp_f32_e32 v3, v3
	v_nop
	s_delay_alu instid0(TRANS32_DEP_1) | instskip(NEXT) | instid1(VALU_DEP_1)
	v_ldexp_f32 v3, v3, v6
	v_cndmask_b32_e32 v3, 0, v3, vcc_lo
	v_cmp_nlt_f32_e32 vcc_lo, 0x42b17218, v1
	s_delay_alu instid0(VALU_DEP_2) | instskip(NEXT) | instid1(VALU_DEP_1)
	v_cndmask_b32_e32 v1, 0x7f800000, v3, vcc_lo
	v_add_f32_e32 v1, 1.0, v1
	s_delay_alu instid0(VALU_DEP_1) | instskip(SKIP_1) | instid1(TRANS32_DEP_1)
	v_rcp_f32_e32 v1, v1
	v_nop
	v_fma_f32 v3, v1, -2.0, 1.0
.LBB65_15:                              ;   in Loop: Header=BB65_9 Depth=1
	s_and_not1_saveexec_b32 s25, s25
	s_cbranch_execz .LBB65_17
; %bb.16:                               ;   in Loop: Header=BB65_9 Depth=1
	v_mul_f32_e32 v1, v13, v13
	s_delay_alu instid0(VALU_DEP_1) | instskip(NEXT) | instid1(VALU_DEP_1)
	v_fmaak_f32 v3, s24, v1, 0x3ca908c9
	v_fmaak_f32 v3, v1, v3, 0xbd5c1c4e
	s_delay_alu instid0(VALU_DEP_1) | instskip(NEXT) | instid1(VALU_DEP_1)
	v_fmaak_f32 v3, v1, v3, 0x3e088382
	v_fmaak_f32 v3, v1, v3, 0xbeaaaa99
	s_delay_alu instid0(VALU_DEP_1) | instskip(NEXT) | instid1(VALU_DEP_1)
	v_mul_f32_e64 v3, |v13|, v3
	v_fma_f32 v3, v1, v3, |v13|
.LBB65_17:                              ;   in Loop: Header=BB65_9 Depth=1
	s_or_b32 exec_lo, exec_lo, s25
	v_dual_ashrrev_i32 v1, 31, v0 :: v_dual_bitop2_b32 v120, 16, v101 bitop3:0x14
	v_xor_b32_e32 v116, 1, v101
	v_cmp_ngt_f32_e64 s25, 0x3f200000, |v10|
	v_xor_b32_e32 v118, 4, v101
	s_delay_alu instid0(VALU_DEP_4)
	v_lshl_add_u64 v[0:1], v[0:1], 1, s[34:35]
	v_cmp_gt_i32_e32 vcc_lo, 32, v120
	global_load_u16 v0, v[0:1], off offset:64
	s_wait_xcnt 0x0
	v_bfi_b32 v1, 0x7fffffff, v2, v12
	v_bfi_b32 v2, 0x7fffffff, v3, v13
	s_wait_loadcnt 0x1
	s_delay_alu instid0(VALU_DEP_2) | instskip(NEXT) | instid1(VALU_DEP_1)
	v_fma_mix_f32 v43, s3, v1, v5 op_sel_hi:[0,0,1]
	v_add_f32_e32 v1, 0x40051340, v43
	s_wait_loadcnt 0x0
	v_fma_mix_f32 v44, s3, v2, v0 op_sel_hi:[0,0,1]
	v_cndmask_b32_e32 v2, v101, v120, vcc_lo
	s_delay_alu instid0(VALU_DEP_1) | instskip(NEXT) | instid1(VALU_DEP_1)
	v_dual_add_f32 v3, 0x40051340, v44 :: v_dual_lshlrev_b32 v2, 2, v2
	v_max3_num_f32 v1, v37, v1, v3
	ds_bpermute_b32 v3, v2, v1
	s_wait_dscnt 0x0
	v_dual_max_num_f32 v3, v3, v3 :: v_dual_bitop2_b32 v119, 8, v101 bitop3:0x14
	s_delay_alu instid0(VALU_DEP_1) | instskip(NEXT) | instid1(VALU_DEP_2)
	v_cmp_gt_i32_e32 vcc_lo, 32, v119
	v_max_num_f32_e32 v1, v1, v3
	v_cndmask_b32_e32 v6, v101, v119, vcc_lo
	v_cmp_gt_i32_e32 vcc_lo, 32, v118
	s_delay_alu instid0(VALU_DEP_2) | instskip(SKIP_3) | instid1(VALU_DEP_1)
	v_lshlrev_b32_e32 v42, 2, v6
	ds_bpermute_b32 v3, v42, v1
	s_wait_dscnt 0x0
	v_dual_cndmask_b32 v6, v101, v118 :: v_dual_max_num_f32 v3, v3, v3
	v_dual_lshlrev_b32 v41, 2, v6 :: v_dual_max_num_f32 v1, v1, v3
	ds_bpermute_b32 v3, v41, v1
	s_wait_dscnt 0x0
	v_dual_max_num_f32 v3, v3, v3 :: v_dual_bitop2_b32 v117, 2, v101 bitop3:0x14
	s_delay_alu instid0(VALU_DEP_1) | instskip(NEXT) | instid1(VALU_DEP_2)
	v_cmp_gt_i32_e32 vcc_lo, 32, v117
	v_max_num_f32_e32 v1, v1, v3
	v_cndmask_b32_e32 v6, v101, v117, vcc_lo
	v_cmp_gt_i32_e32 vcc_lo, 32, v116
	s_delay_alu instid0(VALU_DEP_2) | instskip(SKIP_3) | instid1(VALU_DEP_1)
	v_dual_lshlrev_b32 v40, 2, v6 :: v_dual_cndmask_b32 v6, v101, v116, vcc_lo
	ds_bpermute_b32 v3, v40, v1
	s_wait_dscnt 0x0
	v_dual_max_num_f32 v7, v3, v3 :: v_dual_lshlrev_b32 v3, 2, v6
	v_max_num_f32_e32 v47, v1, v7
                                        ; implicit-def: $vgpr1
	ds_bpermute_b32 v48, v3, v47
	s_and_saveexec_b32 s26, s25
	s_delay_alu instid0(SALU_CYCLE_1)
	s_xor_b32 s25, exec_lo, s26
	s_cbranch_execz .LBB65_19
; %bb.18:                               ;   in Loop: Header=BB65_9 Depth=1
	v_add_f32_e64 v1, |v10|, |v10|
	s_delay_alu instid0(VALU_DEP_1) | instskip(SKIP_1) | instid1(VALU_DEP_2)
	v_mul_f32_e32 v6, 0x3fb8aa3b, v1
	v_cmp_ngt_f32_e32 vcc_lo, 0xc2ce8ed0, v1
	v_rndne_f32_e32 v7, v6
	v_fma_f32 v12, 0x3fb8aa3b, v1, -v6
	s_delay_alu instid0(VALU_DEP_2) | instskip(NEXT) | instid1(VALU_DEP_2)
	v_sub_f32_e32 v6, v6, v7
	v_fmac_f32_e32 v12, 0x32a5705f, v1
	v_cvt_i32_f32_e32 v7, v7
	s_delay_alu instid0(VALU_DEP_2) | instskip(NEXT) | instid1(VALU_DEP_1)
	v_add_f32_e32 v6, v6, v12
	v_exp_f32_e32 v6, v6
	v_nop
	s_delay_alu instid0(TRANS32_DEP_1) | instskip(NEXT) | instid1(VALU_DEP_1)
	v_ldexp_f32 v6, v6, v7
	v_cndmask_b32_e32 v6, 0, v6, vcc_lo
	v_cmp_nlt_f32_e32 vcc_lo, 0x42b17218, v1
	s_delay_alu instid0(VALU_DEP_2) | instskip(NEXT) | instid1(VALU_DEP_1)
	v_cndmask_b32_e32 v1, 0x7f800000, v6, vcc_lo
	v_add_f32_e32 v1, 1.0, v1
	s_delay_alu instid0(VALU_DEP_1) | instskip(SKIP_1) | instid1(TRANS32_DEP_1)
	v_rcp_f32_e32 v1, v1
	v_nop
	v_fma_f32 v1, v1, -2.0, 1.0
.LBB65_19:                              ;   in Loop: Header=BB65_9 Depth=1
	s_and_not1_saveexec_b32 s25, s25
	s_cbranch_execz .LBB65_21
; %bb.20:                               ;   in Loop: Header=BB65_9 Depth=1
	v_mul_f32_e32 v1, v10, v10
	s_delay_alu instid0(VALU_DEP_1) | instskip(NEXT) | instid1(VALU_DEP_1)
	v_fmaak_f32 v6, s24, v1, 0x3ca908c9
	v_fmaak_f32 v6, v1, v6, 0xbd5c1c4e
	s_delay_alu instid0(VALU_DEP_1) | instskip(NEXT) | instid1(VALU_DEP_1)
	v_fmaak_f32 v6, v1, v6, 0x3e088382
	v_fmaak_f32 v6, v1, v6, 0xbeaaaa99
	s_delay_alu instid0(VALU_DEP_1) | instskip(NEXT) | instid1(VALU_DEP_1)
	v_mul_f32_e64 v6, |v10|, v6
	v_fma_f32 v1, v1, v6, |v10|
.LBB65_21:                              ;   in Loop: Header=BB65_9 Depth=1
	s_or_b32 exec_lo, exec_lo, s25
	v_cmp_ngt_f32_e64 s25, 0x3f200000, |v11|
                                        ; implicit-def: $vgpr6
	s_and_saveexec_b32 s26, s25
	s_delay_alu instid0(SALU_CYCLE_1)
	s_xor_b32 s25, exec_lo, s26
	s_cbranch_execz .LBB65_23
; %bb.22:                               ;   in Loop: Header=BB65_9 Depth=1
	v_add_f32_e64 v6, |v11|, |v11|
	s_delay_alu instid0(VALU_DEP_1) | instskip(SKIP_1) | instid1(VALU_DEP_2)
	v_mul_f32_e32 v7, 0x3fb8aa3b, v6
	v_cmp_ngt_f32_e32 vcc_lo, 0xc2ce8ed0, v6
	v_rndne_f32_e32 v12, v7
	v_fma_f32 v13, 0x3fb8aa3b, v6, -v7
	s_delay_alu instid0(VALU_DEP_2) | instskip(NEXT) | instid1(VALU_DEP_2)
	v_sub_f32_e32 v7, v7, v12
	v_fmac_f32_e32 v13, 0x32a5705f, v6
	v_cvt_i32_f32_e32 v12, v12
	s_delay_alu instid0(VALU_DEP_2) | instskip(NEXT) | instid1(VALU_DEP_1)
	v_add_f32_e32 v7, v7, v13
	v_exp_f32_e32 v7, v7
	v_nop
	s_delay_alu instid0(TRANS32_DEP_1) | instskip(NEXT) | instid1(VALU_DEP_1)
	v_ldexp_f32 v7, v7, v12
	v_cndmask_b32_e32 v7, 0, v7, vcc_lo
	v_cmp_nlt_f32_e32 vcc_lo, 0x42b17218, v6
	s_delay_alu instid0(VALU_DEP_2) | instskip(NEXT) | instid1(VALU_DEP_1)
	v_cndmask_b32_e32 v6, 0x7f800000, v7, vcc_lo
	v_add_f32_e32 v6, 1.0, v6
	s_delay_alu instid0(VALU_DEP_1) | instskip(SKIP_1) | instid1(TRANS32_DEP_1)
	v_rcp_f32_e32 v6, v6
	v_nop
	v_fma_f32 v6, v6, -2.0, 1.0
.LBB65_23:                              ;   in Loop: Header=BB65_9 Depth=1
	s_and_not1_saveexec_b32 s25, s25
	s_cbranch_execz .LBB65_25
; %bb.24:                               ;   in Loop: Header=BB65_9 Depth=1
	v_mul_f32_e32 v6, v11, v11
	s_delay_alu instid0(VALU_DEP_1) | instskip(NEXT) | instid1(VALU_DEP_1)
	v_fmaak_f32 v7, s24, v6, 0x3ca908c9
	v_fmaak_f32 v7, v6, v7, 0xbd5c1c4e
	s_delay_alu instid0(VALU_DEP_1) | instskip(NEXT) | instid1(VALU_DEP_1)
	v_fmaak_f32 v7, v6, v7, 0x3e088382
	v_fmaak_f32 v7, v6, v7, 0xbeaaaa99
	s_delay_alu instid0(VALU_DEP_1) | instskip(NEXT) | instid1(VALU_DEP_1)
	v_mul_f32_e64 v7, |v11|, v7
	v_fma_f32 v6, v6, v7, |v11|
.LBB65_25:                              ;   in Loop: Header=BB65_9 Depth=1
	s_or_b32 exec_lo, exec_lo, s25
	v_cvt_f32_f16_e32 v45, v5
	v_cvt_f32_f16_e32 v46, v0
	v_bfi_b32 v0, 0x7fffffff, v1, v10
	v_bfi_b32 v1, 0x7fffffff, v6, v11
	v_cmp_ngt_f32_e64 s25, 0x3f200000, |v8|
                                        ; implicit-def: $vgpr5
	s_delay_alu instid0(VALU_DEP_2) | instskip(NEXT) | instid1(VALU_DEP_1)
	v_dual_fmac_f32 v45, s3, v0 :: v_dual_fmac_f32 v46, s3, v1
	v_dual_add_f32 v0, 0x40051340, v45 :: v_dual_add_f32 v1, 0x40051340, v46
	s_delay_alu instid0(VALU_DEP_1) | instskip(SKIP_3) | instid1(VALU_DEP_1)
	v_max3_num_f32 v0, v39, v0, v1
	ds_bpermute_b32 v1, v2, v0
	s_wait_dscnt 0x0
	v_max_num_f32_e32 v1, v1, v1
	v_max_num_f32_e32 v0, v0, v1
	ds_bpermute_b32 v1, v42, v0
	s_wait_dscnt 0x0
	v_max_num_f32_e32 v1, v1, v1
	s_delay_alu instid0(VALU_DEP_1) | instskip(SKIP_3) | instid1(VALU_DEP_1)
	v_max_num_f32_e32 v0, v0, v1
	ds_bpermute_b32 v1, v41, v0
	s_wait_dscnt 0x0
	v_max_num_f32_e32 v1, v1, v1
	v_max_num_f32_e32 v0, v0, v1
	ds_bpermute_b32 v1, v40, v0
	s_wait_dscnt 0x0
	v_max_num_f32_e32 v1, v1, v1
	s_delay_alu instid0(VALU_DEP_1) | instskip(SKIP_2) | instid1(SALU_CYCLE_1)
	v_max_num_f32_e32 v51, v0, v1
	ds_bpermute_b32 v52, v3, v51
	s_and_saveexec_b32 s26, s25
	s_xor_b32 s25, exec_lo, s26
	s_cbranch_execz .LBB65_27
; %bb.26:                               ;   in Loop: Header=BB65_9 Depth=1
	v_add_f32_e64 v0, |v8|, |v8|
	s_delay_alu instid0(VALU_DEP_1) | instskip(SKIP_1) | instid1(VALU_DEP_2)
	v_mul_f32_e32 v1, 0x3fb8aa3b, v0
	v_cmp_ngt_f32_e32 vcc_lo, 0xc2ce8ed0, v0
	v_rndne_f32_e32 v5, v1
	v_fma_f32 v6, 0x3fb8aa3b, v0, -v1
	s_delay_alu instid0(VALU_DEP_1) | instskip(SKIP_1) | instid1(VALU_DEP_2)
	v_dual_sub_f32 v1, v1, v5 :: v_dual_fmac_f32 v6, 0x32a5705f, v0
	v_cvt_i32_f32_e32 v5, v5
	v_add_f32_e32 v1, v1, v6
	s_delay_alu instid0(VALU_DEP_1) | instskip(SKIP_1) | instid1(TRANS32_DEP_1)
	v_exp_f32_e32 v1, v1
	v_nop
	v_ldexp_f32 v1, v1, v5
	s_delay_alu instid0(VALU_DEP_1) | instskip(SKIP_1) | instid1(VALU_DEP_2)
	v_cndmask_b32_e32 v1, 0, v1, vcc_lo
	v_cmp_nlt_f32_e32 vcc_lo, 0x42b17218, v0
	v_cndmask_b32_e32 v0, 0x7f800000, v1, vcc_lo
	s_delay_alu instid0(VALU_DEP_1) | instskip(NEXT) | instid1(VALU_DEP_1)
	v_add_f32_e32 v0, 1.0, v0
	v_rcp_f32_e32 v0, v0
	v_nop
	s_delay_alu instid0(TRANS32_DEP_1)
	v_fma_f32 v5, v0, -2.0, 1.0
.LBB65_27:                              ;   in Loop: Header=BB65_9 Depth=1
	s_and_not1_saveexec_b32 s25, s25
	s_cbranch_execz .LBB65_29
; %bb.28:                               ;   in Loop: Header=BB65_9 Depth=1
	v_mul_f32_e32 v0, v8, v8
	s_delay_alu instid0(VALU_DEP_1) | instskip(NEXT) | instid1(VALU_DEP_1)
	v_fmaak_f32 v1, s24, v0, 0x3ca908c9
	v_fmaak_f32 v1, v0, v1, 0xbd5c1c4e
	s_delay_alu instid0(VALU_DEP_1) | instskip(NEXT) | instid1(VALU_DEP_1)
	v_fmaak_f32 v1, v0, v1, 0x3e088382
	v_fmaak_f32 v1, v0, v1, 0xbeaaaa99
	s_delay_alu instid0(VALU_DEP_1) | instskip(NEXT) | instid1(VALU_DEP_1)
	v_mul_f32_e64 v1, |v8|, v1
	v_fma_f32 v5, v0, v1, |v8|
.LBB65_29:                              ;   in Loop: Header=BB65_9 Depth=1
	s_or_b32 exec_lo, exec_lo, s25
	v_add_nc_u32_e32 v0, v4, v111
	v_cmp_ngt_f32_e64 s25, 0x3f200000, |v9|
                                        ; implicit-def: $vgpr4
	global_load_u16 v53, v0, s[34:35] scale_offset
	s_wait_xcnt 0x0
	s_and_saveexec_b32 s26, s25
	s_delay_alu instid0(SALU_CYCLE_1)
	s_xor_b32 s25, exec_lo, s26
	s_cbranch_execz .LBB65_31
; %bb.30:                               ;   in Loop: Header=BB65_9 Depth=1
	v_add_f32_e64 v1, |v9|, |v9|
	s_delay_alu instid0(VALU_DEP_1) | instskip(SKIP_1) | instid1(VALU_DEP_2)
	v_mul_f32_e32 v4, 0x3fb8aa3b, v1
	v_cmp_ngt_f32_e32 vcc_lo, 0xc2ce8ed0, v1
	v_rndne_f32_e32 v6, v4
	v_fma_f32 v7, 0x3fb8aa3b, v1, -v4
	s_delay_alu instid0(VALU_DEP_1) | instskip(SKIP_1) | instid1(VALU_DEP_2)
	v_dual_sub_f32 v4, v4, v6 :: v_dual_fmac_f32 v7, 0x32a5705f, v1
	v_cvt_i32_f32_e32 v6, v6
	v_add_f32_e32 v4, v4, v7
	s_delay_alu instid0(VALU_DEP_1) | instskip(SKIP_1) | instid1(TRANS32_DEP_1)
	v_exp_f32_e32 v4, v4
	v_nop
	v_ldexp_f32 v4, v4, v6
	s_delay_alu instid0(VALU_DEP_1) | instskip(SKIP_1) | instid1(VALU_DEP_2)
	v_cndmask_b32_e32 v4, 0, v4, vcc_lo
	v_cmp_nlt_f32_e32 vcc_lo, 0x42b17218, v1
	v_cndmask_b32_e32 v1, 0x7f800000, v4, vcc_lo
	s_delay_alu instid0(VALU_DEP_1) | instskip(NEXT) | instid1(VALU_DEP_1)
	v_add_f32_e32 v1, 1.0, v1
	v_rcp_f32_e32 v1, v1
	v_nop
	s_delay_alu instid0(TRANS32_DEP_1)
	v_fma_f32 v4, v1, -2.0, 1.0
.LBB65_31:                              ;   in Loop: Header=BB65_9 Depth=1
	s_and_not1_saveexec_b32 s25, s25
	s_cbranch_execz .LBB65_33
; %bb.32:                               ;   in Loop: Header=BB65_9 Depth=1
	v_mul_f32_e32 v1, v9, v9
	s_delay_alu instid0(VALU_DEP_1) | instskip(NEXT) | instid1(VALU_DEP_1)
	v_fmaak_f32 v4, s24, v1, 0x3ca908c9
	v_fmaak_f32 v4, v1, v4, 0xbd5c1c4e
	s_delay_alu instid0(VALU_DEP_1) | instskip(NEXT) | instid1(VALU_DEP_1)
	v_fmaak_f32 v4, v1, v4, 0x3e088382
	v_fmaak_f32 v4, v1, v4, 0xbeaaaa99
	s_delay_alu instid0(VALU_DEP_1) | instskip(NEXT) | instid1(VALU_DEP_1)
	v_mul_f32_e64 v4, |v9|, v4
	v_fma_f32 v4, v1, v4, |v9|
.LBB65_33:                              ;   in Loop: Header=BB65_9 Depth=1
	s_or_b32 exec_lo, exec_lo, s25
	v_ashrrev_i32_e32 v1, 31, v0
	v_cmp_ngt_f32_e64 s25, 0x3f200000, |v81|
                                        ; implicit-def: $vgpr55
	s_delay_alu instid0(VALU_DEP_2)
	v_lshl_add_u64 v[0:1], v[0:1], 1, s[34:35]
	global_load_u16 v54, v[0:1], off offset:64
	s_wait_xcnt 0x0
	v_bfi_b32 v0, 0x7fffffff, v5, v8
	v_bfi_b32 v1, 0x7fffffff, v4, v9
	s_wait_loadcnt 0x1
	s_delay_alu instid0(VALU_DEP_2) | instskip(NEXT) | instid1(VALU_DEP_1)
	v_fma_mix_f32 v49, s3, v0, v53 op_sel_hi:[0,0,1]
	v_add_f32_e32 v0, 0x40051340, v49
	s_wait_loadcnt 0x0
	v_fma_mix_f32 v50, s3, v1, v54 op_sel_hi:[0,0,1]
	s_delay_alu instid0(VALU_DEP_1) | instskip(NEXT) | instid1(VALU_DEP_1)
	v_add_f32_e32 v1, 0x40051340, v50
	v_max3_num_f32 v0, v38, v0, v1
	ds_bpermute_b32 v1, v2, v0
	s_wait_dscnt 0x0
	v_max_num_f32_e32 v1, v1, v1
	s_delay_alu instid0(VALU_DEP_1) | instskip(SKIP_3) | instid1(VALU_DEP_1)
	v_max_num_f32_e32 v0, v0, v1
	ds_bpermute_b32 v1, v42, v0
	s_wait_dscnt 0x0
	v_max_num_f32_e32 v1, v1, v1
	v_max_num_f32_e32 v0, v0, v1
	ds_bpermute_b32 v1, v41, v0
	s_wait_dscnt 0x0
	v_max_num_f32_e32 v1, v1, v1
	s_delay_alu instid0(VALU_DEP_1) | instskip(SKIP_3) | instid1(VALU_DEP_1)
	v_max_num_f32_e32 v0, v0, v1
	ds_bpermute_b32 v1, v40, v0
	s_wait_dscnt 0x0
	v_max_num_f32_e32 v1, v1, v1
	v_max_num_f32_e32 v0, v0, v1
	ds_bpermute_b32 v1, v3, v0
	s_and_saveexec_b32 s26, s25
	s_delay_alu instid0(SALU_CYCLE_1)
	s_xor_b32 s25, exec_lo, s26
	s_cbranch_execz .LBB65_35
; %bb.34:                               ;   in Loop: Header=BB65_9 Depth=1
	v_add_f32_e64 v4, |v81|, |v81|
	s_delay_alu instid0(VALU_DEP_1) | instskip(SKIP_1) | instid1(VALU_DEP_2)
	v_mul_f32_e32 v5, 0x3fb8aa3b, v4
	v_cmp_ngt_f32_e32 vcc_lo, 0xc2ce8ed0, v4
	v_rndne_f32_e32 v6, v5
	v_fma_f32 v7, 0x3fb8aa3b, v4, -v5
	s_delay_alu instid0(VALU_DEP_2) | instskip(NEXT) | instid1(VALU_DEP_2)
	v_sub_f32_e32 v5, v5, v6
	v_fmac_f32_e32 v7, 0x32a5705f, v4
	v_cvt_i32_f32_e32 v6, v6
	s_delay_alu instid0(VALU_DEP_2) | instskip(NEXT) | instid1(VALU_DEP_1)
	v_add_f32_e32 v5, v5, v7
	v_exp_f32_e32 v5, v5
	v_nop
	s_delay_alu instid0(TRANS32_DEP_1) | instskip(NEXT) | instid1(VALU_DEP_1)
	v_ldexp_f32 v5, v5, v6
	v_cndmask_b32_e32 v5, 0, v5, vcc_lo
	v_cmp_nlt_f32_e32 vcc_lo, 0x42b17218, v4
	s_delay_alu instid0(VALU_DEP_2) | instskip(NEXT) | instid1(VALU_DEP_1)
	v_cndmask_b32_e32 v4, 0x7f800000, v5, vcc_lo
	v_add_f32_e32 v4, 1.0, v4
	s_delay_alu instid0(VALU_DEP_1) | instskip(SKIP_1) | instid1(TRANS32_DEP_1)
	v_rcp_f32_e32 v4, v4
	v_nop
	v_fma_f32 v55, v4, -2.0, 1.0
.LBB65_35:                              ;   in Loop: Header=BB65_9 Depth=1
	s_and_not1_saveexec_b32 s25, s25
	s_cbranch_execz .LBB65_37
; %bb.36:                               ;   in Loop: Header=BB65_9 Depth=1
	v_mul_f32_e32 v4, v81, v81
	s_delay_alu instid0(VALU_DEP_1) | instskip(NEXT) | instid1(VALU_DEP_1)
	v_fmaak_f32 v5, s24, v4, 0x3ca908c9
	v_fmaak_f32 v5, v4, v5, 0xbd5c1c4e
	s_delay_alu instid0(VALU_DEP_1) | instskip(NEXT) | instid1(VALU_DEP_1)
	v_fmaak_f32 v5, v4, v5, 0x3e088382
	v_fmaak_f32 v5, v4, v5, 0xbeaaaa99
	s_delay_alu instid0(VALU_DEP_1) | instskip(NEXT) | instid1(VALU_DEP_1)
	v_mul_f32_e64 v5, |v81|, v5
	v_fma_f32 v55, v4, v5, |v81|
.LBB65_37:                              ;   in Loop: Header=BB65_9 Depth=1
	s_or_b32 exec_lo, exec_lo, s25
	v_cmp_ngt_f32_e64 s25, 0x3f200000, |v82|
                                        ; implicit-def: $vgpr80
	s_and_saveexec_b32 s26, s25
	s_delay_alu instid0(SALU_CYCLE_1)
	s_xor_b32 s25, exec_lo, s26
	s_cbranch_execz .LBB65_39
; %bb.38:                               ;   in Loop: Header=BB65_9 Depth=1
	v_add_f32_e64 v4, |v82|, |v82|
	s_delay_alu instid0(VALU_DEP_1) | instskip(SKIP_1) | instid1(VALU_DEP_2)
	v_mul_f32_e32 v5, 0x3fb8aa3b, v4
	v_cmp_ngt_f32_e32 vcc_lo, 0xc2ce8ed0, v4
	v_rndne_f32_e32 v6, v5
	v_fma_f32 v7, 0x3fb8aa3b, v4, -v5
	s_delay_alu instid0(VALU_DEP_2) | instskip(NEXT) | instid1(VALU_DEP_2)
	v_sub_f32_e32 v5, v5, v6
	v_fmac_f32_e32 v7, 0x32a5705f, v4
	v_cvt_i32_f32_e32 v6, v6
	s_delay_alu instid0(VALU_DEP_2) | instskip(NEXT) | instid1(VALU_DEP_1)
	v_add_f32_e32 v5, v5, v7
	v_exp_f32_e32 v5, v5
	v_nop
	s_delay_alu instid0(TRANS32_DEP_1) | instskip(NEXT) | instid1(VALU_DEP_1)
	v_ldexp_f32 v5, v5, v6
	v_cndmask_b32_e32 v5, 0, v5, vcc_lo
	v_cmp_nlt_f32_e32 vcc_lo, 0x42b17218, v4
	s_delay_alu instid0(VALU_DEP_2) | instskip(NEXT) | instid1(VALU_DEP_1)
	v_cndmask_b32_e32 v4, 0x7f800000, v5, vcc_lo
	v_add_f32_e32 v4, 1.0, v4
	s_delay_alu instid0(VALU_DEP_1) | instskip(SKIP_1) | instid1(TRANS32_DEP_1)
	v_rcp_f32_e32 v4, v4
	v_nop
	v_fma_f32 v80, v4, -2.0, 1.0
.LBB65_39:                              ;   in Loop: Header=BB65_9 Depth=1
	s_and_not1_saveexec_b32 s25, s25
	s_cbranch_execz .LBB65_41
; %bb.40:                               ;   in Loop: Header=BB65_9 Depth=1
	v_mul_f32_e32 v4, v82, v82
	s_delay_alu instid0(VALU_DEP_1) | instskip(NEXT) | instid1(VALU_DEP_1)
	v_fmaak_f32 v5, s24, v4, 0x3ca908c9
	v_fmaak_f32 v5, v4, v5, 0xbd5c1c4e
	s_delay_alu instid0(VALU_DEP_1) | instskip(NEXT) | instid1(VALU_DEP_1)
	v_fmaak_f32 v5, v4, v5, 0x3e088382
	v_fmaak_f32 v5, v4, v5, 0xbeaaaa99
	s_delay_alu instid0(VALU_DEP_1) | instskip(NEXT) | instid1(VALU_DEP_1)
	v_mul_f32_e64 v5, |v82|, v5
	v_fma_f32 v80, v4, v5, |v82|
.LBB65_41:                              ;   in Loop: Header=BB65_9 Depth=1
	s_or_b32 exec_lo, exec_lo, s25
	s_mul_u64 s[26:27], s[4:5], s[10:11]
	v_cvt_f32_f16_e32 v53, v53
	s_lshl_b64 s[26:27], s[26:27], 2
	v_bfi_b32 v55, 0x7fffffff, v55, v81
	s_add_nc_u64 s[26:27], s[8:9], s[26:27]
	v_lshlrev_b32_e32 v56, 2, v96
	v_add_nc_u64_e32 v[4:5], s[26:27], v[72:73]
	v_add_nc_u64_e32 v[6:7], s[26:27], v[74:75]
	;; [unrolled: 1-line block ×4, first 2 shown]
	v_fmac_f32_e32 v53, s3, v55
	s_wait_dscnt 0x0
	s_barrier_signal -1
	v_add_nc_u64_e32 v[84:85], v[4:5], v[56:57]
	v_add_nc_u64_e32 v[86:87], v[6:7], v[56:57]
	v_add_nc_u64_e32 v[88:89], v[8:9], v[56:57]
	v_add_nc_u64_e32 v[90:91], v[10:11], v[56:57]
	s_barrier_wait -1
	v_cvt_f32_f16_e32 v54, v54
	s_clause 0x3
	global_load_b128 v[4:7], v[84:85], off
	global_load_b128 v[8:11], v[86:87], off
	;; [unrolled: 1-line block ×4, first 2 shown]
	v_bfi_b32 v80, 0x7fffffff, v80, v82
	v_dual_add_f32 v55, 0x40051340, v53 :: v_dual_max_num_f32 v48, v48, v48
	v_max_num_f32_e32 v51, v51, v51
	s_or_b32 s26, s4, 32
	s_delay_alu instid0(VALU_DEP_3) | instskip(SKIP_1) | instid1(SALU_CYCLE_1)
	v_fmac_f32_e32 v54, s3, v80
	s_ashr_i32 s27, s26, 31
	s_mul_u64 s[26:27], s[26:27], s[10:11]
	s_delay_alu instid0(VALU_DEP_1) | instskip(SKIP_1) | instid1(SALU_CYCLE_1)
	v_add_f32_e32 v80, 0x40051340, v54
	s_lshl_b64 s[26:27], s[26:27], 2
	s_add_nc_u64 s[26:27], s[8:9], s[26:27]
	s_delay_alu instid0(VALU_DEP_1)
	v_max3_num_f32 v55, v36, v55, v80
	v_add_nc_u64_e32 v[152:153], s[26:27], v[72:73]
	v_add_nc_u64_e32 v[154:155], s[26:27], v[74:75]
	;; [unrolled: 1-line block ×4, first 2 shown]
	ds_bpermute_b32 v80, v2, v55
	v_dual_max_num_f32 v2, v47, v47 :: v_dual_max_num_f32 v47, v1, v1
	v_max_num_f32_e32 v1, v52, v52
	v_max_num_f32_e32 v52, v0, v0
	v_add_nc_u64_e32 v[152:153], v[152:153], v[56:57]
	v_add_nc_u64_e32 v[160:161], v[154:155], v[56:57]
	;; [unrolled: 1-line block ×3, first 2 shown]
	v_dual_max_num_f32 v1, v51, v1 :: v_dual_max_num_f32 v0, v2, v48
	v_max_num_f32_e32 v2, v52, v47
	v_add_nc_u32_e32 v48, v112, v100
	s_delay_alu instid0(VALU_DEP_3) | instskip(NEXT) | instid1(VALU_DEP_4)
	v_dual_sub_f32 v46, v46, v1 :: v_dual_add_nc_u32 v121, 0x800, v100
	v_dual_sub_f32 v44, v44, v0 :: v_dual_sub_f32 v45, v45, v1
	s_delay_alu instid0(VALU_DEP_4)
	v_dual_sub_f32 v38, v38, v2 :: v_dual_sub_f32 v47, v49, v2
	v_dual_sub_f32 v49, v50, v2 :: v_dual_sub_f32 v37, v37, v0
	v_sub_f32_e32 v43, v43, v0
	s_wait_dscnt 0x0
	v_dual_max_num_f32 v50, v80, v80 :: v_dual_mul_f32 v81, 0x3fb8aa3b, v45
	v_dual_mul_f32 v52, 0x3fb8aa3b, v44 :: v_dual_sub_f32 v39, v39, v1
	s_delay_alu instid0(VALU_DEP_2) | instskip(SKIP_2) | instid1(VALU_DEP_3)
	v_dual_mul_f32 v51, 0x3fb8aa3b, v43 :: v_dual_max_num_f32 v50, v55, v50
	v_dual_mul_f32 v80, 0x3fb8aa3b, v37 :: v_dual_mul_f32 v55, 0x3fb8aa3b, v46
	s_wait_xcnt 0x1
	v_rndne_f32_e32 v89, v52
	s_delay_alu instid0(VALU_DEP_3)
	v_rndne_f32_e32 v87, v51
	ds_bpermute_b32 v42, v42, v50
	v_fma_f32 v86, 0x3fb8aa3b, v43, -v51
	v_dual_mul_f32 v82, 0x3fb8aa3b, v39 :: v_dual_mul_f32 v85, 0x3fb8aa3b, v38
	v_sub_f32_e32 v51, v51, v87
	s_wait_xcnt 0x0
	v_fma_f32 v90, 0x3fb8aa3b, v37, -v80
	v_rndne_f32_e32 v125, v55
	v_fma_f32 v126, 0x3fb8aa3b, v39, -v82
	v_fmac_f32_e32 v86, 0x32a5705f, v43
	v_fma_f32 v132, 0x3fb8aa3b, v38, -v85
	v_dual_mul_f32 v83, 0x3fb8aa3b, v47 :: v_dual_mul_f32 v84, 0x3fb8aa3b, v49
	v_fma_f32 v88, 0x3fb8aa3b, v44, -v52
	v_fma_f32 v124, 0x3fb8aa3b, v46, -v55
	v_sub_f32_e32 v55, v55, v125
	v_dual_fmac_f32 v90, 0x32a5705f, v37 :: v_dual_add_f32 v51, v51, v86
	v_rndne_f32_e32 v123, v81
	v_rndne_f32_e32 v131, v84
	v_fmac_f32_e32 v88, 0x32a5705f, v44
	s_wait_dscnt 0x0
	v_max_num_f32_e32 v42, v42, v42
	v_exp_f32_e32 v51, v51
	v_rndne_f32_e32 v91, v80
	v_rndne_f32_e32 v127, v82
	;; [unrolled: 1-line block ×3, first 2 shown]
	v_dual_max_num_f32 v42, v50, v42 :: v_dual_sub_f32 v50, v52, v89
	v_cvt_i32_f32_e32 v87, v87
	v_fma_f32 v122, 0x3fb8aa3b, v45, -v81
	v_fma_f32 v130, 0x3fb8aa3b, v49, -v84
	ds_bpermute_b32 v41, v41, v42
	v_fmac_f32_e32 v126, 0x32a5705f, v39
	v_sub_f32_e32 v81, v81, v123
	v_dual_sub_f32 v84, v84, v131 :: v_dual_add_f32 v50, v50, v88
	v_fma_f32 v128, 0x3fb8aa3b, v47, -v83
	v_rndne_f32_e32 v133, v85
	v_dual_sub_f32 v80, v80, v91 :: v_dual_sub_f32 v83, v83, v129
	v_fmac_f32_e32 v124, 0x32a5705f, v46
	v_sub_f32_e32 v82, v82, v127
	v_ldexp_f32 v51, v51, v87
	v_cmp_ngt_f32_e32 vcc_lo, 0xc2ce8ed0, v43
	v_exp_f32_e32 v50, v50
	v_cvt_i32_f32_e32 v52, v89
	v_fmac_f32_e32 v130, 0x32a5705f, v49
	v_dual_sub_f32 v85, v85, v133 :: v_dual_add_f32 v80, v80, v90
	v_cndmask_b32_e32 v51, 0, v51, vcc_lo
	v_cmp_ngt_f32_e32 vcc_lo, 0xc2ce8ed0, v44
	s_wait_dscnt 0x0
	v_dual_max_num_f32 v41, v41, v41 :: v_dual_fmac_f32 v132, 0x32a5705f, v38
	v_fmac_f32_e32 v122, 0x32a5705f, v45
	v_exp_f32_e32 v80, v80
	v_ldexp_f32 v50, v50, v52
	s_delay_alu instid0(VALU_DEP_3)
	v_dual_max_num_f32 v41, v42, v41 :: v_dual_add_f32 v42, v55, v124
	v_dual_add_f32 v55, v82, v126 :: v_dual_fmac_f32 v128, 0x32a5705f, v47
	v_add_f32_e32 v81, v81, v122
	ds_bpermute_b32 v40, v40, v41
	v_cvt_i32_f32_e32 v89, v91
	v_exp_f32_e32 v55, v55
	v_dual_add_f32 v82, v83, v128 :: v_dual_cndmask_b32 v50, 0, v50, vcc_lo
	v_add_f32_e32 v83, v84, v130
	v_cvt_i32_f32_e32 v91, v123
	v_cvt_i32_f32_e32 v123, v125
	;; [unrolled: 1-line block ×3, first 2 shown]
	v_exp_f32_e32 v81, v81
	v_exp_f32_e32 v82, v82
	;; [unrolled: 1-line block ×3, first 2 shown]
	v_cvt_i32_f32_e32 v127, v129
	v_cvt_i32_f32_e32 v129, v131
	v_ldexp_f32 v52, v80, v89
	v_ldexp_f32 v55, v55, v125
	v_cmp_ngt_f32_e32 vcc_lo, 0xc2ce8ed0, v37
	v_exp_f32_e32 v42, v42
	v_ldexp_f32 v80, v81, v91
	v_ldexp_f32 v81, v82, v127
	s_wait_dscnt 0x0
	v_max_num_f32_e32 v40, v40, v40
	v_ldexp_f32 v82, v83, v129
	v_cvt_i32_f32_e32 v131, v133
	v_add_nc_u64_e32 v[164:165], v[158:159], v[56:57]
	v_ldexp_f32 v42, v42, v123
	v_max_num_f32_e32 v40, v41, v40
	v_cndmask_b32_e32 v41, 0, v52, vcc_lo
	v_cmp_ngt_f32_e32 vcc_lo, 0xc2ce8ed0, v45
	v_cndmask_b32_e32 v52, 0, v80, vcc_lo
	v_cmp_ngt_f32_e32 vcc_lo, 0xc2ce8ed0, v46
	v_dual_add_f32 v84, v85, v132 :: v_dual_cndmask_b32 v42, 0, v42, vcc_lo
	v_cmp_ngt_f32_e32 vcc_lo, 0xc2ce8ed0, v39
	s_delay_alu instid0(VALU_DEP_2) | instskip(SKIP_2) | instid1(TRANS32_DEP_1)
	v_exp_f32_e32 v84, v84
	v_cndmask_b32_e32 v55, 0, v55, vcc_lo
	v_cmp_ngt_f32_e32 vcc_lo, 0xc2ce8ed0, v47
	v_ldexp_f32 v83, v84, v131
	v_cndmask_b32_e32 v88, 0, v81, vcc_lo
	ds_bpermute_b32 v3, v3, v40
	v_cmp_ngt_f32_e32 vcc_lo, 0xc2ce8ed0, v49
	v_cndmask_b32_e32 v89, 0, v82, vcc_lo
	v_cmp_ngt_f32_e32 vcc_lo, 0xc2ce8ed0, v38
	v_cndmask_b32_e32 v82, 0, v83, vcc_lo
	v_cmp_nlt_f32_e32 vcc_lo, 0x42b17218, v43
	v_cndmask_b32_e32 v84, 0x7f800000, v51, vcc_lo
	v_cmp_nlt_f32_e32 vcc_lo, 0x42b17218, v44
	s_wait_dscnt 0x0
	v_dual_max_num_f32 v3, v3, v3 :: v_dual_cndmask_b32 v86, 0x7f800000, v50
	v_cmp_nlt_f32_e32 vcc_lo, 0x42b17218, v37
	s_delay_alu instid0(VALU_DEP_2) | instskip(SKIP_1) | instid1(VALU_DEP_2)
	v_dual_max_num_f32 v3, v40, v3 :: v_dual_cndmask_b32 v80, 0x7f800000, v41
	v_cmp_nlt_f32_e32 vcc_lo, 0x42b17218, v45
	v_dual_sub_f32 v43, v54, v3 :: v_dual_sub_f32 v41, v36, v3
	s_delay_alu instid0(VALU_DEP_3) | instskip(SKIP_2) | instid1(VALU_DEP_4)
	v_cvt_f16_f32_e32 v37, v80
	v_cndmask_b32_e32 v85, 0x7f800000, v52, vcc_lo
	v_cmp_nlt_f32_e32 vcc_lo, 0x42b17218, v46
	v_dual_mul_f32 v46, 0x3fb8aa3b, v43 :: v_dual_mul_f32 v45, 0x3fb8aa3b, v41
	s_delay_alu instid0(VALU_DEP_4)
	v_and_b32_e32 v37, 0xffff, v37
	v_cndmask_b32_e32 v87, 0x7f800000, v42, vcc_lo
	v_cmp_nlt_f32_e32 vcc_lo, 0x42b17218, v39
	v_sub_f32_e32 v39, v53, v3
	v_fma_f32 v52, 0x3fb8aa3b, v43, -v46
	v_rndne_f32_e32 v53, v46
	v_fma_f32 v50, 0x3fb8aa3b, v41, -v45
	s_delay_alu instid0(VALU_DEP_3) | instskip(NEXT) | instid1(VALU_DEP_3)
	v_fmac_f32_e32 v52, 0x32a5705f, v43
	v_dual_sub_f32 v46, v46, v53 :: v_dual_cndmask_b32 v81, 0x7f800000, v55
	v_cmp_nlt_f32_e32 vcc_lo, 0x42b17218, v47
	s_delay_alu instid0(VALU_DEP_4) | instskip(SKIP_1) | instid1(VALU_DEP_4)
	v_fmac_f32_e32 v50, 0x32a5705f, v41
	v_mul_f32_e32 v44, 0x3fb8aa3b, v39
	v_add_f32_e32 v46, v46, v52
	v_cvt_f16_f32_e32 v40, v81
	v_cndmask_b32_e32 v88, 0x7f800000, v88, vcc_lo
	v_cmp_nlt_f32_e32 vcc_lo, 0x42b17218, v38
	v_fma_f32 v47, 0x3fb8aa3b, v39, -v44
	v_mul_u32_u24_e32 v52, 0x10001, v37
	v_and_b32_e32 v40, 0xffff, v40
	v_exp_f32_e32 v46, v46
	v_cndmask_b32_e32 v82, 0x7f800000, v82, vcc_lo
	v_cmp_nlt_f32_e32 vcc_lo, 0x42b17218, v49
	v_rndne_f32_e32 v49, v44
	v_fmac_f32_e32 v47, 0x32a5705f, v39
	v_cvt_pk_f16_f32 v38, v86, v87
	v_pk_mul_f16 v55, v35, v52
	v_pk_mul_f16 v122, v34, v52
	v_sub_f32_e32 v44, v44, v49
	v_cvt_i32_f32_e32 v49, v49
	v_pk_mul_f16 v123, v33, v52
	s_delay_alu instid0(VALU_DEP_3) | instskip(SKIP_1) | instid1(VALU_DEP_2)
	v_add_f32_e32 v44, v44, v47
	v_rndne_f32_e32 v51, v45
	v_exp_f32_e32 v44, v44
	s_delay_alu instid0(VALU_DEP_1) | instskip(SKIP_3) | instid1(VALU_DEP_4)
	v_dual_sub_f32 v45, v45, v51 :: v_dual_cndmask_b32 v90, 0x7f800000, v89
	v_cvt_i32_f32_e32 v47, v51
	v_cmp_ngt_f32_e32 vcc_lo, 0xc2ce8ed0, v41
	v_cvt_pk_f16_f32 v36, v84, v85
	v_add_f32_e32 v45, v45, v50
	v_cvt_i32_f32_e32 v50, v53
	v_mul_u32_u24_e32 v53, 0x10001, v40
	v_ldexp_f32 v40, v44, v49
	v_pk_add_f32 v[84:85], v[84:85], v[86:87]
	v_exp_f32_e32 v45, v45
	v_ldexp_f32 v44, v46, v50
	v_pk_mul_f16 v124, v32, v53
	v_pk_mul_f16 v125, v31, v53
	;; [unrolled: 1-line block ×3, first 2 shown]
	v_pk_fma_f32 v[60:61], v[60:61], v[80:81], v[84:85]
	s_delay_alu instid0(TRANS32_DEP_1) | instskip(NEXT) | instid1(VALU_DEP_1)
	v_ldexp_f32 v37, v45, v47
	v_cndmask_b32_e32 v37, 0, v37, vcc_lo
	v_cmp_ngt_f32_e32 vcc_lo, 0xc2ce8ed0, v39
	v_cndmask_b32_e32 v40, 0, v40, vcc_lo
	v_cmp_ngt_f32_e32 vcc_lo, 0xc2ce8ed0, v43
	v_cndmask_b32_e32 v44, 0, v44, vcc_lo
	v_cmp_nlt_f32_e32 vcc_lo, 0x42b17218, v41
	v_cndmask_b32_e32 v83, 0x7f800000, v37, vcc_lo
	v_cmp_nlt_f32_e32 vcc_lo, 0x42b17218, v39
	;; [unrolled: 2-line block ×3, first 2 shown]
	s_delay_alu instid0(VALU_DEP_2) | instskip(SKIP_1) | instid1(VALU_DEP_1)
	v_cvt_pk_f16_f32 v37, v88, v89
	v_cndmask_b32_e32 v91, 0x7f800000, v44, vcc_lo
	v_cvt_pk_f16_f32 v39, v90, v91
	ds_store_2addr_b64 v48, v[36:37], v[38:39] offset1:32
	s_wait_loadcnt 0x3
	ds_store_b128 v110, v[4:7]
	s_wait_loadcnt 0x2
	ds_store_b128 v113, v[8:11]
	s_wait_loadcnt 0x1
	ds_store_b128 v114, v[12:15]
	s_wait_loadcnt 0x0
	ds_store_b128 v115, v[16:19]
	s_wait_dscnt 0x0
	s_barrier_signal -1
	s_barrier_wait -1
	ds_load_b128 v[8:11], v112
	ds_load_b128 v[12:15], v112 offset:16
	s_wait_dscnt 0x1
	v_lshrrev_b32_e32 v129, 16, v8
	v_cvt_f16_f32_e32 v42, v82
	v_lshrrev_b32_e32 v132, 16, v11
	v_cvt_f16_f32_e32 v35, v83
	v_lshrrev_b32_e32 v130, 16, v9
	v_and_b32_e32 v8, 0xffff, v8
	v_and_b32_e32 v42, 0xffff, v42
	;; [unrolled: 1-line block ×4, first 2 shown]
	v_mul_u32_u24_e32 v129, 0x10001, v129
	v_mul_u32_u24_e32 v8, 0x10001, v8
	;; [unrolled: 1-line block ×5, first 2 shown]
	v_lshrrev_b32_e32 v131, 16, v10
	v_and_b32_e32 v10, 0xffff, v10
	v_pk_mul_f16 v127, v29, v54
	v_pk_mul_f16 v128, v28, v54
	;; [unrolled: 1-line block ×6, first 2 shown]
	ds_load_2addr_b64 v[16:19], v100 offset1:32
	ds_load_b128 v[28:31], v112 offset:32
	ds_load_b128 v[4:7], v112 offset:48
	ds_load_2addr_b64 v[32:35], v100 offset0:64 offset1:96
	ds_load_2addr_b64 v[36:39], v100 offset0:128 offset1:160
	;; [unrolled: 1-line block ×3, first 2 shown]
	ds_load_2addr_b64 v[44:47], v121 offset1:32
	ds_load_2addr_b64 v[48:51], v121 offset0:64 offset1:96
	v_pk_mul_f16 v27, v27, v54
	v_and_b32_e32 v11, 0xffff, v11
	v_mul_u32_u24_e32 v130, 0x10001, v130
	s_wait_dscnt 0x8
	v_dual_lshrrev_b32 v133, 16, v12 :: v_dual_lshrrev_b32 v134, 16, v13
	v_and_b32_e32 v12, 0xffff, v12
	v_and_b32_e32 v13, 0xffff, v13
	v_mul_u32_u24_e32 v10, 0x10001, v10
	v_mul_u32_u24_e32 v131, 0x10001, v131
	;; [unrolled: 1-line block ×4, first 2 shown]
	v_lshrrev_b32_e32 v135, 16, v14
	s_wait_dscnt 0x7
	v_pk_mul_f16 v141, v16, v8
	v_pk_fma_f16 v55, v17, v8, v55
	v_pk_fma_f16 v122, v18, v8, v122
	v_pk_fma_f16 v8, v19, v8, v123
	v_pk_mul_f16 v123, v16, v129
	v_pk_fma_f16 v124, v17, v129, v124
	v_pk_fma_f16 v125, v18, v129, v125
	v_pk_fma_f16 v126, v19, v129, v126
	;; [unrolled: 4-line block ×3, first 2 shown]
	v_pk_fma_f16 v23, v18, v9, v128
	v_pk_fma_f16 v18, v18, v130, v22
	;; [unrolled: 1-line block ×7, first 2 shown]
	v_lshrrev_b32_e32 v136, 16, v15
	v_and_b32_e32 v14, 0xffff, v14
	v_and_b32_e32 v15, 0xffff, v15
	v_mul_u32_u24_e32 v12, 0x10001, v12
	v_mul_u32_u24_e32 v133, 0x10001, v133
	;; [unrolled: 1-line block ×4, first 2 shown]
	s_wait_dscnt 0x4
	v_pk_fma_f16 v16, v32, v132, v16
	v_pk_fma_f16 v24, v33, v10, v55
	;; [unrolled: 1-line block ×15, first 2 shown]
	v_dual_lshrrev_b32 v137, 16, v28 :: v_dual_lshrrev_b32 v138, 16, v29
	v_and_b32_e32 v28, 0xffff, v28
	v_and_b32_e32 v29, 0xffff, v29
	v_mul_u32_u24_e32 v14, 0x10001, v14
	v_mul_u32_u24_e32 v135, 0x10001, v135
	;; [unrolled: 1-line block ×4, first 2 shown]
	s_wait_dscnt 0x3
	v_pk_fma_f16 v16, v36, v134, v16
	v_pk_fma_f16 v20, v37, v12, v24
	;; [unrolled: 1-line block ×12, first 2 shown]
	v_lshrrev_b32_e32 v139, 16, v30
	v_and_b32_e32 v30, 0xffff, v30
	v_and_b32_e32 v140, 0xffff, v31
	v_mul_u32_u24_e32 v28, 0x10001, v28
	v_mul_u32_u24_e32 v137, 0x10001, v137
	v_mul_u32_u24_e32 v29, 0x10001, v29
	v_pk_fma_f16 v9, v39, v13, v9
	s_wait_dscnt 0x2
	v_pk_fma_f16 v13, v40, v136, v16
	v_pk_fma_f16 v16, v41, v14, v20
	v_pk_fma_f16 v20, v41, v135, v22
	v_pk_fma_f16 v21, v41, v15, v24
	v_pk_fma_f16 v22, v42, v14, v25
	v_pk_fma_f16 v24, v42, v135, v26
	v_pk_fma_f16 v23, v42, v15, v23
	v_pk_fma_f16 v8, v43, v14, v8
	v_pk_fma_f16 v25, v43, v135, v27
	v_pk_fma_f16 v10, v40, v14, v10
	v_pk_fma_f16 v12, v40, v135, v12
	v_pk_fma_f16 v11, v40, v15, v11
	v_lshrrev_b32_e32 v31, 16, v31
	v_pk_fma_f16 v9, v43, v15, v9
	s_wait_dscnt 0x1
	v_pk_fma_f16 v14, v45, v28, v16
	v_pk_fma_f16 v15, v45, v137, v20
	;; [unrolled: 1-line block ×11, first 2 shown]
	v_mul_u32_u24_e32 v25, 0x10001, v30
	v_mul_u32_u24_e32 v26, 0x10001, v139
	;; [unrolled: 1-line block ×3, first 2 shown]
	v_pk_fma_f16 v19, v35, v132, v19
	v_pk_fma_f16 v12, v47, v29, v9
	v_mul_u32_u24_e32 v28, 0x10001, v31
	s_wait_dscnt 0x0
	v_pk_fma_f16 v29, v48, v25, v8
	v_pk_fma_f16 v30, v48, v26, v10
	;; [unrolled: 1-line block ×3, first 2 shown]
	ds_load_2addr_b64 v[8:11], v121 offset0:128 offset1:160
	v_mul_u32_u24_e32 v138, 0x10001, v138
	v_pk_fma_f16 v17, v37, v134, v17
	v_pk_fma_f16 v18, v38, v134, v18
	;; [unrolled: 1-line block ×13, first 2 shown]
	v_and_b32_e32 v25, 0xffff, v4
	v_lshrrev_b32_e32 v4, 16, v4
	v_and_b32_e32 v26, 0xffff, v5
	v_lshrrev_b32_e32 v5, 16, v5
	v_pk_fma_f16 v17, v45, v138, v17
	v_pk_fma_f16 v18, v46, v138, v18
	;; [unrolled: 1-line block ×4, first 2 shown]
	v_mul_u32_u24_e32 v25, 0x10001, v25
	v_mul_u32_u24_e32 v4, 0x10001, v4
	;; [unrolled: 1-line block ×4, first 2 shown]
	v_pk_fma_f16 v16, v49, v27, v16
	v_pk_fma_f16 v17, v49, v28, v17
	;; [unrolled: 1-line block ×6, first 2 shown]
	s_wait_dscnt 0x0
	v_pk_fma_f16 v28, v8, v25, v29
	v_pk_fma_f16 v29, v8, v4, v30
	;; [unrolled: 1-line block ×6, first 2 shown]
	ds_load_2addr_b64 v[12:15], v121 offset0:192 offset1:224
	v_pk_fma_f16 v21, v10, v4, v21
	v_pk_fma_f16 v24, v11, v4, v24
	v_and_b32_e32 v4, 0xffff, v6
	v_lshrrev_b32_e32 v6, 16, v6
	v_pk_fma_f16 v16, v9, v26, v16
	v_pk_fma_f16 v17, v9, v5, v17
	;; [unrolled: 1-line block ×8, first 2 shown]
	v_and_b32_e32 v9, 0xffff, v7
	v_lshrrev_b32_e32 v10, 16, v7
	v_mul_u32_u24_e32 v19, 0x10001, v4
	v_mul_u32_u24_e32 v27, 0x10001, v6
	ds_load_b128 v[4:7], v112 offset:64
	v_mul_u32_u24_e32 v33, 0x10001, v9
	v_mul_u32_u24_e32 v34, 0x10001, v10
	v_add_nc_u32_e32 v123, 0x1000, v100
	s_wait_dscnt 0x1
	v_pk_fma_f16 v28, v12, v19, v28
	v_pk_fma_f16 v29, v12, v27, v29
	;; [unrolled: 1-line block ×4, first 2 shown]
	ds_load_2addr_b64 v[8:11], v123 offset1:32
	v_pk_fma_f16 v31, v13, v19, v31
	v_pk_fma_f16 v32, v13, v27, v32
	;; [unrolled: 1-line block ×9, first 2 shown]
	ds_load_b128 v[16:19], v112 offset:80
	v_pk_fma_f16 v24, v15, v27, v24
	s_wait_dscnt 0x2
	v_and_b32_e32 v13, 0xffff, v4
	v_lshrrev_b32_e32 v4, 16, v4
	v_and_b32_e32 v14, 0xffff, v5
	v_lshrrev_b32_e32 v5, 16, v5
	v_pk_fma_f16 v25, v15, v33, v25
	v_mul_u32_u24_e32 v27, 0x10001, v13
	v_mul_u32_u24_e32 v4, 0x10001, v4
	;; [unrolled: 1-line block ×4, first 2 shown]
	v_pk_fma_f16 v26, v15, v34, v26
	s_wait_dscnt 0x1
	v_pk_fma_f16 v28, v8, v27, v28
	v_pk_fma_f16 v29, v8, v4, v29
	;; [unrolled: 1-line block ×4, first 2 shown]
	ds_load_2addr_b64 v[12:15], v123 offset0:64 offset1:96
	v_pk_fma_f16 v31, v9, v27, v31
	v_pk_fma_f16 v32, v9, v4, v32
	;; [unrolled: 1-line block ×6, first 2 shown]
	v_and_b32_e32 v4, 0xffff, v6
	v_lshrrev_b32_e32 v6, 16, v6
	v_and_b32_e32 v27, 0xffff, v7
	v_lshrrev_b32_e32 v7, 16, v7
	v_pk_fma_f16 v34, v9, v33, v35
	v_pk_fma_f16 v9, v9, v5, v36
	;; [unrolled: 1-line block ×5, first 2 shown]
	v_mul_u32_u24_e32 v33, 0x10001, v4
	v_mul_u32_u24_e32 v35, 0x10001, v6
	;; [unrolled: 1-line block ×3, first 2 shown]
	v_pk_fma_f16 v11, v11, v5, v26
	ds_load_2addr_b64 v[4:7], v123 offset0:128 offset1:160
	v_mul_u32_u24_e32 v27, 0x10001, v27
	s_wait_dscnt 0x1
	v_pk_fma_f16 v26, v12, v33, v28
	v_pk_fma_f16 v28, v12, v35, v29
	;; [unrolled: 1-line block ×12, first 2 shown]
	v_and_b32_e32 v9, 0xffff, v16
	v_lshrrev_b32_e32 v10, 16, v16
	v_and_b32_e32 v16, 0xffff, v17
	v_lshrrev_b32_e32 v17, 16, v17
	v_pk_fma_f16 v23, v15, v33, v23
	v_pk_fma_f16 v24, v15, v35, v24
	;; [unrolled: 1-line block ×3, first 2 shown]
	v_mul_u32_u24_e32 v27, 0x10001, v9
	v_mul_u32_u24_e32 v17, 0x10001, v17
	;; [unrolled: 1-line block ×4, first 2 shown]
	v_pk_fma_f16 v15, v15, v36, v11
	s_wait_dscnt 0x0
	v_pk_fma_f16 v26, v4, v27, v26
	v_pk_fma_f16 v33, v4, v17, v8
	ds_load_2addr_b64 v[8:11], v123 offset0:192 offset1:224
	v_pk_fma_f16 v28, v4, v32, v28
	v_pk_fma_f16 v29, v4, v16, v29
	;; [unrolled: 1-line block ×6, first 2 shown]
	v_and_b32_e32 v4, 0xffff, v18
	v_lshrrev_b32_e32 v5, 16, v18
	v_pk_fma_f16 v20, v6, v27, v20
	v_pk_fma_f16 v21, v6, v32, v21
	;; [unrolled: 1-line block ×8, first 2 shown]
	v_and_b32_e32 v13, 0xffff, v19
	v_lshrrev_b32_e32 v14, 16, v19
	v_mul_u32_u24_e32 v16, 0x10001, v4
	v_mul_u32_u24_e32 v17, 0x10001, v5
	ds_load_b128 v[4:7], v112 offset:96
	v_mul_u32_u24_e32 v32, 0x10001, v13
	v_mul_u32_u24_e32 v36, 0x10001, v14
	v_add_nc_u32_e32 v124, 0x1800, v100
	s_wait_dscnt 0x1
	v_pk_fma_f16 v26, v8, v16, v26
	v_pk_fma_f16 v28, v8, v17, v28
	;; [unrolled: 1-line block ×5, first 2 shown]
	ds_load_2addr_b64 v[12:15], v124 offset1:32
	v_pk_fma_f16 v30, v9, v17, v30
	v_pk_fma_f16 v31, v9, v32, v31
	;; [unrolled: 1-line block ×9, first 2 shown]
	ds_load_b128 v[16:19], v112 offset:112
	s_wait_dscnt 0x2
	v_and_b32_e32 v9, 0xffff, v4
	v_lshrrev_b32_e32 v4, 16, v4
	v_and_b32_e32 v10, 0xffff, v5
	v_lshrrev_b32_e32 v5, 16, v5
	v_pk_fma_f16 v25, v11, v32, v25
	v_mul_u32_u24_e32 v32, 0x10001, v9
	v_mul_u32_u24_e32 v4, 0x10001, v4
	;; [unrolled: 1-line block ×4, first 2 shown]
	v_pk_fma_f16 v27, v11, v36, v27
	s_wait_dscnt 0x1
	v_pk_fma_f16 v26, v12, v32, v26
	v_pk_fma_f16 v28, v12, v4, v28
	;; [unrolled: 1-line block ×4, first 2 shown]
	ds_load_2addr_b64 v[8:11], v124 offset0:64 offset1:96
	v_pk_fma_f16 v33, v13, v32, v33
	v_pk_fma_f16 v30, v13, v4, v30
	;; [unrolled: 1-line block ×6, first 2 shown]
	v_and_b32_e32 v4, 0xffff, v6
	v_lshrrev_b32_e32 v6, 16, v6
	v_and_b32_e32 v32, 0xffff, v7
	v_lshrrev_b32_e32 v7, 16, v7
	v_pk_fma_f16 v31, v13, v37, v31
	v_pk_fma_f16 v13, v13, v5, v34
	;; [unrolled: 1-line block ×5, first 2 shown]
	v_mul_u32_u24_e32 v34, 0x10001, v4
	v_mul_u32_u24_e32 v35, 0x10001, v6
	;; [unrolled: 1-line block ×3, first 2 shown]
	v_pk_fma_f16 v15, v15, v5, v27
	ds_load_2addr_b64 v[4:7], v124 offset0:128 offset1:160
	v_mul_u32_u24_e32 v32, 0x10001, v32
	s_wait_dscnt 0x1
	v_pk_fma_f16 v26, v8, v34, v26
	v_pk_fma_f16 v27, v8, v35, v28
	;; [unrolled: 1-line block ×12, first 2 shown]
	v_and_b32_e32 v9, 0xffff, v16
	v_lshrrev_b32_e32 v10, 16, v16
	v_and_b32_e32 v16, 0xffff, v17
	v_lshrrev_b32_e32 v17, 16, v17
	v_pk_fma_f16 v23, v11, v34, v23
	v_pk_fma_f16 v24, v11, v35, v24
	;; [unrolled: 1-line block ×3, first 2 shown]
	v_mul_u32_u24_e32 v31, 0x10001, v9
	v_mul_u32_u24_e32 v17, 0x10001, v17
	;; [unrolled: 1-line block ×4, first 2 shown]
	v_pk_fma_f16 v15, v11, v36, v15
	s_wait_dscnt 0x0
	v_pk_fma_f16 v26, v4, v31, v26
	v_pk_fma_f16 v33, v4, v17, v8
	ds_load_2addr_b64 v[8:11], v124 offset0:192 offset1:224
	v_pk_fma_f16 v27, v4, v32, v27
	v_pk_fma_f16 v28, v4, v16, v28
	;; [unrolled: 1-line block ×6, first 2 shown]
	v_and_b32_e32 v4, 0xffff, v18
	v_lshrrev_b32_e32 v5, 16, v18
	v_pk_fma_f16 v20, v6, v31, v20
	v_pk_fma_f16 v21, v6, v32, v21
	;; [unrolled: 1-line block ×8, first 2 shown]
	v_and_b32_e32 v13, 0xffff, v19
	v_lshrrev_b32_e32 v14, 16, v19
	v_mul_u32_u24_e32 v16, 0x10001, v4
	v_mul_u32_u24_e32 v17, 0x10001, v5
	ds_load_b128 v[4:7], v112 offset:128
	v_mul_u32_u24_e32 v32, 0x10001, v13
	v_mul_u32_u24_e32 v36, 0x10001, v14
	v_add_nc_u32_e32 v125, 0x2000, v100
	s_wait_dscnt 0x1
	v_pk_fma_f16 v26, v8, v16, v26
	v_pk_fma_f16 v27, v8, v17, v27
	;; [unrolled: 1-line block ×5, first 2 shown]
	ds_load_2addr_b64 v[12:15], v125 offset1:32
	v_pk_fma_f16 v29, v9, v17, v29
	v_pk_fma_f16 v30, v9, v32, v30
	;; [unrolled: 1-line block ×9, first 2 shown]
	ds_load_b128 v[16:19], v112 offset:144
	s_wait_dscnt 0x2
	v_and_b32_e32 v9, 0xffff, v4
	v_lshrrev_b32_e32 v4, 16, v4
	v_and_b32_e32 v10, 0xffff, v5
	v_lshrrev_b32_e32 v5, 16, v5
	v_pk_fma_f16 v25, v11, v32, v25
	v_mul_u32_u24_e32 v32, 0x10001, v9
	v_mul_u32_u24_e32 v4, 0x10001, v4
	;; [unrolled: 1-line block ×4, first 2 shown]
	v_pk_fma_f16 v31, v11, v36, v31
	s_wait_dscnt 0x1
	v_pk_fma_f16 v26, v12, v32, v26
	v_pk_fma_f16 v27, v12, v4, v27
	;; [unrolled: 1-line block ×4, first 2 shown]
	ds_load_2addr_b64 v[8:11], v125 offset0:64 offset1:96
	v_pk_fma_f16 v33, v13, v32, v33
	v_pk_fma_f16 v29, v13, v4, v29
	;; [unrolled: 1-line block ×8, first 2 shown]
	v_and_b32_e32 v13, 0xffff, v6
	v_lshrrev_b32_e32 v6, 16, v6
	v_and_b32_e32 v14, 0xffff, v7
	v_lshrrev_b32_e32 v7, 16, v7
	v_pk_fma_f16 v23, v15, v32, v23
	v_pk_fma_f16 v4, v15, v4, v24
	;; [unrolled: 1-line block ×3, first 2 shown]
	v_mul_u32_u24_e32 v25, 0x10001, v13
	v_mul_u32_u24_e32 v6, 0x10001, v6
	;; [unrolled: 1-line block ×4, first 2 shown]
	v_pk_fma_f16 v5, v15, v5, v31
	s_wait_dscnt 0x0
	v_pk_fma_f16 v26, v8, v25, v26
	v_pk_fma_f16 v27, v8, v6, v27
	;; [unrolled: 1-line block ×4, first 2 shown]
	ds_load_2addr_b64 v[12:15], v125 offset0:128 offset1:160
	v_pk_fma_f16 v31, v9, v25, v33
	v_pk_fma_f16 v29, v9, v6, v29
	;; [unrolled: 1-line block ×6, first 2 shown]
	v_and_b32_e32 v4, 0xffff, v16
	v_lshrrev_b32_e32 v6, 16, v16
	v_and_b32_e32 v16, 0xffff, v17
	v_lshrrev_b32_e32 v17, 16, v17
	v_pk_fma_f16 v30, v9, v32, v30
	v_pk_fma_f16 v9, v9, v7, v34
	v_pk_fma_f16 v22, v10, v32, v22
	v_pk_fma_f16 v10, v10, v7, v35
	v_pk_fma_f16 v24, v11, v32, v24
	v_mul_u32_u24_e32 v32, 0x10001, v4
	v_mul_u32_u24_e32 v33, 0x10001, v6
	;; [unrolled: 1-line block ×4, first 2 shown]
	v_pk_fma_f16 v11, v11, v7, v5
	v_add_nc_u32_e32 v126, 0x2800, v100
	v_add_nc_u32_e32 v127, 0x3000, v100
	;; [unrolled: 1-line block ×3, first 2 shown]
	s_wait_dscnt 0x0
	v_pk_fma_f16 v168, v12, v32, v26
	v_pk_fma_f16 v169, v12, v33, v27
	;; [unrolled: 1-line block ×6, first 2 shown]
	ds_load_2addr_b64 v[4:7], v125 offset0:192 offset1:224
	v_pk_fma_f16 v174, v13, v16, v30
	v_pk_fma_f16 v175, v13, v17, v9
	v_pk_fma_f16 v176, v14, v32, v20
	v_pk_fma_f16 v177, v14, v33, v21
	v_pk_fma_f16 v178, v14, v16, v22
	v_pk_fma_f16 v179, v14, v17, v10
	v_pk_fma_f16 v180, v15, v32, v23
	v_pk_fma_f16 v181, v15, v33, v25
	v_pk_fma_f16 v182, v15, v16, v24
	v_and_b32_e32 v183, 0xffff, v18
	v_dual_lshrrev_b32 v184, 16, v18 :: v_dual_lshrrev_b32 v187, 16, v19
	v_pk_fma_f16 v185, v15, v17, v11
	v_and_b32_e32 v186, 0xffff, v19
	ds_load_2addr_b64 v[8:11], v126 offset1:32
	ds_load_b128 v[44:47], v112 offset:160
	ds_load_b128 v[32:35], v112 offset:176
	ds_load_2addr_b64 v[40:43], v126 offset0:64 offset1:96
	ds_load_2addr_b64 v[28:31], v126 offset0:128 offset1:160
	;; [unrolled: 1-line block ×3, first 2 shown]
	ds_load_2addr_b64 v[12:15], v127 offset1:32
	ds_load_b128 v[16:19], v112 offset:192
	ds_load_b128 v[20:23], v112 offset:208
	ds_load_2addr_b64 v[36:39], v127 offset0:64 offset1:96
	ds_load_2addr_b64 v[128:131], v127 offset0:128 offset1:160
	;; [unrolled: 1-line block ×3, first 2 shown]
	ds_load_2addr_b64 v[136:139], v122 offset1:32
	ds_load_2addr_b64 v[140:143], v122 offset0:64 offset1:96
	ds_load_2addr_b64 v[52:55], v122 offset0:128 offset1:160
	ds_load_b128 v[144:147], v112 offset:224
	ds_load_b128 v[148:151], v112 offset:240
	ds_load_2addr_b64 v[48:51], v122 offset0:192 offset1:224
	s_wait_dscnt 0x0
	s_barrier_signal -1
	s_barrier_wait -1
	s_clause 0x3
	global_load_b128 v[152:155], v[152:153], off
	global_load_b128 v[156:159], v[160:161], off
	;; [unrolled: 1-line block ×4, first 2 shown]
	v_mul_u32_u24_e32 v56, 0x10001, v183
	v_mul_u32_u24_e32 v183, 0x10001, v184
	;; [unrolled: 1-line block ×4, first 2 shown]
	v_pk_add_f32 v[86:87], v[88:89], v[90:91]
	v_pk_fma_f16 v88, v4, v56, v168
	v_pk_fma_f16 v89, v4, v183, v169
	;; [unrolled: 1-line block ×6, first 2 shown]
	v_and_b32_e32 v174, 0xffff, v44
	v_lshrrev_b32_e32 v44, 16, v44
	v_and_b32_e32 v175, 0xffff, v45
	v_lshrrev_b32_e32 v45, 16, v45
	v_pk_fma_f16 v90, v4, v184, v170
	v_pk_fma_f16 v4, v4, v186, v171
	;; [unrolled: 1-line block ×7, first 2 shown]
	v_mul_u32_u24_e32 v174, 0x10001, v174
	v_mul_u32_u24_e32 v44, 0x10001, v44
	;; [unrolled: 1-line block ×4, first 2 shown]
	v_pk_fma_f16 v173, v7, v183, v181
	v_pk_fma_f16 v88, v8, v174, v88
	;; [unrolled: 1-line block ×14, first 2 shown]
	v_and_b32_e32 v56, 0xffff, v46
	v_lshrrev_b32_e32 v46, 16, v46
	v_and_b32_e32 v171, 0xffff, v47
	v_lshrrev_b32_e32 v47, 16, v47
	v_pk_fma_f16 v176, v7, v184, v182
	v_pk_fma_f16 v7, v7, v186, v185
	;; [unrolled: 1-line block ×3, first 2 shown]
	v_mul_u32_u24_e32 v56, 0x10001, v56
	v_mul_u32_u24_e32 v46, 0x10001, v46
	;; [unrolled: 1-line block ×4, first 2 shown]
	v_pk_fma_f16 v172, v11, v175, v176
	v_pk_fma_f16 v7, v11, v45, v7
	;; [unrolled: 1-line block ×15, first 2 shown]
	v_and_b32_e32 v44, 0xffff, v32
	v_lshrrev_b32_e32 v32, 16, v32
	v_and_b32_e32 v46, 0xffff, v33
	v_lshrrev_b32_e32 v33, 16, v33
	v_pk_fma_f16 v10, v43, v56, v10
	v_mul_u32_u24_e32 v44, 0x10001, v44
	v_mul_u32_u24_e32 v32, 0x10001, v32
	;; [unrolled: 1-line block ×4, first 2 shown]
	v_pk_fma_f16 v56, v43, v171, v172
	v_pk_fma_f16 v7, v43, v47, v7
	;; [unrolled: 1-line block ×15, first 2 shown]
	v_and_b32_e32 v32, 0xffff, v34
	v_lshrrev_b32_e32 v34, 16, v34
	v_and_b32_e32 v42, 0xffff, v35
	v_lshrrev_b32_e32 v35, 16, v35
	v_pk_fma_f16 v10, v31, v44, v10
	v_mul_u32_u24_e32 v32, 0x10001, v32
	v_mul_u32_u24_e32 v34, 0x10001, v34
	;; [unrolled: 1-line block ×4, first 2 shown]
	v_pk_fma_f16 v44, v31, v46, v56
	v_pk_fma_f16 v7, v31, v33, v7
	;; [unrolled: 1-line block ×16, first 2 shown]
	v_and_b32_e32 v30, 0xffff, v16
	v_lshrrev_b32_e32 v16, 16, v16
	v_and_b32_e32 v32, 0xffff, v17
	v_lshrrev_b32_e32 v17, 16, v17
	v_pk_fma_f16 v34, v27, v42, v44
	v_mul_u32_u24_e32 v30, 0x10001, v30
	v_mul_u32_u24_e32 v16, 0x10001, v16
	;; [unrolled: 1-line block ×4, first 2 shown]
	v_pk_fma_f16 v7, v27, v35, v7
	v_pk_fma_f16 v11, v12, v30, v11
	;; [unrolled: 1-line block ×14, first 2 shown]
	v_and_b32_e32 v16, 0xffff, v18
	v_lshrrev_b32_e32 v18, 16, v18
	v_and_b32_e32 v26, 0xffff, v19
	v_lshrrev_b32_e32 v19, 16, v19
	v_pk_fma_f16 v7, v15, v17, v7
	v_pk_fma_f16 v10, v15, v30, v10
	v_mul_u32_u24_e32 v18, 0x10001, v18
	v_pk_fma_f16 v28, v15, v32, v34
	v_mul_u32_u24_e32 v19, 0x10001, v19
	v_mul_u32_u24_e32 v16, 0x10001, v16
	;; [unrolled: 1-line block ×3, first 2 shown]
	v_pk_fma_f16 v15, v36, v18, v27
	v_pk_fma_f16 v12, v37, v18, v12
	;; [unrolled: 1-line block ×6, first 2 shown]
	v_lshrrev_b32_e32 v19, 16, v20
	v_pk_fma_f16 v13, v38, v18, v13
	v_pk_fma_f16 v14, v39, v18, v14
	v_and_b32_e32 v18, 0xffff, v20
	v_and_b32_e32 v20, 0xffff, v21
	v_lshrrev_b32_e32 v21, 16, v21
	v_mul_u32_u24_e32 v19, 0x10001, v19
	v_pk_fma_f16 v11, v36, v16, v11
	v_pk_fma_f16 v8, v37, v16, v8
	;; [unrolled: 1-line block ×4, first 2 shown]
	v_mul_u32_u24_e32 v18, 0x10001, v18
	v_pk_fma_f16 v15, v128, v19, v15
	v_pk_fma_f16 v12, v129, v19, v12
	;; [unrolled: 1-line block ×4, first 2 shown]
	v_lshrrev_b32_e32 v19, 16, v22
	v_pk_fma_f16 v17, v36, v26, v31
	v_pk_fma_f16 v24, v37, v26, v24
	;; [unrolled: 1-line block ×4, first 2 shown]
	v_mul_u32_u24_e32 v20, 0x10001, v20
	v_pk_fma_f16 v11, v128, v18, v11
	v_pk_fma_f16 v8, v129, v18, v8
	;; [unrolled: 1-line block ×4, first 2 shown]
	v_and_b32_e32 v18, 0xffff, v22
	v_and_b32_e32 v22, 0xffff, v23
	v_lshrrev_b32_e32 v23, 16, v23
	v_mul_u32_u24_e32 v19, 0x10001, v19
	v_mul_u32_u24_e32 v21, 0x10001, v21
	v_pk_fma_f16 v17, v128, v20, v17
	v_pk_fma_f16 v24, v129, v20, v24
	;; [unrolled: 1-line block ×4, first 2 shown]
	v_mul_u32_u24_e32 v18, 0x10001, v18
	v_mul_u32_u24_e32 v20, 0x10001, v22
	v_pk_fma_f16 v15, v132, v19, v15
	v_pk_fma_f16 v12, v133, v19, v12
	;; [unrolled: 1-line block ×4, first 2 shown]
	v_lshrrev_b32_e32 v19, 16, v144
	v_pk_fma_f16 v4, v128, v21, v4
	v_pk_fma_f16 v5, v129, v21, v5
	;; [unrolled: 1-line block ×3, first 2 shown]
	v_mul_u32_u24_e32 v22, 0x10001, v23
	v_pk_fma_f16 v7, v131, v21, v7
	v_pk_fma_f16 v11, v132, v18, v11
	;; [unrolled: 1-line block ×7, first 2 shown]
	v_and_b32_e32 v18, 0xffff, v144
	v_and_b32_e32 v24, 0xffff, v145
	v_lshrrev_b32_e32 v25, 16, v145
	v_mul_u32_u24_e32 v19, 0x10001, v19
	v_pk_fma_f16 v17, v132, v20, v17
	v_pk_fma_f16 v16, v135, v20, v16
	v_mul_u32_u24_e32 v18, 0x10001, v18
	v_mul_u32_u24_e32 v20, 0x10001, v24
	v_pk_fma_f16 v15, v136, v19, v15
	v_pk_fma_f16 v12, v137, v19, v12
	;; [unrolled: 1-line block ×4, first 2 shown]
	v_lshrrev_b32_e32 v19, 16, v146
	v_pk_fma_f16 v4, v132, v22, v4
	v_pk_fma_f16 v5, v133, v22, v5
	;; [unrolled: 1-line block ×3, first 2 shown]
	v_mul_u32_u24_e32 v24, 0x10001, v25
	v_pk_fma_f16 v7, v135, v22, v7
	v_pk_fma_f16 v11, v136, v18, v11
	;; [unrolled: 1-line block ×6, first 2 shown]
	v_and_b32_e32 v18, 0xffff, v146
	v_and_b32_e32 v23, 0xffff, v147
	v_lshrrev_b32_e32 v25, 16, v147
	v_mul_u32_u24_e32 v19, 0x10001, v19
	v_pk_fma_f16 v17, v136, v20, v17
	v_pk_fma_f16 v4, v136, v24, v4
	;; [unrolled: 1-line block ×6, first 2 shown]
	v_mul_u32_u24_e32 v18, 0x10001, v18
	v_mul_u32_u24_e32 v20, 0x10001, v23
	;; [unrolled: 1-line block ×3, first 2 shown]
	v_pk_fma_f16 v7, v139, v24, v7
	v_pk_fma_f16 v15, v140, v19, v15
	;; [unrolled: 1-line block ×5, first 2 shown]
	v_dual_lshrrev_b32 v19, 16, v148 :: v_dual_lshrrev_b32 v25, 16, v149
	v_and_b32_e32 v24, 0xffff, v149
	v_pk_fma_f16 v11, v140, v18, v11
	v_pk_fma_f16 v17, v140, v20, v17
	;; [unrolled: 1-line block ×10, first 2 shown]
	v_and_b32_e32 v18, 0xffff, v148
	v_pk_fma_f16 v16, v143, v20, v16
	v_mul_u32_u24_e32 v20, 0x10001, v24
	v_mul_u32_u24_e32 v24, 0x10001, v25
	v_mul_u32_u24_e32 v19, 0x10001, v19
	v_mul_u32_u24_e32 v18, 0x10001, v18
	v_pk_fma_f16 v23, v143, v23, v7
	v_pk_fma_f16 v17, v52, v20, v17
	;; [unrolled: 1-line block ×5, first 2 shown]
	v_and_b32_e32 v4, 0xffff, v150
	v_lshrrev_b32_e32 v5, 16, v150
	v_and_b32_e32 v6, 0xffff, v151
	v_pk_fma_f16 v15, v52, v19, v15
	v_pk_fma_f16 v12, v53, v19, v12
	;; [unrolled: 1-line block ×8, first 2 shown]
	v_lshrrev_b32_e32 v9, 16, v151
	v_mul_u32_u24_e32 v19, 0x10001, v4
	v_mul_u32_u24_e32 v20, 0x10001, v5
	;; [unrolled: 1-line block ×3, first 2 shown]
	s_wait_loadcnt 0x3
	ds_store_b128 v110, v[152:155]
	s_wait_loadcnt 0x2
	ds_store_b128 v113, v[156:159]
	;; [unrolled: 2-line block ×4, first 2 shown]
	s_wait_dscnt 0x0
	s_barrier_signal -1
	s_barrier_wait -1
	ds_load_b128 v[4:7], v112 offset:256
	v_pk_fma_f16 v11, v52, v18, v11
	v_pk_fma_f16 v8, v53, v18, v8
	;; [unrolled: 1-line block ×3, first 2 shown]
	v_mul_u32_u24_e32 v30, 0x10001, v9
	v_pk_fma_f16 v23, v55, v24, v23
	v_pk_fma_f16 v24, v48, v19, v11
	;; [unrolled: 1-line block ×3, first 2 shown]
	ds_load_2addr_b64 v[8:11], v100 offset1:32
	v_pk_fma_f16 v31, v48, v20, v15
	v_pk_fma_f16 v32, v48, v29, v17
	;; [unrolled: 1-line block ×8, first 2 shown]
	ds_load_b128 v[12:15], v112 offset:272
	v_pk_fma_f16 v25, v48, v30, v25
	v_pk_fma_f16 v36, v49, v30, v26
	s_wait_dscnt 0x2
	v_and_b32_e32 v16, 0xffff, v4
	v_lshrrev_b32_e32 v4, 16, v4
	v_and_b32_e32 v17, 0xffff, v5
	v_lshrrev_b32_e32 v5, 16, v5
	v_pk_fma_f16 v37, v50, v19, v27
	v_mul_u32_u24_e32 v42, 0x10001, v16
	v_mul_u32_u24_e32 v4, 0x10001, v4
	;; [unrolled: 1-line block ×4, first 2 shown]
	v_pk_fma_f16 v28, v50, v30, v28
	v_pk_fma_f16 v40, v51, v19, v18
	v_pk_fma_f16 v30, v51, v30, v23
	ds_load_b128 v[16:19], v112 offset:288
	ds_load_b128 v[20:23], v112 offset:304
	s_wait_dscnt 0x3
	v_pk_fma_f16 v44, v8, v42, v24
	v_pk_fma_f16 v31, v8, v4, v31
	;; [unrolled: 1-line block ×4, first 2 shown]
	ds_load_2addr_b64 v[24:27], v100 offset0:64 offset1:96
	v_pk_fma_f16 v33, v9, v42, v33
	v_pk_fma_f16 v34, v9, v4, v34
	;; [unrolled: 1-line block ×10, first 2 shown]
	v_and_b32_e32 v4, 0xffff, v6
	v_lshrrev_b32_e32 v6, 16, v6
	v_and_b32_e32 v40, 0xffff, v7
	v_lshrrev_b32_e32 v7, 16, v7
	v_pk_fma_f16 v29, v11, v43, v29
	v_mul_u32_u24_e32 v41, 0x10001, v4
	v_mul_u32_u24_e32 v42, 0x10001, v6
	v_pk_fma_f16 v11, v11, v5, v30
	v_mul_u32_u24_e32 v43, 0x10001, v7
	ds_load_2addr_b64 v[4:7], v100 offset0:128 offset1:160
	v_mul_u32_u24_e32 v40, 0x10001, v40
	s_wait_dscnt 0x1
	v_pk_fma_f16 v30, v24, v41, v44
	v_pk_fma_f16 v31, v24, v42, v31
	;; [unrolled: 1-line block ×13, first 2 shown]
	v_and_b32_e32 v9, 0xffff, v12
	v_lshrrev_b32_e32 v10, 16, v12
	v_and_b32_e32 v12, 0xffff, v13
	v_lshrrev_b32_e32 v13, 16, v13
	v_pk_fma_f16 v38, v27, v42, v39
	v_pk_fma_f16 v29, v27, v40, v29
	v_mul_u32_u24_e32 v39, 0x10001, v9
	v_mul_u32_u24_e32 v40, 0x10001, v10
	;; [unrolled: 1-line block ×4, first 2 shown]
	v_pk_fma_f16 v27, v27, v43, v11
	s_wait_dscnt 0x0
	v_pk_fma_f16 v30, v4, v39, v30
	v_pk_fma_f16 v31, v4, v40, v31
	;; [unrolled: 1-line block ×4, first 2 shown]
	ds_load_2addr_b64 v[8:11], v100 offset0:192 offset1:224
	v_pk_fma_f16 v24, v5, v39, v24
	v_pk_fma_f16 v33, v5, v40, v33
	;; [unrolled: 1-line block ×8, first 2 shown]
	v_and_b32_e32 v5, 0xffff, v14
	v_lshrrev_b32_e32 v6, 16, v14
	v_and_b32_e32 v14, 0xffff, v15
	v_lshrrev_b32_e32 v15, 16, v15
	v_pk_fma_f16 v28, v7, v39, v28
	v_pk_fma_f16 v12, v7, v12, v29
	v_mul_u32_u24_e32 v29, 0x10001, v5
	v_mul_u32_u24_e32 v39, 0x10001, v6
	v_mul_u32_u24_e32 v14, 0x10001, v14
	v_mul_u32_u24_e32 v15, 0x10001, v15
	v_pk_fma_f16 v38, v7, v40, v38
	v_pk_fma_f16 v13, v7, v13, v27
	s_wait_dscnt 0x0
	v_pk_fma_f16 v27, v8, v29, v30
	v_pk_fma_f16 v30, v8, v39, v31
	;; [unrolled: 1-line block ×4, first 2 shown]
	ds_load_2addr_b64 v[4:7], v121 offset1:32
	v_pk_fma_f16 v24, v9, v29, v24
	v_pk_fma_f16 v32, v9, v39, v33
	;; [unrolled: 1-line block ×8, first 2 shown]
	v_and_b32_e32 v9, 0xffff, v16
	v_lshrrev_b32_e32 v10, 16, v16
	v_and_b32_e32 v16, 0xffff, v17
	v_lshrrev_b32_e32 v17, 16, v17
	v_pk_fma_f16 v12, v11, v14, v12
	v_mul_u32_u24_e32 v14, 0x10001, v9
	v_mul_u32_u24_e32 v37, 0x10001, v10
	;; [unrolled: 1-line block ×4, first 2 shown]
	v_pk_fma_f16 v28, v11, v29, v28
	v_pk_fma_f16 v29, v11, v39, v38
	;; [unrolled: 1-line block ×3, first 2 shown]
	s_wait_dscnt 0x0
	v_pk_fma_f16 v15, v4, v14, v27
	v_pk_fma_f16 v27, v4, v37, v30
	;; [unrolled: 1-line block ×4, first 2 shown]
	ds_load_2addr_b64 v[8:11], v121 offset0:64 offset1:96
	v_pk_fma_f16 v24, v5, v14, v24
	v_pk_fma_f16 v31, v5, v37, v32
	;; [unrolled: 1-line block ×8, first 2 shown]
	v_and_b32_e32 v5, 0xffff, v18
	v_lshrrev_b32_e32 v6, 16, v18
	v_and_b32_e32 v18, 0xffff, v19
	v_lshrrev_b32_e32 v19, 16, v19
	v_pk_fma_f16 v14, v7, v14, v28
	v_pk_fma_f16 v28, v7, v37, v29
	;; [unrolled: 1-line block ×3, first 2 shown]
	v_mul_u32_u24_e32 v16, 0x10001, v5
	v_mul_u32_u24_e32 v29, 0x10001, v6
	;; [unrolled: 1-line block ×4, first 2 shown]
	v_pk_fma_f16 v13, v7, v17, v13
	s_wait_dscnt 0x0
	v_pk_fma_f16 v15, v8, v16, v15
	v_pk_fma_f16 v17, v8, v29, v27
	;; [unrolled: 1-line block ×4, first 2 shown]
	ds_load_2addr_b64 v[4:7], v121 offset0:128 offset1:160
	v_pk_fma_f16 v24, v9, v16, v24
	v_pk_fma_f16 v30, v9, v29, v31
	;; [unrolled: 1-line block ×8, first 2 shown]
	v_and_b32_e32 v9, 0xffff, v20
	v_lshrrev_b32_e32 v10, 16, v20
	v_and_b32_e32 v20, 0xffff, v21
	v_lshrrev_b32_e32 v21, 16, v21
	v_pk_fma_f16 v14, v11, v16, v14
	v_pk_fma_f16 v16, v11, v29, v28
	v_pk_fma_f16 v12, v11, v18, v12
	v_mul_u32_u24_e32 v18, 0x10001, v9
	v_mul_u32_u24_e32 v28, 0x10001, v10
	;; [unrolled: 1-line block ×4, first 2 shown]
	v_pk_fma_f16 v19, v11, v19, v13
	s_wait_dscnt 0x0
	v_pk_fma_f16 v29, v4, v18, v15
	v_pk_fma_f16 v17, v4, v28, v17
	;; [unrolled: 1-line block ×4, first 2 shown]
	ds_load_2addr_b64 v[8:11], v121 offset0:192 offset1:224
	v_pk_fma_f16 v24, v5, v18, v24
	v_pk_fma_f16 v30, v5, v28, v30
	;; [unrolled: 1-line block ×9, first 2 shown]
	v_and_b32_e32 v5, 0xffff, v22
	v_lshrrev_b32_e32 v6, 16, v22
	v_pk_fma_f16 v20, v7, v20, v12
	v_and_b32_e32 v22, 0xffff, v23
	v_lshrrev_b32_e32 v23, 16, v23
	ds_load_b128 v[12:15], v112 offset:320
	v_pk_fma_f16 v16, v7, v28, v16
	v_mul_u32_u24_e32 v28, 0x10001, v5
	v_mul_u32_u24_e32 v35, 0x10001, v6
	;; [unrolled: 1-line block ×4, first 2 shown]
	v_pk_fma_f16 v21, v7, v21, v19
	s_wait_dscnt 0x1
	v_pk_fma_f16 v29, v8, v28, v29
	v_pk_fma_f16 v36, v8, v35, v17
	;; [unrolled: 1-line block ×4, first 2 shown]
	ds_load_2addr_b64 v[4:7], v123 offset1:32
	v_pk_fma_f16 v24, v9, v28, v24
	v_pk_fma_f16 v30, v9, v35, v30
	;; [unrolled: 1-line block ×10, first 2 shown]
	ds_load_b128 v[16:19], v112 offset:336
	s_wait_dscnt 0x2
	v_and_b32_e32 v9, 0xffff, v12
	v_lshrrev_b32_e32 v10, 16, v12
	v_and_b32_e32 v12, 0xffff, v13
	v_lshrrev_b32_e32 v13, 16, v13
	v_pk_fma_f16 v20, v11, v22, v20
	v_mul_u32_u24_e32 v22, 0x10001, v9
	v_mul_u32_u24_e32 v37, 0x10001, v10
	;; [unrolled: 1-line block ×4, first 2 shown]
	v_pk_fma_f16 v21, v11, v23, v21
	s_wait_dscnt 0x1
	v_pk_fma_f16 v23, v4, v22, v29
	v_pk_fma_f16 v29, v4, v37, v36
	;; [unrolled: 1-line block ×4, first 2 shown]
	ds_load_2addr_b64 v[8:11], v123 offset0:64 offset1:96
	v_pk_fma_f16 v24, v5, v22, v24
	v_pk_fma_f16 v30, v5, v37, v30
	;; [unrolled: 1-line block ×8, first 2 shown]
	v_and_b32_e32 v5, 0xffff, v14
	v_lshrrev_b32_e32 v6, 16, v14
	v_and_b32_e32 v14, 0xffff, v15
	v_lshrrev_b32_e32 v15, 16, v15
	v_pk_fma_f16 v22, v7, v22, v28
	v_pk_fma_f16 v28, v7, v37, v35
	;; [unrolled: 1-line block ×3, first 2 shown]
	v_mul_u32_u24_e32 v20, 0x10001, v5
	v_mul_u32_u24_e32 v35, 0x10001, v6
	;; [unrolled: 1-line block ×4, first 2 shown]
	v_pk_fma_f16 v13, v7, v13, v21
	s_wait_dscnt 0x0
	v_pk_fma_f16 v21, v8, v20, v23
	v_pk_fma_f16 v23, v8, v35, v29
	v_pk_fma_f16 v27, v8, v14, v27
	v_pk_fma_f16 v8, v8, v15, v4
	ds_load_2addr_b64 v[4:7], v123 offset0:128 offset1:160
	v_pk_fma_f16 v24, v9, v20, v24
	v_pk_fma_f16 v29, v9, v35, v30
	;; [unrolled: 1-line block ×8, first 2 shown]
	v_and_b32_e32 v9, 0xffff, v16
	v_lshrrev_b32_e32 v10, 16, v16
	v_and_b32_e32 v16, 0xffff, v17
	v_lshrrev_b32_e32 v17, 16, v17
	v_pk_fma_f16 v20, v11, v20, v22
	v_pk_fma_f16 v22, v11, v35, v28
	;; [unrolled: 1-line block ×3, first 2 shown]
	v_mul_u32_u24_e32 v14, 0x10001, v9
	v_mul_u32_u24_e32 v28, 0x10001, v10
	;; [unrolled: 1-line block ×4, first 2 shown]
	v_pk_fma_f16 v34, v11, v15, v13
	s_wait_dscnt 0x0
	v_pk_fma_f16 v21, v4, v14, v21
	v_pk_fma_f16 v23, v4, v28, v23
	;; [unrolled: 1-line block ×4, first 2 shown]
	ds_load_2addr_b64 v[8:11], v123 offset0:192 offset1:224
	v_pk_fma_f16 v24, v5, v14, v24
	v_pk_fma_f16 v29, v5, v28, v29
	;; [unrolled: 1-line block ×10, first 2 shown]
	v_and_b32_e32 v5, 0xffff, v18
	v_dual_lshrrev_b32 v6, 16, v18 :: v_dual_lshrrev_b32 v18, 16, v19
	v_pk_fma_f16 v28, v7, v16, v12
	v_and_b32_e32 v16, 0xffff, v19
	ds_load_b128 v[12:15], v112 offset:352
	v_mul_u32_u24_e32 v19, 0x10001, v5
	v_mul_u32_u24_e32 v35, 0x10001, v6
	;; [unrolled: 1-line block ×4, first 2 shown]
	v_pk_fma_f16 v34, v7, v17, v34
	s_wait_dscnt 0x1
	v_pk_fma_f16 v21, v8, v19, v21
	v_pk_fma_f16 v23, v8, v35, v23
	v_pk_fma_f16 v24, v9, v19, v24
	v_pk_fma_f16 v27, v8, v36, v27
	v_pk_fma_f16 v8, v8, v37, v4
	ds_load_2addr_b64 v[4:7], v124 offset1:32
	v_pk_fma_f16 v29, v9, v35, v29
	v_pk_fma_f16 v30, v9, v36, v30
	;; [unrolled: 1-line block ×8, first 2 shown]
	ds_load_b128 v[16:19], v112 offset:368
	s_wait_dscnt 0x2
	v_and_b32_e32 v9, 0xffff, v12
	v_lshrrev_b32_e32 v10, 16, v12
	v_and_b32_e32 v12, 0xffff, v13
	v_lshrrev_b32_e32 v13, 16, v13
	v_pk_fma_f16 v22, v11, v35, v22
	v_pk_fma_f16 v28, v11, v36, v28
	v_mul_u32_u24_e32 v35, 0x10001, v9
	v_mul_u32_u24_e32 v36, 0x10001, v10
	;; [unrolled: 1-line block ×4, first 2 shown]
	v_pk_fma_f16 v34, v11, v37, v34
	s_wait_dscnt 0x1
	v_pk_fma_f16 v21, v4, v35, v21
	v_pk_fma_f16 v23, v4, v36, v23
	;; [unrolled: 1-line block ×4, first 2 shown]
	ds_load_2addr_b64 v[8:11], v124 offset0:64 offset1:96
	v_pk_fma_f16 v24, v5, v35, v24
	v_pk_fma_f16 v29, v5, v36, v29
	;; [unrolled: 1-line block ×8, first 2 shown]
	v_and_b32_e32 v5, 0xffff, v14
	v_lshrrev_b32_e32 v6, 16, v14
	v_and_b32_e32 v14, 0xffff, v15
	v_lshrrev_b32_e32 v15, 16, v15
	v_pk_fma_f16 v20, v7, v35, v20
	v_pk_fma_f16 v12, v7, v12, v28
	v_mul_u32_u24_e32 v28, 0x10001, v5
	v_mul_u32_u24_e32 v35, 0x10001, v6
	;; [unrolled: 1-line block ×4, first 2 shown]
	v_pk_fma_f16 v22, v7, v36, v22
	v_pk_fma_f16 v13, v7, v13, v34
	s_wait_dscnt 0x0
	v_pk_fma_f16 v21, v8, v28, v21
	v_pk_fma_f16 v23, v8, v35, v23
	;; [unrolled: 1-line block ×4, first 2 shown]
	ds_load_2addr_b64 v[4:7], v124 offset0:128 offset1:160
	v_pk_fma_f16 v24, v9, v28, v24
	v_pk_fma_f16 v29, v9, v35, v29
	v_pk_fma_f16 v30, v9, v14, v30
	v_pk_fma_f16 v25, v9, v15, v25
	v_pk_fma_f16 v31, v10, v28, v31
	v_pk_fma_f16 v32, v10, v35, v32
	v_pk_fma_f16 v33, v10, v14, v33
	v_pk_fma_f16 v26, v10, v15, v26
	v_and_b32_e32 v9, 0xffff, v16
	v_lshrrev_b32_e32 v10, 16, v16
	v_and_b32_e32 v16, 0xffff, v17
	v_lshrrev_b32_e32 v17, 16, v17
	v_pk_fma_f16 v20, v11, v28, v20
	v_pk_fma_f16 v12, v11, v14, v12
	v_mul_u32_u24_e32 v14, 0x10001, v9
	v_mul_u32_u24_e32 v28, 0x10001, v10
	;; [unrolled: 1-line block ×4, first 2 shown]
	v_pk_fma_f16 v22, v11, v35, v22
	v_pk_fma_f16 v34, v11, v15, v13
	s_wait_dscnt 0x0
	v_pk_fma_f16 v21, v4, v14, v21
	v_pk_fma_f16 v23, v4, v28, v23
	;; [unrolled: 1-line block ×4, first 2 shown]
	ds_load_2addr_b64 v[8:11], v124 offset0:192 offset1:224
	v_pk_fma_f16 v24, v5, v14, v24
	v_pk_fma_f16 v29, v5, v28, v29
	;; [unrolled: 1-line block ×10, first 2 shown]
	v_and_b32_e32 v5, 0xffff, v18
	v_dual_lshrrev_b32 v6, 16, v18 :: v_dual_lshrrev_b32 v18, 16, v19
	v_pk_fma_f16 v28, v7, v16, v12
	v_and_b32_e32 v16, 0xffff, v19
	ds_load_b128 v[12:15], v112 offset:384
	v_mul_u32_u24_e32 v19, 0x10001, v5
	v_mul_u32_u24_e32 v35, 0x10001, v6
	;; [unrolled: 1-line block ×4, first 2 shown]
	v_pk_fma_f16 v34, v7, v17, v34
	s_wait_dscnt 0x1
	v_pk_fma_f16 v21, v8, v19, v21
	v_pk_fma_f16 v23, v8, v35, v23
	;; [unrolled: 1-line block ×5, first 2 shown]
	ds_load_2addr_b64 v[4:7], v125 offset1:32
	v_pk_fma_f16 v29, v9, v35, v29
	v_pk_fma_f16 v30, v9, v36, v30
	;; [unrolled: 1-line block ×8, first 2 shown]
	ds_load_b128 v[16:19], v112 offset:400
	s_wait_dscnt 0x2
	v_and_b32_e32 v9, 0xffff, v12
	v_lshrrev_b32_e32 v10, 16, v12
	v_and_b32_e32 v12, 0xffff, v13
	v_lshrrev_b32_e32 v13, 16, v13
	v_pk_fma_f16 v22, v11, v35, v22
	v_pk_fma_f16 v28, v11, v36, v28
	v_mul_u32_u24_e32 v35, 0x10001, v9
	v_mul_u32_u24_e32 v36, 0x10001, v10
	;; [unrolled: 1-line block ×4, first 2 shown]
	v_pk_fma_f16 v34, v11, v37, v34
	s_wait_dscnt 0x1
	v_pk_fma_f16 v21, v4, v35, v21
	v_pk_fma_f16 v23, v4, v36, v23
	;; [unrolled: 1-line block ×4, first 2 shown]
	ds_load_2addr_b64 v[8:11], v125 offset0:64 offset1:96
	v_pk_fma_f16 v24, v5, v35, v24
	v_pk_fma_f16 v29, v5, v36, v29
	;; [unrolled: 1-line block ×8, first 2 shown]
	v_and_b32_e32 v5, 0xffff, v14
	v_lshrrev_b32_e32 v6, 16, v14
	v_and_b32_e32 v14, 0xffff, v15
	v_lshrrev_b32_e32 v15, 16, v15
	v_pk_fma_f16 v20, v7, v35, v20
	v_pk_fma_f16 v12, v7, v12, v28
	v_mul_u32_u24_e32 v28, 0x10001, v5
	v_mul_u32_u24_e32 v35, 0x10001, v6
	;; [unrolled: 1-line block ×4, first 2 shown]
	v_pk_fma_f16 v22, v7, v36, v22
	v_pk_fma_f16 v13, v7, v13, v34
	s_wait_dscnt 0x0
	v_pk_fma_f16 v21, v8, v28, v21
	v_pk_fma_f16 v23, v8, v35, v23
	;; [unrolled: 1-line block ×4, first 2 shown]
	ds_load_2addr_b64 v[4:7], v125 offset0:128 offset1:160
	v_pk_fma_f16 v24, v9, v28, v24
	v_pk_fma_f16 v29, v9, v35, v29
	;; [unrolled: 1-line block ×8, first 2 shown]
	v_and_b32_e32 v9, 0xffff, v16
	v_lshrrev_b32_e32 v10, 16, v16
	v_and_b32_e32 v16, 0xffff, v17
	v_lshrrev_b32_e32 v17, 16, v17
	v_pk_fma_f16 v20, v11, v28, v20
	v_pk_fma_f16 v12, v11, v14, v12
	v_mul_u32_u24_e32 v14, 0x10001, v9
	v_mul_u32_u24_e32 v28, 0x10001, v10
	;; [unrolled: 1-line block ×4, first 2 shown]
	v_pk_fma_f16 v22, v11, v35, v22
	v_pk_fma_f16 v34, v11, v15, v13
	s_wait_dscnt 0x0
	v_pk_fma_f16 v21, v4, v14, v21
	v_pk_fma_f16 v23, v4, v28, v23
	;; [unrolled: 1-line block ×4, first 2 shown]
	ds_load_2addr_b64 v[8:11], v125 offset0:192 offset1:224
	v_pk_fma_f16 v24, v5, v14, v24
	v_pk_fma_f16 v29, v5, v28, v29
	;; [unrolled: 1-line block ×10, first 2 shown]
	v_and_b32_e32 v5, 0xffff, v18
	v_dual_lshrrev_b32 v6, 16, v18 :: v_dual_lshrrev_b32 v18, 16, v19
	v_pk_fma_f16 v28, v7, v16, v12
	v_and_b32_e32 v16, 0xffff, v19
	ds_load_b128 v[12:15], v112 offset:416
	v_mul_u32_u24_e32 v19, 0x10001, v5
	v_mul_u32_u24_e32 v35, 0x10001, v6
	;; [unrolled: 1-line block ×4, first 2 shown]
	v_pk_fma_f16 v34, v7, v17, v34
	s_wait_dscnt 0x1
	v_pk_fma_f16 v21, v8, v19, v21
	v_pk_fma_f16 v23, v8, v35, v23
	;; [unrolled: 1-line block ×5, first 2 shown]
	ds_load_2addr_b64 v[4:7], v126 offset1:32
	v_pk_fma_f16 v29, v9, v35, v29
	v_pk_fma_f16 v30, v9, v36, v30
	;; [unrolled: 1-line block ×8, first 2 shown]
	ds_load_b128 v[16:19], v112 offset:432
	s_wait_dscnt 0x2
	v_and_b32_e32 v9, 0xffff, v12
	v_lshrrev_b32_e32 v10, 16, v12
	v_and_b32_e32 v12, 0xffff, v13
	v_lshrrev_b32_e32 v13, 16, v13
	v_pk_fma_f16 v22, v11, v35, v22
	v_pk_fma_f16 v28, v11, v36, v28
	v_mul_u32_u24_e32 v35, 0x10001, v9
	v_mul_u32_u24_e32 v36, 0x10001, v10
	;; [unrolled: 1-line block ×4, first 2 shown]
	v_pk_fma_f16 v34, v11, v37, v34
	s_wait_dscnt 0x1
	v_pk_fma_f16 v21, v4, v35, v21
	v_pk_fma_f16 v23, v4, v36, v23
	;; [unrolled: 1-line block ×4, first 2 shown]
	ds_load_2addr_b64 v[8:11], v126 offset0:64 offset1:96
	v_pk_fma_f16 v24, v5, v35, v24
	v_pk_fma_f16 v29, v5, v36, v29
	;; [unrolled: 1-line block ×8, first 2 shown]
	v_and_b32_e32 v5, 0xffff, v14
	v_lshrrev_b32_e32 v6, 16, v14
	v_and_b32_e32 v14, 0xffff, v15
	v_lshrrev_b32_e32 v15, 16, v15
	v_pk_fma_f16 v20, v7, v35, v20
	v_pk_fma_f16 v12, v7, v12, v28
	v_mul_u32_u24_e32 v28, 0x10001, v5
	v_mul_u32_u24_e32 v35, 0x10001, v6
	;; [unrolled: 1-line block ×4, first 2 shown]
	v_pk_fma_f16 v22, v7, v36, v22
	v_pk_fma_f16 v13, v7, v13, v34
	s_wait_dscnt 0x0
	v_pk_fma_f16 v21, v8, v28, v21
	v_pk_fma_f16 v23, v8, v35, v23
	;; [unrolled: 1-line block ×4, first 2 shown]
	ds_load_2addr_b64 v[4:7], v126 offset0:128 offset1:160
	v_pk_fma_f16 v24, v9, v28, v24
	v_pk_fma_f16 v29, v9, v35, v29
	;; [unrolled: 1-line block ×8, first 2 shown]
	v_and_b32_e32 v9, 0xffff, v16
	v_lshrrev_b32_e32 v10, 16, v16
	v_and_b32_e32 v16, 0xffff, v17
	v_lshrrev_b32_e32 v17, 16, v17
	v_pk_fma_f16 v20, v11, v28, v20
	v_pk_fma_f16 v12, v11, v14, v12
	v_mul_u32_u24_e32 v14, 0x10001, v9
	v_mul_u32_u24_e32 v28, 0x10001, v10
	;; [unrolled: 1-line block ×4, first 2 shown]
	v_pk_fma_f16 v22, v11, v35, v22
	v_pk_fma_f16 v34, v11, v15, v13
	s_wait_dscnt 0x0
	v_pk_fma_f16 v21, v4, v14, v21
	v_pk_fma_f16 v23, v4, v28, v23
	;; [unrolled: 1-line block ×4, first 2 shown]
	ds_load_2addr_b64 v[8:11], v126 offset0:192 offset1:224
	v_pk_fma_f16 v24, v5, v14, v24
	v_pk_fma_f16 v29, v5, v28, v29
	;; [unrolled: 1-line block ×10, first 2 shown]
	v_and_b32_e32 v5, 0xffff, v18
	v_dual_lshrrev_b32 v6, 16, v18 :: v_dual_lshrrev_b32 v18, 16, v19
	v_pk_fma_f16 v28, v7, v16, v12
	v_and_b32_e32 v16, 0xffff, v19
	ds_load_b128 v[12:15], v112 offset:448
	v_mul_u32_u24_e32 v19, 0x10001, v5
	v_mul_u32_u24_e32 v35, 0x10001, v6
	v_mul_u32_u24_e32 v37, 0x10001, v18
	v_mul_u32_u24_e32 v36, 0x10001, v16
	v_pk_fma_f16 v34, v7, v17, v34
	s_wait_dscnt 0x1
	v_pk_fma_f16 v21, v8, v19, v21
	v_pk_fma_f16 v23, v8, v35, v23
	;; [unrolled: 1-line block ×5, first 2 shown]
	ds_load_2addr_b64 v[4:7], v127 offset1:32
	v_pk_fma_f16 v29, v9, v35, v29
	v_pk_fma_f16 v30, v9, v36, v30
	;; [unrolled: 1-line block ×8, first 2 shown]
	ds_load_b128 v[16:19], v112 offset:464
	s_wait_dscnt 0x2
	v_and_b32_e32 v9, 0xffff, v12
	v_lshrrev_b32_e32 v10, 16, v12
	v_and_b32_e32 v12, 0xffff, v13
	v_lshrrev_b32_e32 v13, 16, v13
	v_pk_fma_f16 v22, v11, v35, v22
	v_pk_fma_f16 v28, v11, v36, v28
	v_mul_u32_u24_e32 v35, 0x10001, v9
	v_mul_u32_u24_e32 v36, 0x10001, v10
	;; [unrolled: 1-line block ×4, first 2 shown]
	v_pk_fma_f16 v34, v11, v37, v34
	s_wait_dscnt 0x1
	v_pk_fma_f16 v21, v4, v35, v21
	v_pk_fma_f16 v23, v4, v36, v23
	;; [unrolled: 1-line block ×4, first 2 shown]
	ds_load_2addr_b64 v[8:11], v127 offset0:64 offset1:96
	v_pk_fma_f16 v24, v5, v35, v24
	v_pk_fma_f16 v29, v5, v36, v29
	;; [unrolled: 1-line block ×8, first 2 shown]
	v_and_b32_e32 v5, 0xffff, v14
	v_lshrrev_b32_e32 v6, 16, v14
	v_and_b32_e32 v14, 0xffff, v15
	v_lshrrev_b32_e32 v15, 16, v15
	v_pk_fma_f16 v20, v7, v35, v20
	v_pk_fma_f16 v12, v7, v12, v28
	v_mul_u32_u24_e32 v28, 0x10001, v5
	v_mul_u32_u24_e32 v35, 0x10001, v6
	;; [unrolled: 1-line block ×4, first 2 shown]
	v_pk_fma_f16 v22, v7, v36, v22
	v_pk_fma_f16 v13, v7, v13, v34
	s_wait_dscnt 0x0
	v_pk_fma_f16 v21, v8, v28, v21
	v_pk_fma_f16 v23, v8, v35, v23
	;; [unrolled: 1-line block ×4, first 2 shown]
	ds_load_2addr_b64 v[4:7], v127 offset0:128 offset1:160
	v_pk_fma_f16 v24, v9, v28, v24
	v_pk_fma_f16 v29, v9, v35, v29
	;; [unrolled: 1-line block ×8, first 2 shown]
	v_and_b32_e32 v9, 0xffff, v16
	v_lshrrev_b32_e32 v10, 16, v16
	v_and_b32_e32 v16, 0xffff, v17
	v_lshrrev_b32_e32 v17, 16, v17
	v_pk_fma_f16 v20, v11, v28, v20
	v_pk_fma_f16 v12, v11, v14, v12
	v_mul_u32_u24_e32 v14, 0x10001, v9
	v_mul_u32_u24_e32 v28, 0x10001, v10
	;; [unrolled: 1-line block ×4, first 2 shown]
	v_pk_fma_f16 v22, v11, v35, v22
	v_pk_fma_f16 v34, v11, v15, v13
	s_wait_dscnt 0x0
	v_pk_fma_f16 v21, v4, v14, v21
	v_pk_fma_f16 v23, v4, v28, v23
	;; [unrolled: 1-line block ×4, first 2 shown]
	ds_load_2addr_b64 v[8:11], v127 offset0:192 offset1:224
	v_pk_fma_f16 v24, v5, v14, v24
	v_pk_fma_f16 v29, v5, v28, v29
	;; [unrolled: 1-line block ×10, first 2 shown]
	v_and_b32_e32 v5, 0xffff, v18
	v_dual_lshrrev_b32 v6, 16, v18 :: v_dual_lshrrev_b32 v18, 16, v19
	v_pk_fma_f16 v28, v7, v16, v12
	v_and_b32_e32 v16, 0xffff, v19
	ds_load_b128 v[12:15], v112 offset:480
	v_mul_u32_u24_e32 v19, 0x10001, v5
	v_mul_u32_u24_e32 v35, 0x10001, v6
	;; [unrolled: 1-line block ×4, first 2 shown]
	v_pk_fma_f16 v34, v7, v17, v34
	s_wait_dscnt 0x1
	v_pk_fma_f16 v21, v8, v19, v21
	v_pk_fma_f16 v23, v8, v35, v23
	;; [unrolled: 1-line block ×5, first 2 shown]
	ds_load_2addr_b64 v[4:7], v122 offset1:32
	v_pk_fma_f16 v29, v9, v35, v29
	v_pk_fma_f16 v30, v9, v36, v30
	;; [unrolled: 1-line block ×8, first 2 shown]
	ds_load_b128 v[16:19], v112 offset:496
	s_wait_dscnt 0x2
	v_and_b32_e32 v9, 0xffff, v12
	v_lshrrev_b32_e32 v10, 16, v12
	v_and_b32_e32 v12, 0xffff, v13
	v_lshrrev_b32_e32 v13, 16, v13
	v_pk_fma_f16 v22, v11, v35, v22
	v_pk_fma_f16 v28, v11, v36, v28
	v_mul_u32_u24_e32 v35, 0x10001, v9
	v_mul_u32_u24_e32 v36, 0x10001, v10
	;; [unrolled: 1-line block ×4, first 2 shown]
	v_pk_fma_f16 v34, v11, v37, v34
	s_wait_dscnt 0x1
	v_pk_fma_f16 v21, v4, v35, v21
	v_pk_fma_f16 v23, v4, v36, v23
	;; [unrolled: 1-line block ×4, first 2 shown]
	ds_load_2addr_b64 v[8:11], v122 offset0:64 offset1:96
	v_pk_fma_f16 v24, v5, v35, v24
	v_pk_fma_f16 v29, v5, v36, v29
	v_pk_fma_f16 v30, v5, v12, v30
	v_pk_fma_f16 v25, v5, v13, v25
	v_pk_fma_f16 v31, v6, v35, v31
	v_pk_fma_f16 v32, v6, v36, v32
	v_pk_fma_f16 v33, v6, v12, v33
	v_pk_fma_f16 v26, v6, v13, v26
	v_and_b32_e32 v5, 0xffff, v14
	v_lshrrev_b32_e32 v6, 16, v14
	v_and_b32_e32 v14, 0xffff, v15
	v_lshrrev_b32_e32 v15, 16, v15
	v_pk_fma_f16 v20, v7, v35, v20
	v_pk_fma_f16 v12, v7, v12, v28
	v_mul_u32_u24_e32 v28, 0x10001, v5
	v_mul_u32_u24_e32 v35, 0x10001, v6
	v_mul_u32_u24_e32 v14, 0x10001, v14
	v_mul_u32_u24_e32 v15, 0x10001, v15
	v_pk_fma_f16 v22, v7, v36, v22
	v_pk_fma_f16 v13, v7, v13, v34
	s_wait_dscnt 0x0
	v_pk_fma_f16 v21, v8, v28, v21
	v_pk_fma_f16 v23, v8, v35, v23
	v_pk_fma_f16 v27, v8, v14, v27
	v_pk_fma_f16 v8, v8, v15, v4
	ds_load_2addr_b64 v[4:7], v122 offset0:128 offset1:160
	v_pk_fma_f16 v24, v9, v28, v24
	v_pk_fma_f16 v29, v9, v35, v29
	;; [unrolled: 1-line block ×9, first 2 shown]
	v_and_b32_e32 v10, 0xffff, v16
	v_lshrrev_b32_e32 v16, 16, v16
	v_and_b32_e32 v28, 0xffff, v17
	v_lshrrev_b32_e32 v17, 16, v17
	v_pk_fma_f16 v12, v11, v14, v12
	v_mul_u32_u24_e32 v14, 0x10001, v10
	v_mul_u32_u24_e32 v16, 0x10001, v16
	;; [unrolled: 1-line block ×4, first 2 shown]
	v_pk_fma_f16 v22, v11, v35, v22
	v_pk_fma_f16 v13, v11, v15, v13
	s_wait_dscnt 0x0
	v_pk_fma_f16 v15, v4, v14, v21
	v_pk_fma_f16 v21, v4, v16, v23
	;; [unrolled: 1-line block ×8, first 2 shown]
	ds_load_2addr_b64 v[8:11], v122 offset0:192 offset1:224
	s_wait_dscnt 0x0
	s_barrier_signal -1
	s_barrier_wait -1
	s_load_b32 s5, s[20:21], 0x4
	v_pk_fma_f16 v33, v6, v14, v25
	v_pk_fma_f16 v31, v6, v16, v31
	;; [unrolled: 1-line block ×3, first 2 shown]
	v_and_b32_e32 v20, 0xffff, v18
	v_pk_fma_f16 v16, v7, v16, v22
	v_dual_lshrrev_b32 v18, 16, v18 :: v_dual_lshrrev_b32 v22, 16, v19
	v_and_b32_e32 v19, 0xffff, v19
	v_pk_fma_f16 v36, v6, v28, v32
	v_pk_fma_f16 v6, v6, v17, v26
	;; [unrolled: 1-line block ×3, first 2 shown]
	v_mul_u32_u24_e32 v37, 0x10001, v20
	v_mul_u32_u24_e32 v18, 0x10001, v18
	;; [unrolled: 1-line block ×4, first 2 shown]
	v_pk_fma_f16 v7, v7, v17, v13
	v_pk_fma_f32 v[58:59], v[58:59], v[82:83], v[86:87]
	v_pk_fma_f16 v26, v8, v37, v15
	v_pk_fma_f16 v24, v8, v18, v21
	s_wait_kmcnt 0x0
	s_lshl_b32 s5, s5, 6
	v_pk_fma_f16 v20, v8, v19, v23
	v_pk_fma_f16 v25, v8, v38, v4
	;; [unrolled: 1-line block ×14, first 2 shown]
	s_add_co_i32 s4, s5, s4
	s_delay_alu instid0(SALU_CYCLE_1)
	s_cmp_ge_i32 s4, s30
	s_cbranch_scc1 .LBB65_43
; %bb.42:                               ;   in Loop: Header=BB65_9 Depth=1
	v_dual_mov_b32 v37, v0 :: v_dual_mov_b32 v39, v1
	v_dual_mov_b32 v38, v2 :: v_dual_mov_b32 v36, v3
	s_branch .LBB65_9
.LBB65_43:
	v_mov_b32_e32 v4, v101
.LBB65_44:
	v_cmp_lt_i32_e32 vcc_lo, v120, v102
	s_cmp_lg_u64 s[12:13], 0
	s_cselect_b32 s3, -1, 0
	s_cmp_eq_u32 s31, 0
	v_cndmask_b32_e32 v5, v4, v120, vcc_lo
	v_cmp_lt_i32_e32 vcc_lo, v119, v102
	s_cselect_b32 s4, -1, 0
	s_delay_alu instid0(SALU_CYCLE_1) | instskip(NEXT) | instid1(VALU_DEP_2)
	s_and_b32 s3, s4, s3
	v_lshlrev_b32_e32 v5, 2, v5
	ds_bpermute_b32 v6, v5, v60
	ds_bpermute_b32 v7, v5, v61
	;; [unrolled: 1-line block ×4, first 2 shown]
	v_cndmask_b32_e32 v5, v4, v119, vcc_lo
	v_cmp_lt_i32_e32 vcc_lo, v118, v102
	s_delay_alu instid0(VALU_DEP_2)
	v_lshlrev_b32_e32 v5, 2, v5
	s_wait_dscnt 0x2
	v_pk_add_f32 v[6:7], v[60:61], v[6:7]
	s_wait_dscnt 0x0
	v_pk_add_f32 v[8:9], v[58:59], v[8:9]
	ds_bpermute_b32 v10, v5, v6
	ds_bpermute_b32 v11, v5, v7
	;; [unrolled: 1-line block ×4, first 2 shown]
	v_cndmask_b32_e32 v5, v4, v118, vcc_lo
	v_cmp_lt_i32_e32 vcc_lo, v117, v102
	s_delay_alu instid0(VALU_DEP_2)
	v_lshlrev_b32_e32 v5, 2, v5
	s_wait_dscnt 0x2
	v_pk_add_f32 v[6:7], v[6:7], v[10:11]
	s_wait_dscnt 0x0
	v_pk_add_f32 v[8:9], v[8:9], v[12:13]
	ds_bpermute_b32 v10, v5, v6
	ds_bpermute_b32 v11, v5, v7
	;; [unrolled: 1-line block ×4, first 2 shown]
	v_cndmask_b32_e32 v5, v4, v117, vcc_lo
	v_cmp_lt_i32_e32 vcc_lo, v116, v102
	s_delay_alu instid0(VALU_DEP_2) | instskip(SKIP_1) | instid1(VALU_DEP_1)
	v_dual_cndmask_b32 v4, v4, v116 :: v_dual_lshlrev_b32 v5, 2, v5
	s_and_b32 vcc_lo, exec_lo, s3
	v_lshlrev_b32_e32 v14, 2, v4
	s_wait_dscnt 0x2
	v_pk_add_f32 v[6:7], v[6:7], v[10:11]
	s_wait_dscnt 0x0
	v_pk_add_f32 v[8:9], v[8:9], v[12:13]
	ds_bpermute_b32 v10, v5, v6
	ds_bpermute_b32 v11, v5, v7
	;; [unrolled: 1-line block ×4, first 2 shown]
	s_wait_dscnt 0x2
	v_pk_add_f32 v[4:5], v[6:7], v[10:11]
	s_wait_dscnt 0x0
	v_pk_add_f32 v[8:9], v[8:9], v[12:13]
	ds_bpermute_b32 v6, v14, v4
	ds_bpermute_b32 v7, v14, v5
	;; [unrolled: 1-line block ×4, first 2 shown]
	s_wait_dscnt 0x2
	v_pk_add_f32 v[6:7], v[4:5], v[6:7]
	s_wait_dscnt 0x0
	v_pk_add_f32 v[4:5], v[8:9], v[10:11]
	s_cbranch_vccz .LBB65_46
; %bb.45:
	s_ashr_i32 s3, s2, 31
	v_mov_b32_e32 v8, 0
	s_lshl_b64 s[4:5], s[2:3], 2
	v_max_num_f32_e32 v9, v1, v1
	s_add_nc_u64 s[4:5], s[12:13], s[4:5]
	v_max_num_f32_e32 v14, v2, v2
	global_load_b64 v[12:13], v8, s[4:5]
	s_wait_xcnt 0x0
	v_max_num_f32_e32 v8, v0, v0
	s_wait_loadcnt 0x0
	v_dual_max_num_f32 v10, v12, v12 :: v_dual_max_num_f32 v11, v13, v13
	s_delay_alu instid0(VALU_DEP_1) | instskip(NEXT) | instid1(VALU_DEP_2)
	v_dual_max_num_f32 v15, v3, v3 :: v_dual_max_num_f32 v8, v8, v10
	v_dual_max_num_f32 v9, v9, v11 :: v_dual_max_num_f32 v10, v14, v10
	s_delay_alu instid0(VALU_DEP_2) | instskip(NEXT) | instid1(VALU_DEP_2)
	v_dual_max_num_f32 v11, v15, v11 :: v_dual_sub_f32 v0, v0, v8
	v_dual_sub_f32 v14, v12, v8 :: v_dual_sub_f32 v1, v1, v9
	s_delay_alu instid0(VALU_DEP_3) | instskip(NEXT) | instid1(VALU_DEP_3)
	v_dual_sub_f32 v15, v13, v9 :: v_dual_sub_f32 v16, v2, v10
	v_dual_sub_f32 v19, v13, v11 :: v_dual_mul_f32 v2, 0x3fb8aa3b, v0
	v_dual_sub_f32 v17, v12, v10 :: v_dual_sub_f32 v18, v3, v11
	s_delay_alu instid0(VALU_DEP_4) | instskip(NEXT) | instid1(VALU_DEP_4)
	v_dual_mul_f32 v3, 0x3fb8aa3b, v14 :: v_dual_mul_f32 v12, 0x3fb8aa3b, v1
	v_dual_mul_f32 v13, 0x3fb8aa3b, v15 :: v_dual_mul_f32 v36, 0x3fb8aa3b, v16
	s_delay_alu instid0(VALU_DEP_4)
	v_fma_f32 v40, 0x3fb8aa3b, v0, -v2
	v_rndne_f32_e32 v41, v2
	v_mul_f32_e32 v39, 0x3fb8aa3b, v19
	v_fma_f32 v42, 0x3fb8aa3b, v14, -v3
	v_rndne_f32_e32 v43, v3
	v_rndne_f32_e32 v49, v36
	v_fmac_f32_e32 v40, 0x32a5705f, v0
	v_sub_f32_e32 v2, v2, v41
	v_dual_mul_f32 v37, 0x3fb8aa3b, v17 :: v_dual_mul_f32 v38, 0x3fb8aa3b, v18
	v_fma_f32 v44, 0x3fb8aa3b, v1, -v12
	v_rndne_f32_e32 v45, v12
	v_fma_f32 v46, 0x3fb8aa3b, v15, -v13
	v_rndne_f32_e32 v47, v13
	v_fma_f32 v48, 0x3fb8aa3b, v16, -v36
	v_dual_fmac_f32 v42, 0x32a5705f, v14 :: v_dual_sub_f32 v3, v3, v43
	v_dual_sub_f32 v36, v36, v49 :: v_dual_add_f32 v2, v2, v40
	v_fma_f32 v50, 0x3fb8aa3b, v17, -v37
	v_rndne_f32_e32 v51, v37
	v_rndne_f32_e32 v53, v38
	v_fma_f32 v54, 0x3fb8aa3b, v19, -v39
	v_rndne_f32_e32 v55, v39
	s_delay_alu instid0(VALU_DEP_4)
	v_dual_fmac_f32 v44, 0x32a5705f, v1 :: v_dual_sub_f32 v37, v37, v51
	v_dual_sub_f32 v12, v12, v45 :: v_dual_sub_f32 v13, v13, v47
	v_dual_fmac_f32 v46, 0x32a5705f, v15 :: v_dual_add_f32 v3, v3, v42
	v_exp_f32_e32 v2, v2
	v_cvt_i32_f32_e32 v41, v41
	v_fma_f32 v52, 0x3fb8aa3b, v18, -v38
	v_fmac_f32_e32 v54, 0x32a5705f, v19
	v_dual_sub_f32 v39, v39, v55 :: v_dual_fmac_f32 v50, 0x32a5705f, v17
	v_dual_sub_f32 v38, v38, v53 :: v_dual_add_f32 v12, v12, v44
	v_exp_f32_e32 v3, v3
	v_cvt_i32_f32_e32 v43, v43
	v_dual_fmac_f32 v48, 0x32a5705f, v16 :: v_dual_add_f32 v13, v13, v46
	v_ldexp_f32 v2, v2, v41
	v_cmp_ngt_f32_e32 vcc_lo, 0xc2ce8ed0, v0
	v_add_f32_e32 v39, v39, v54
	v_add_f32_e32 v37, v37, v50
	v_exp_f32_e32 v12, v12
	v_cvt_i32_f32_e32 v45, v45
	v_dual_add_f32 v36, v36, v48 :: v_dual_cndmask_b32 v2, 0, v2, vcc_lo
	v_ldexp_f32 v3, v3, v43
	v_cmp_ngt_f32_e32 vcc_lo, 0xc2ce8ed0, v14
	v_exp_f32_e32 v13, v13
	v_exp_f32_e32 v37, v37
	v_cvt_i32_f32_e32 v47, v47
	v_cvt_i32_f32_e32 v51, v51
	v_dual_fmac_f32 v52, 0x32a5705f, v18 :: v_dual_cndmask_b32 v3, 0, v3
	v_ldexp_f32 v12, v12, v45
	v_cmp_ngt_f32_e32 vcc_lo, 0xc2ce8ed0, v1
	v_exp_f32_e32 v36, v36
	v_ldexp_f32 v13, v13, v47
	v_ldexp_f32 v37, v37, v51
	v_cvt_i32_f32_e32 v49, v49
	v_cndmask_b32_e32 v12, 0, v12, vcc_lo
	v_cmp_ngt_f32_e32 vcc_lo, 0xc2ce8ed0, v15
	v_add_f32_e32 v38, v38, v52
	v_cvt_i32_f32_e32 v53, v53
	v_ldexp_f32 v36, v36, v49
	v_exp_f32_e32 v39, v39
	v_cndmask_b32_e32 v13, 0, v13, vcc_lo
	v_exp_f32_e32 v38, v38
	v_cmp_ngt_f32_e32 vcc_lo, 0xc2ce8ed0, v16
	v_cvt_i32_f32_e32 v55, v55
	s_delay_alu instid0(TRANS32_DEP_1) | instskip(SKIP_2) | instid1(VALU_DEP_4)
	v_ldexp_f32 v38, v38, v53
	v_cndmask_b32_e32 v36, 0, v36, vcc_lo
	v_cmp_ngt_f32_e32 vcc_lo, 0xc2ce8ed0, v17
	v_ldexp_f32 v39, v39, v55
	v_cndmask_b32_e32 v37, 0, v37, vcc_lo
	v_cmp_ngt_f32_e32 vcc_lo, 0xc2ce8ed0, v18
	v_cndmask_b32_e32 v38, 0, v38, vcc_lo
	v_cmp_ngt_f32_e32 vcc_lo, 0xc2ce8ed0, v19
	v_cndmask_b32_e32 v39, 0, v39, vcc_lo
	v_cmp_nlt_f32_e32 vcc_lo, 0x42b17218, v0
	v_cndmask_b32_e32 v0, 0x7f800000, v2, vcc_lo
	v_cmp_nlt_f32_e32 vcc_lo, 0x42b17218, v14
	;; [unrolled: 2-line block ×5, first 2 shown]
	v_cvt_f16_f32_e32 v16, v0
	s_delay_alu instid0(VALU_DEP_3)
	v_pk_fma_f32 v[6:7], v[6:7], v[0:1], v[2:3]
	v_cndmask_b32_e32 v12, 0x7f800000, v36, vcc_lo
	v_cmp_nlt_f32_e32 vcc_lo, 0x42b17218, v17
	v_cvt_f16_f32_e32 v17, v1
	v_and_b32_e32 v16, 0xffff, v16
	v_cndmask_b32_e32 v14, 0x7f800000, v37, vcc_lo
	v_cmp_nlt_f32_e32 vcc_lo, 0x42b17218, v18
	v_cvt_f16_f32_e32 v18, v12
	v_and_b32_e32 v0, 0xffff, v17
	v_mul_u32_u24_e32 v3, 0x10001, v16
	v_cndmask_b32_e32 v13, 0x7f800000, v38, vcc_lo
	v_cmp_nlt_f32_e32 vcc_lo, 0x42b17218, v19
	v_and_b32_e32 v1, 0xffff, v18
	v_mul_u32_u24_e32 v0, 0x10001, v0
	v_pk_mul_f16 v26, v26, v3
	v_cvt_f16_f32_e32 v19, v13
	v_cndmask_b32_e32 v15, 0x7f800000, v39, vcc_lo
	v_mul_u32_u24_e32 v1, 0x10001, v1
	v_pk_mul_f16 v35, v35, v3
	v_pk_mul_f16 v34, v34, v3
	v_and_b32_e32 v2, 0xffff, v19
	v_pk_mul_f16 v33, v33, v3
	v_pk_mul_f16 v24, v24, v0
	;; [unrolled: 1-line block ×4, first 2 shown]
	v_mul_u32_u24_e32 v2, 0x10001, v2
	v_pk_mul_f16 v30, v30, v0
	v_pk_mul_f16 v20, v20, v1
	;; [unrolled: 1-line block ×9, first 2 shown]
	v_mov_b64_e32 v[0:1], v[8:9]
	v_mov_b64_e32 v[2:3], v[10:11]
	v_pk_fma_f32 v[4:5], v[4:5], v[12:13], v[14:15]
.LBB65_46:
	s_mov_b32 s3, exec_lo
	v_cmpx_gt_i32_e64 s22, v99
	s_cbranch_execz .LBB65_65
; %bb.47:
	s_load_b32 s0, s[0:1], 0xd4
	v_mov_b32_e32 v8, 1.0
	s_wait_kmcnt 0x0
	s_cmp_lg_u32 s0, 1
	s_cselect_b32 s3, -1, 0
	s_cmp_eq_u32 s0, 1
	s_cselect_b32 s4, -1, 0
	s_and_b32 vcc_lo, exec_lo, s3
	s_cbranch_vccnz .LBB65_49
; %bb.48:
	v_div_scale_f32 v8, null, v6, v6, 1.0
	s_delay_alu instid0(VALU_DEP_1) | instskip(SKIP_1) | instid1(TRANS32_DEP_1)
	v_rcp_f32_e32 v9, v8
	v_nop
	v_fma_f32 v10, -v8, v9, 1.0
	s_delay_alu instid0(VALU_DEP_1) | instskip(SKIP_1) | instid1(VALU_DEP_1)
	v_fmac_f32_e32 v9, v10, v9
	v_div_scale_f32 v10, vcc_lo, 1.0, v6, 1.0
	v_mul_f32_e32 v11, v10, v9
	s_delay_alu instid0(VALU_DEP_1) | instskip(NEXT) | instid1(VALU_DEP_1)
	v_fma_f32 v12, -v8, v11, v10
	v_fmac_f32_e32 v11, v12, v9
	s_delay_alu instid0(VALU_DEP_1) | instskip(NEXT) | instid1(VALU_DEP_1)
	v_fma_f32 v8, -v8, v11, v10
	v_div_fmas_f32 v8, v8, v9, v11
	s_delay_alu instid0(VALU_DEP_1)
	v_div_fixup_f32 v8, v8, v6, 1.0
.LBB65_49:
	s_mul_i32 s1, s28, s22
	v_dual_lshrrev_b32 v15, 16, v35 :: v_dual_lshrrev_b32 v17, 16, v34
	s_add_co_i32 s1, s1, s33
	s_delay_alu instid0(SALU_CYCLE_1)
	v_dual_mov_b32 v19, 0 :: v_dual_add_nc_u32 v9, s1, v97
	v_cvt_f32_f16_e32 v12, v26
	v_cvt_f32_f16_e32 v14, v35
	;; [unrolled: 1-line block ×4, first 2 shown]
	v_mul_lo_u32 v9, v9, s23
	v_cvt_f32_f16_e32 v34, v33
	v_cvt_f32_f16_e32 v17, v17
	v_cmp_eq_u32_e32 vcc_lo, 0, v98
	v_dual_lshrrev_b32 v11, 16, v26 :: v_dual_lshrrev_b32 v26, 16, v33
	s_and_b32 s3, vcc_lo, s3
	s_delay_alu instid0(VALU_DEP_1) | instskip(NEXT) | instid1(VALU_DEP_2)
	v_cvt_f32_f16_e32 v13, v11
	v_cvt_f32_f16_e32 v35, v26
	v_add_nc_u32_e32 v10, s2, v9
	v_pk_mul_f32 v[14:15], v[8:9], v[14:15] op_sel_hi:[0,1]
	v_pk_mul_f32 v[16:17], v[8:9], v[16:17] op_sel_hi:[0,1]
	v_pk_mul_f32 v[12:13], v[8:9], v[12:13] op_sel_hi:[0,1]
	s_delay_alu instid0(VALU_DEP_4) | instskip(NEXT) | instid1(VALU_DEP_1)
	v_mad_u32 v10, s0, v10, s31
	v_lshl_add_u32 v18, v10, 8, v96
	s_delay_alu instid0(VALU_DEP_1) | instskip(SKIP_1) | instid1(VALU_DEP_1)
	v_lshl_add_u64 v[36:37], v[18:19], 2, s[16:17]
	v_add_nc_u32_e32 v18, 0x80, v18
	v_lshl_add_u64 v[38:39], v[18:19], 2, s[16:17]
	v_pk_mul_f32 v[18:19], v[8:9], v[34:35] op_sel_hi:[0,1]
	s_clause 0x1
	global_store_b128 v[36:37], v[12:15], off
	global_store_b128 v[38:39], v[16:19], off
	s_wait_xcnt 0x0
	s_and_saveexec_b32 s5, s3
	s_cbranch_execz .LBB65_51
; %bb.50:
	v_dual_mov_b32 v12, v0 :: v_dual_mov_b32 v13, v6
	global_store_b64 v10, v[12:13], s[18:19] scale_offset
.LBB65_51:
	s_wait_xcnt 0x0
	s_or_b32 exec_lo, exec_lo, s5
	v_cndmask_b32_e64 v8, 0, 1, s4
	v_mov_b32_e32 v0, 1.0
	s_and_not1_b32 vcc_lo, exec_lo, s4
	s_cbranch_vccnz .LBB65_53
; %bb.52:
	v_div_scale_f32 v0, null, v7, v7, 1.0
	s_delay_alu instid0(VALU_DEP_1) | instskip(SKIP_1) | instid1(TRANS32_DEP_1)
	v_rcp_f32_e32 v6, v0
	v_nop
	v_fma_f32 v10, -v0, v6, 1.0
	s_delay_alu instid0(VALU_DEP_1) | instskip(SKIP_1) | instid1(VALU_DEP_1)
	v_fmac_f32_e32 v6, v10, v6
	v_div_scale_f32 v10, vcc_lo, 1.0, v7, 1.0
	v_mul_f32_e32 v11, v10, v6
	s_delay_alu instid0(VALU_DEP_1) | instskip(NEXT) | instid1(VALU_DEP_1)
	v_fma_f32 v12, -v0, v11, v10
	v_fmac_f32_e32 v11, v12, v6
	s_delay_alu instid0(VALU_DEP_1) | instskip(NEXT) | instid1(VALU_DEP_1)
	v_fma_f32 v0, -v0, v11, v10
	v_div_fmas_f32 v0, v0, v6, v11
	s_delay_alu instid0(VALU_DEP_1)
	v_div_fixup_f32 v0, v0, v7, 1.0
.LBB65_53:
	s_add_co_i32 s4, s2, 1
	v_dual_lshrrev_b32 v13, 16, v32 :: v_dual_lshrrev_b32 v19, 16, v30
	v_dual_mov_b32 v17, 0 :: v_dual_add_nc_u32 v6, s4, v9
	v_cvt_f32_f16_e32 v10, v24
	v_cvt_f32_f16_e32 v12, v32
	v_lshrrev_b32_e32 v15, 16, v31
	s_delay_alu instid0(VALU_DEP_4)
	v_mad_u32 v9, s0, v6, s31
	v_lshrrev_b32_e32 v6, 16, v24
	v_cvt_f32_f16_e32 v13, v13
	v_cvt_f32_f16_e32 v14, v31
	;; [unrolled: 1-line block ×6, first 2 shown]
	v_pk_mul_f32 v[12:13], v[0:1], v[12:13] op_sel_hi:[0,1]
	s_delay_alu instid0(VALU_DEP_4) | instskip(SKIP_2) | instid1(VALU_DEP_2)
	v_pk_mul_f32 v[14:15], v[0:1], v[14:15] op_sel_hi:[0,1]
	v_lshl_add_u32 v16, v9, 8, v96
	v_pk_mul_f32 v[10:11], v[0:1], v[10:11] op_sel_hi:[0,1]
	v_lshl_add_u64 v[30:31], v[16:17], 2, s[16:17]
	v_add_nc_u32_e32 v16, 0x80, v16
	s_delay_alu instid0(VALU_DEP_1)
	v_lshl_add_u64 v[32:33], v[16:17], 2, s[16:17]
	v_pk_mul_f32 v[16:17], v[0:1], v[18:19] op_sel_hi:[0,1]
	s_clause 0x1
	global_store_b128 v[30:31], v[10:13], off
	global_store_b128 v[32:33], v[14:17], off
	s_wait_xcnt 0x0
	s_and_saveexec_b32 s5, s3
	s_cbranch_execz .LBB65_55
; %bb.54:
	v_mov_b32_e32 v6, v1
	global_store_b64 v9, v[6:7], s[18:19] scale_offset
.LBB65_55:
	s_wait_xcnt 0x0
	s_or_b32 exec_lo, exec_lo, s5
	v_cmp_gt_i32_e32 vcc_lo, s22, v95
	s_and_b32 exec_lo, exec_lo, vcc_lo
	s_cbranch_execz .LBB65_65
; %bb.56:
	v_cmp_ne_u32_e32 vcc_lo, 1, v8
	v_mov_b32_e32 v0, 1.0
	s_cbranch_vccnz .LBB65_58
; %bb.57:
	v_div_scale_f32 v0, null, v4, v4, 1.0
	s_delay_alu instid0(VALU_DEP_1) | instskip(SKIP_1) | instid1(TRANS32_DEP_1)
	v_rcp_f32_e32 v1, v0
	v_nop
	v_fma_f32 v6, -v0, v1, 1.0
	s_delay_alu instid0(VALU_DEP_1) | instskip(SKIP_1) | instid1(VALU_DEP_1)
	v_fmac_f32_e32 v1, v6, v1
	v_div_scale_f32 v6, vcc_lo, 1.0, v4, 1.0
	v_mul_f32_e32 v7, v6, v1
	s_delay_alu instid0(VALU_DEP_1) | instskip(NEXT) | instid1(VALU_DEP_1)
	v_fma_f32 v9, -v0, v7, v6
	v_fmac_f32_e32 v7, v9, v1
	s_delay_alu instid0(VALU_DEP_1) | instskip(NEXT) | instid1(VALU_DEP_1)
	v_fma_f32 v0, -v0, v7, v6
	v_div_fmas_f32 v0, v0, v1, v7
	s_delay_alu instid0(VALU_DEP_1)
	v_div_fixup_f32 v0, v0, v4, 1.0
.LBB65_58:
	v_dual_add_nc_u32 v1, s1, v94 :: v_dual_mov_b32 v7, 0
	v_dual_lshrrev_b32 v9, 16, v20 :: v_dual_lshrrev_b32 v13, 16, v29
	v_dual_lshrrev_b32 v15, 16, v28 :: v_dual_lshrrev_b32 v17, 16, v27
	s_delay_alu instid0(VALU_DEP_3)
	v_mad_u32 v1, v1, s23, s2
	v_cvt_f32_f16_e32 v10, v20
	v_cvt_f32_f16_e32 v12, v29
	;; [unrolled: 1-line block ×8, first 2 shown]
	v_mad_u32 v1, s0, v1, s31
	s_delay_alu instid0(VALU_DEP_1)
	v_lshl_add_u32 v6, v1, 8, v96
	v_pk_mul_f32 v[10:11], v[0:1], v[10:11] op_sel_hi:[0,1]
	v_pk_mul_f32 v[12:13], v[0:1], v[12:13] op_sel_hi:[0,1]
	;; [unrolled: 1-line block ×4, first 2 shown]
	v_lshl_add_u64 v[18:19], v[6:7], 2, s[16:17]
	v_add_nc_u32_e32 v6, 0x80, v6
	s_delay_alu instid0(VALU_DEP_1)
	v_lshl_add_u64 v[6:7], v[6:7], 2, s[16:17]
	s_clause 0x1
	global_store_b128 v[18:19], v[10:13], off
	global_store_b128 v[6:7], v[14:17], off
	s_wait_xcnt 0x0
	s_and_saveexec_b32 s2, s3
	s_cbranch_execz .LBB65_60
; %bb.59:
	v_dual_mov_b32 v6, v2 :: v_dual_mov_b32 v7, v4
	global_store_b64 v1, v[6:7], s[18:19] scale_offset
.LBB65_60:
	s_wait_xcnt 0x0
	s_or_b32 exec_lo, exec_lo, s2
	v_cmp_gt_i32_e32 vcc_lo, s22, v93
	s_and_b32 exec_lo, exec_lo, vcc_lo
	s_cbranch_execz .LBB65_65
; %bb.61:
	v_cmp_ne_u32_e32 vcc_lo, 1, v8
	v_mov_b32_e32 v0, 1.0
	s_cbranch_vccnz .LBB65_63
; %bb.62:
	v_div_scale_f32 v0, null, v5, v5, 1.0
	s_delay_alu instid0(VALU_DEP_1) | instskip(SKIP_1) | instid1(TRANS32_DEP_1)
	v_rcp_f32_e32 v1, v0
	v_nop
	v_fma_f32 v2, -v0, v1, 1.0
	s_delay_alu instid0(VALU_DEP_1) | instskip(SKIP_1) | instid1(VALU_DEP_1)
	v_fmac_f32_e32 v1, v2, v1
	v_div_scale_f32 v2, vcc_lo, 1.0, v5, 1.0
	v_mul_f32_e32 v4, v2, v1
	s_delay_alu instid0(VALU_DEP_1) | instskip(NEXT) | instid1(VALU_DEP_1)
	v_fma_f32 v6, -v0, v4, v2
	v_fmac_f32_e32 v4, v6, v1
	s_delay_alu instid0(VALU_DEP_1) | instskip(NEXT) | instid1(VALU_DEP_1)
	v_fma_f32 v0, -v0, v4, v2
	v_div_fmas_f32 v0, v0, v1, v4
	s_delay_alu instid0(VALU_DEP_1)
	v_div_fixup_f32 v0, v0, v5, 1.0
.LBB65_63:
	v_dual_add_nc_u32 v1, s1, v92 :: v_dual_mov_b32 v13, 0
	v_dual_lshrrev_b32 v2, 16, v25 :: v_dual_lshrrev_b32 v4, 16, v23
	v_dual_lshrrev_b32 v11, 16, v22 :: v_dual_lshrrev_b32 v15, 16, v21
	s_delay_alu instid0(VALU_DEP_3)
	v_mad_u32 v1, v1, s23, s4
	v_cvt_f32_f16_e32 v6, v25
	v_cvt_f32_f16_e32 v8, v23
	;; [unrolled: 1-line block ×8, first 2 shown]
	v_mad_u32 v1, s0, v1, s31
	s_delay_alu instid0(VALU_DEP_1) | instskip(SKIP_3) | instid1(VALU_DEP_4)
	v_lshl_add_u32 v12, v1, 8, v96
	v_pk_mul_f32 v[6:7], v[0:1], v[6:7] op_sel_hi:[0,1]
	v_pk_mul_f32 v[8:9], v[0:1], v[8:9] op_sel_hi:[0,1]
	;; [unrolled: 1-line block ×3, first 2 shown]
	v_lshl_add_u64 v[16:17], v[12:13], 2, s[16:17]
	v_add_nc_u32_e32 v12, 0x80, v12
	s_delay_alu instid0(VALU_DEP_1)
	v_lshl_add_u64 v[18:19], v[12:13], 2, s[16:17]
	v_pk_mul_f32 v[12:13], v[0:1], v[14:15] op_sel_hi:[0,1]
	s_clause 0x1
	global_store_b128 v[16:17], v[6:9], off
	global_store_b128 v[18:19], v[10:13], off
	s_wait_xcnt 0x0
	s_and_b32 exec_lo, exec_lo, s3
	s_cbranch_execz .LBB65_65
; %bb.64:
	v_mov_b32_e32 v4, v3
	global_store_b64 v1, v[4:5], s[18:19] scale_offset
.LBB65_65:
	s_sendmsg sendmsg(MSG_DEALLOC_VGPRS)
	s_endpgm
	.section	.rodata,"a",@progbits
	.p2align	6, 0x0
	.amdhsa_kernel _ZL15flash_attn_tileILi256ELi256ELi16ELi2ELb1EEvPKcS1_S1_S1_S1_PKiPfP15HIP_vector_typeIfLj2EEffffjfiS5_IjLj3EEiiiiiiiiiiiliiliiiiil
		.amdhsa_group_segment_fixed_size 37888
		.amdhsa_private_segment_fixed_size 0
		.amdhsa_kernarg_size 464
		.amdhsa_user_sgpr_count 2
		.amdhsa_user_sgpr_dispatch_ptr 0
		.amdhsa_user_sgpr_queue_ptr 0
		.amdhsa_user_sgpr_kernarg_segment_ptr 1
		.amdhsa_user_sgpr_dispatch_id 0
		.amdhsa_user_sgpr_kernarg_preload_length 0
		.amdhsa_user_sgpr_kernarg_preload_offset 0
		.amdhsa_user_sgpr_private_segment_size 0
		.amdhsa_wavefront_size32 1
		.amdhsa_uses_dynamic_stack 0
		.amdhsa_enable_private_segment 0
		.amdhsa_system_sgpr_workgroup_id_x 1
		.amdhsa_system_sgpr_workgroup_id_y 1
		.amdhsa_system_sgpr_workgroup_id_z 1
		.amdhsa_system_sgpr_workgroup_info 0
		.amdhsa_system_vgpr_workitem_id 1
		.amdhsa_next_free_vgpr 188
		.amdhsa_next_free_sgpr 47
		.amdhsa_named_barrier_count 0
		.amdhsa_reserve_vcc 1
		.amdhsa_float_round_mode_32 0
		.amdhsa_float_round_mode_16_64 0
		.amdhsa_float_denorm_mode_32 3
		.amdhsa_float_denorm_mode_16_64 3
		.amdhsa_fp16_overflow 0
		.amdhsa_memory_ordered 1
		.amdhsa_forward_progress 1
		.amdhsa_inst_pref_size 202
		.amdhsa_round_robin_scheduling 0
		.amdhsa_exception_fp_ieee_invalid_op 0
		.amdhsa_exception_fp_denorm_src 0
		.amdhsa_exception_fp_ieee_div_zero 0
		.amdhsa_exception_fp_ieee_overflow 0
		.amdhsa_exception_fp_ieee_underflow 0
		.amdhsa_exception_fp_ieee_inexact 0
		.amdhsa_exception_int_div_zero 0
	.end_amdhsa_kernel
	.section	.text._ZL15flash_attn_tileILi256ELi256ELi16ELi2ELb1EEvPKcS1_S1_S1_S1_PKiPfP15HIP_vector_typeIfLj2EEffffjfiS5_IjLj3EEiiiiiiiiiiiliiliiiiil,"axG",@progbits,_ZL15flash_attn_tileILi256ELi256ELi16ELi2ELb1EEvPKcS1_S1_S1_S1_PKiPfP15HIP_vector_typeIfLj2EEffffjfiS5_IjLj3EEiiiiiiiiiiiliiliiiiil,comdat
.Lfunc_end65:
	.size	_ZL15flash_attn_tileILi256ELi256ELi16ELi2ELb1EEvPKcS1_S1_S1_S1_PKiPfP15HIP_vector_typeIfLj2EEffffjfiS5_IjLj3EEiiiiiiiiiiiliiliiiiil, .Lfunc_end65-_ZL15flash_attn_tileILi256ELi256ELi16ELi2ELb1EEvPKcS1_S1_S1_S1_PKiPfP15HIP_vector_typeIfLj2EEffffjfiS5_IjLj3EEiiiiiiiiiiiliiliiiiil
                                        ; -- End function
	.set _ZL15flash_attn_tileILi256ELi256ELi16ELi2ELb1EEvPKcS1_S1_S1_S1_PKiPfP15HIP_vector_typeIfLj2EEffffjfiS5_IjLj3EEiiiiiiiiiiiliiliiiiil.num_vgpr, 188
	.set _ZL15flash_attn_tileILi256ELi256ELi16ELi2ELb1EEvPKcS1_S1_S1_S1_PKiPfP15HIP_vector_typeIfLj2EEffffjfiS5_IjLj3EEiiiiiiiiiiiliiliiiiil.num_agpr, 0
	.set _ZL15flash_attn_tileILi256ELi256ELi16ELi2ELb1EEvPKcS1_S1_S1_S1_PKiPfP15HIP_vector_typeIfLj2EEffffjfiS5_IjLj3EEiiiiiiiiiiiliiliiiiil.numbered_sgpr, 47
	.set _ZL15flash_attn_tileILi256ELi256ELi16ELi2ELb1EEvPKcS1_S1_S1_S1_PKiPfP15HIP_vector_typeIfLj2EEffffjfiS5_IjLj3EEiiiiiiiiiiiliiliiiiil.num_named_barrier, 0
	.set _ZL15flash_attn_tileILi256ELi256ELi16ELi2ELb1EEvPKcS1_S1_S1_S1_PKiPfP15HIP_vector_typeIfLj2EEffffjfiS5_IjLj3EEiiiiiiiiiiiliiliiiiil.private_seg_size, 0
	.set _ZL15flash_attn_tileILi256ELi256ELi16ELi2ELb1EEvPKcS1_S1_S1_S1_PKiPfP15HIP_vector_typeIfLj2EEffffjfiS5_IjLj3EEiiiiiiiiiiiliiliiiiil.uses_vcc, 1
	.set _ZL15flash_attn_tileILi256ELi256ELi16ELi2ELb1EEvPKcS1_S1_S1_S1_PKiPfP15HIP_vector_typeIfLj2EEffffjfiS5_IjLj3EEiiiiiiiiiiiliiliiiiil.uses_flat_scratch, 0
	.set _ZL15flash_attn_tileILi256ELi256ELi16ELi2ELb1EEvPKcS1_S1_S1_S1_PKiPfP15HIP_vector_typeIfLj2EEffffjfiS5_IjLj3EEiiiiiiiiiiiliiliiiiil.has_dyn_sized_stack, 0
	.set _ZL15flash_attn_tileILi256ELi256ELi16ELi2ELb1EEvPKcS1_S1_S1_S1_PKiPfP15HIP_vector_typeIfLj2EEffffjfiS5_IjLj3EEiiiiiiiiiiiliiliiiiil.has_recursion, 0
	.set _ZL15flash_attn_tileILi256ELi256ELi16ELi2ELb1EEvPKcS1_S1_S1_S1_PKiPfP15HIP_vector_typeIfLj2EEffffjfiS5_IjLj3EEiiiiiiiiiiiliiliiiiil.has_indirect_call, 0
	.section	.AMDGPU.csdata,"",@progbits
; Kernel info:
; codeLenInByte = 25776
; TotalNumSgprs: 49
; NumVgprs: 188
; ScratchSize: 0
; MemoryBound: 0
; FloatMode: 240
; IeeeMode: 1
; LDSByteSize: 37888 bytes/workgroup (compile time only)
; SGPRBlocks: 0
; VGPRBlocks: 11
; NumSGPRsForWavesPerEU: 49
; NumVGPRsForWavesPerEU: 188
; NamedBarCnt: 0
; Occupancy: 5
; WaveLimiterHint : 1
; COMPUTE_PGM_RSRC2:SCRATCH_EN: 0
; COMPUTE_PGM_RSRC2:USER_SGPR: 2
; COMPUTE_PGM_RSRC2:TRAP_HANDLER: 0
; COMPUTE_PGM_RSRC2:TGID_X_EN: 1
; COMPUTE_PGM_RSRC2:TGID_Y_EN: 1
; COMPUTE_PGM_RSRC2:TGID_Z_EN: 1
; COMPUTE_PGM_RSRC2:TIDIG_COMP_CNT: 1
	.section	.text._ZL15flash_attn_tileILi256ELi256ELi8ELi2ELb1EEvPKcS1_S1_S1_S1_PKiPfP15HIP_vector_typeIfLj2EEffffjfiS5_IjLj3EEiiiiiiiiiiiliiliiiiil,"axG",@progbits,_ZL15flash_attn_tileILi256ELi256ELi8ELi2ELb1EEvPKcS1_S1_S1_S1_PKiPfP15HIP_vector_typeIfLj2EEffffjfiS5_IjLj3EEiiiiiiiiiiiliiliiiiil,comdat
	.globl	_ZL15flash_attn_tileILi256ELi256ELi8ELi2ELb1EEvPKcS1_S1_S1_S1_PKiPfP15HIP_vector_typeIfLj2EEffffjfiS5_IjLj3EEiiiiiiiiiiiliiliiiiil ; -- Begin function _ZL15flash_attn_tileILi256ELi256ELi8ELi2ELb1EEvPKcS1_S1_S1_S1_PKiPfP15HIP_vector_typeIfLj2EEffffjfiS5_IjLj3EEiiiiiiiiiiiliiliiiiil
	.p2align	8
	.type	_ZL15flash_attn_tileILi256ELi256ELi8ELi2ELb1EEvPKcS1_S1_S1_S1_PKiPfP15HIP_vector_typeIfLj2EEffffjfiS5_IjLj3EEiiiiiiiiiiiliiliiiiil,@function
_ZL15flash_attn_tileILi256ELi256ELi8ELi2ELb1EEvPKcS1_S1_S1_S1_PKiPfP15HIP_vector_typeIfLj2EEffffjfiS5_IjLj3EEiiiiiiiiiiiliiliiiiil: ; @_ZL15flash_attn_tileILi256ELi256ELi8ELi2ELb1EEvPKcS1_S1_S1_S1_PKiPfP15HIP_vector_typeIfLj2EEffffjfiS5_IjLj3EEiiiiiiiiiiiliiliiiiil
; %bb.0:
	s_clause 0x1
	s_load_b128 s[20:23], s[0:1], 0x5c
	s_load_b64 s[30:31], s[0:1], 0x80
	s_bfe_u32 s5, ttmp6, 0x40014
	s_lshr_b32 s4, ttmp7, 16
	s_add_co_i32 s5, s5, 1
	s_bfe_u32 s6, ttmp6, 0x40008
	s_mul_i32 s5, s4, s5
	s_getreg_b32 s24, hwreg(HW_REG_IB_STS2, 6, 4)
	s_add_co_i32 s6, s6, s5
	s_load_b64 s[38:39], s[0:1], 0xb8
	s_mov_b32 s37, 0
	s_mov_b64 s[34:35], 0
	s_wait_kmcnt 0x0
	s_lshr_b32 s2, s23, 31
	s_delay_alu instid0(SALU_CYCLE_1) | instskip(NEXT) | instid1(SALU_CYCLE_1)
	s_add_co_i32 s2, s23, s2
	s_ashr_i32 s2, s2, 1
	s_delay_alu instid0(SALU_CYCLE_1) | instskip(SKIP_1) | instid1(SALU_CYCLE_2)
	s_cvt_f32_u32 s3, s2
	s_sub_co_i32 s7, 0, s2
	v_rcp_iflag_f32_e32 v1, s3
	v_nop
	s_delay_alu instid0(TRANS32_DEP_1) | instskip(SKIP_1) | instid1(SALU_CYCLE_3)
	v_readfirstlane_b32 s3, v1
	s_mul_f32 s3, s3, 0x4f7ffffe
	s_cvt_u32_f32 s3, s3
	s_delay_alu instid0(SALU_CYCLE_3) | instskip(NEXT) | instid1(SALU_CYCLE_1)
	s_mul_i32 s7, s7, s3
	s_mul_hi_u32 s7, s3, s7
	s_delay_alu instid0(SALU_CYCLE_1) | instskip(SKIP_2) | instid1(SALU_CYCLE_1)
	s_add_co_i32 s3, s3, s7
	s_cmp_eq_u32 s24, 0
	s_cselect_b32 s4, s4, s6
	s_mul_hi_u32 s3, s4, s3
	s_delay_alu instid0(SALU_CYCLE_1) | instskip(SKIP_2) | instid1(SALU_CYCLE_1)
	s_mul_i32 s5, s3, s2
	s_add_co_i32 s6, s3, 1
	s_sub_co_i32 s5, s4, s5
	s_sub_co_i32 s7, s5, s2
	s_cmp_ge_u32 s5, s2
	s_cselect_b32 s3, s6, s3
	s_cselect_b32 s5, s7, s5
	s_add_co_i32 s6, s3, 1
	s_cmp_ge_u32 s5, s2
	s_cselect_b32 s2, s6, s3
	s_abs_i32 s3, s31
	s_lshl_b32 s4, s4, 1
	s_cvt_f32_u32 s5, s3
	s_sub_co_i32 s6, 0, s3
	s_mul_i32 s7, s2, s23
	s_abs_i32 s8, s23
	v_rcp_iflag_f32_e32 v1, s5
	s_sub_co_i32 s28, s4, s7
	v_nop
	s_delay_alu instid0(TRANS32_DEP_1) | instskip(SKIP_1) | instid1(SALU_CYCLE_3)
	v_readfirstlane_b32 s5, v1
	s_mul_f32 s5, s5, 0x4f7ffffe
	s_cvt_u32_f32 s5, s5
	s_delay_alu instid0(SALU_CYCLE_3) | instskip(NEXT) | instid1(SALU_CYCLE_1)
	s_mul_i32 s6, s6, s5
	s_mul_hi_u32 s6, s5, s6
	s_delay_alu instid0(SALU_CYCLE_1) | instskip(NEXT) | instid1(SALU_CYCLE_1)
	s_add_co_i32 s5, s5, s6
	s_mul_hi_u32 s4, s8, s5
	s_xor_b32 s5, s23, s31
	s_mul_i32 s6, s4, s3
	s_ashr_i32 s25, s5, 31
	s_sub_co_i32 s5, s8, s6
	s_add_co_i32 s6, s4, 1
	s_sub_co_i32 s7, s5, s3
	s_cmp_ge_u32 s5, s3
	s_cselect_b32 s4, s6, s4
	s_cselect_b32 s5, s7, s5
	s_add_co_i32 s6, s4, 1
	s_cmp_ge_u32 s5, s3
	s_cselect_b32 s3, s6, s4
	s_load_b512 s[4:19], s[0:1], 0x0
	s_xor_b32 s3, s3, s25
	s_delay_alu instid0(SALU_CYCLE_1) | instskip(NEXT) | instid1(SALU_CYCLE_1)
	s_sub_co_i32 s3, s3, s25
	s_abs_i32 s33, s3
	s_delay_alu instid0(SALU_CYCLE_1) | instskip(NEXT) | instid1(SALU_CYCLE_3)
	s_cvt_f32_u32 s25, s33
	v_rcp_iflag_f32_e32 v1, s25
	v_nop
	s_delay_alu instid0(TRANS32_DEP_1)
	v_readfirstlane_b32 s25, v1
	s_wait_kmcnt 0x0
	s_cmp_eq_u64 s[10:11], 0
	s_cbranch_scc1 .LBB66_2
; %bb.1:
	s_abs_i32 s29, s38
	s_abs_i32 s31, s2
	s_cvt_f32_u32 s26, s29
	s_sub_co_i32 s27, 0, s29
	s_delay_alu instid0(SALU_CYCLE_2) | instskip(SKIP_1) | instid1(TRANS32_DEP_1)
	v_rcp_iflag_f32_e32 v1, s26
	v_nop
	v_readfirstlane_b32 s26, v1
	s_mul_f32 s26, s26, 0x4f7ffffe
	s_delay_alu instid0(SALU_CYCLE_3) | instskip(NEXT) | instid1(SALU_CYCLE_3)
	s_cvt_u32_f32 s26, s26
	s_mul_i32 s27, s27, s26
	s_delay_alu instid0(SALU_CYCLE_1) | instskip(NEXT) | instid1(SALU_CYCLE_1)
	s_mul_hi_u32 s27, s26, s27
	s_add_co_i32 s26, s26, s27
	s_delay_alu instid0(SALU_CYCLE_1) | instskip(SKIP_2) | instid1(SALU_CYCLE_1)
	s_mul_hi_u32 s34, s31, s26
	s_load_b64 s[26:27], s[0:1], 0xc8
	s_mul_i32 s34, s34, s29
	s_sub_co_i32 s31, s31, s34
	s_ashr_i32 s34, s2, 31
	s_sub_co_i32 s35, s31, s29
	s_cmp_ge_u32 s31, s29
	s_cselect_b32 s31, s35, s31
	s_delay_alu instid0(SALU_CYCLE_1) | instskip(SKIP_2) | instid1(SALU_CYCLE_1)
	s_sub_co_i32 s35, s31, s29
	s_cmp_ge_u32 s31, s29
	s_cselect_b32 s29, s35, s31
	s_xor_b32 s29, s29, s34
	s_delay_alu instid0(SALU_CYCLE_1) | instskip(NEXT) | instid1(SALU_CYCLE_1)
	s_sub_co_i32 s34, s29, s34
	s_ashr_i32 s35, s34, 31
	s_wait_kmcnt 0x0
	s_mul_u64 s[26:27], s[26:27], s[34:35]
	s_delay_alu instid0(SALU_CYCLE_1)
	s_add_nc_u64 s[34:35], s[10:11], s[26:27]
.LBB66_2:
	s_bfe_u32 s10, ttmp6, 0x4000c
	s_and_b32 s11, ttmp6, 15
	s_add_co_i32 s10, s10, 1
	v_bfe_u32 v1, v0, 10, 10
	s_mul_i32 s10, ttmp9, s10
	s_load_b96 s[40:42], s[0:1], 0x70
	s_add_co_i32 s11, s11, s10
	s_cmp_eq_u32 s24, 0
	v_and_b32_e32 v95, 0x3ff, v0
	s_cselect_b32 s10, ttmp9, s11
	v_lshl_add_u32 v97, v1, 10, 0x4200
	v_lshl_add_u32 v94, s10, 3, v1
	s_delay_alu instid0(VALU_DEP_3) | instskip(NEXT) | instid1(VALU_DEP_2)
	v_dual_mov_b32 v3, 0 :: v_dual_lshlrev_b32 v6, 4, v95
	v_mul_hi_u32 v2, s20, v94
	s_delay_alu instid0(VALU_DEP_2) | instskip(SKIP_3) | instid1(VALU_DEP_2)
	v_mov_b32_e32 v7, v3
	s_wait_kmcnt 0x0
	s_mul_i32 s20, s28, s41
	s_ashr_i32 s27, s41, 31
	v_add_nc_u32_e32 v2, v94, v2
	s_mov_b32 s26, s41
	s_ashr_i32 s41, s40, 31
	s_delay_alu instid0(SALU_CYCLE_1) | instskip(NEXT) | instid1(VALU_DEP_1)
	s_lshr_b64 s[40:41], s[40:41], 2
	v_lshrrev_b32_e32 v2, s21, v2
	s_ashr_i32 s21, s20, 31
	s_delay_alu instid0(VALU_DEP_1) | instskip(NEXT) | instid1(VALU_DEP_1)
	v_mul_lo_u32 v2, v2, s22
	v_sub_nc_u32_e32 v2, v94, v2
	s_delay_alu instid0(VALU_DEP_1) | instskip(SKIP_1) | instid1(SALU_CYCLE_1)
	v_mul_u64_e32 v[4:5], s[40:41], v[2:3]
	s_mul_i32 s40, s2, s42
	s_ashr_i32 s41, s40, 31
	s_delay_alu instid0(SALU_CYCLE_1) | instskip(NEXT) | instid1(SALU_CYCLE_1)
	s_add_nc_u64 s[4:5], s[4:5], s[40:41]
	s_add_nc_u64 s[4:5], s[4:5], s[20:21]
	s_delay_alu instid0(VALU_DEP_1) | instid1(SALU_CYCLE_1)
	v_lshl_add_u64 v[4:5], v[4:5], 2, s[4:5]
	s_and_b64 s[4:5], s[26:27], -4
	s_cmp_eq_u64 s[14:15], 0
	s_delay_alu instid0(VALU_DEP_1)
	v_add_nc_u64_e32 v[12:13], v[4:5], v[6:7]
	s_clause 0x1
	global_load_b128 v[4:7], v[12:13], off
	global_load_b128 v[8:11], v[12:13], off offset:512
	v_add_nc_u64_e32 v[20:21], s[4:5], v[12:13]
	s_load_b32 s4, s[0:1], 0x40
	s_clause 0x1
	global_load_b128 v[12:15], v[20:21], off
	global_load_b128 v[16:19], v[20:21], off offset:512
	s_wait_loadcnt 0x3
	s_wait_kmcnt 0x0
	v_fma_mixlo_f16 v3, s4, v4, 0
	v_fma_mixlo_f16 v4, s4, v5, 0
	v_lshlrev_b32_e32 v98, 3, v95
	v_fma_mixlo_f16 v5, s4, v6, 0
	v_fma_mixlo_f16 v6, s4, v7, 0
	s_wait_loadcnt 0x2
	v_fma_mixlo_f16 v7, s4, v8, 0
	v_fma_mixlo_f16 v8, s4, v9, 0
	;; [unrolled: 1-line block ×4, first 2 shown]
	v_dual_lshlrev_b32 v4, 16, v4 :: v_dual_add_nc_u32 v0, v97, v98
	s_delay_alu instid0(VALU_DEP_4)
	v_lshlrev_b32_e32 v8, 16, v8
	v_and_b32_e32 v3, 0xffff, v3
	v_lshlrev_b32_e32 v6, 16, v6
	v_and_b32_e32 v5, 0xffff, v5
	v_and_b32_e32 v7, 0xffff, v7
	v_lshlrev_b32_e32 v10, 16, v10
	v_and_b32_e32 v9, 0xffff, v9
	s_wait_loadcnt 0x1
	v_fma_mixlo_f16 v11, s4, v12, 0
	v_fma_mixlo_f16 v12, s4, v13, 0
	;; [unrolled: 1-line block ×4, first 2 shown]
	s_wait_loadcnt 0x0
	v_fma_mixlo_f16 v15, s4, v16, 0
	v_fma_mixlo_f16 v16, s4, v17, 0
	;; [unrolled: 1-line block ×4, first 2 shown]
	v_or_b32_e32 v3, v4, v3
	v_or3_b32 v5, v6, v5, 0
	v_or_b32_e32 v6, v8, v7
	v_or3_b32 v7, v10, v9, 0
	v_dual_lshlrev_b32 v8, 16, v12 :: v_dual_lshlrev_b32 v10, 16, v14
	v_and_b32_e32 v9, 0xffff, v11
	v_and_b32_e32 v11, 0xffff, v13
	v_dual_lshlrev_b32 v12, 16, v16 :: v_dual_lshlrev_b32 v14, 16, v18
	v_and_b32_e32 v13, 0xffff, v15
	v_and_b32_e32 v15, 0xffff, v17
	v_or3_b32 v4, 0, 0, v3
	v_or_b32_e32 v3, v8, v9
	v_or3_b32 v6, 0, 0, v6
	v_or_b32_e32 v12, v12, v13
	v_or3_b32 v9, v10, v11, 0
	v_or3_b32 v11, v14, v15, 0
	;; [unrolled: 1-line block ×3, first 2 shown]
	s_delay_alu instid0(VALU_DEP_4)
	v_or3_b32 v10, 0, 0, v12
	ds_store_2addr_b64 v0, v[4:5], v[6:7] offset1:32
	ds_store_2addr_b64 v0, v[8:9], v[10:11] offset0:64 offset1:96
	s_wait_dscnt 0x0
	s_barrier_signal -1
	s_barrier_wait -1
	s_cbranch_scc1 .LBB66_4
; %bb.3:
	s_load_b32 s4, s[0:1], 0xd0
	s_wait_kmcnt 0x0
	s_mul_i32 s4, s4, s2
	s_delay_alu instid0(SALU_CYCLE_1)
	s_add_co_i32 s4, s4, s10
	s_load_b32 s30, s[14:15], s4 offset:0x0 scale_offset
.LBB66_4:
	s_wait_xcnt 0x0
	s_bfe_u32 s4, ttmp6, 0x40010
	s_and_b32 s5, ttmp7, 0xffff
	s_add_co_i32 s4, s4, 1
	s_bfe_u32 s10, ttmp6, 0x40004
	s_mul_i32 s4, s5, s4
	v_lshlrev_b32_e32 v96, 2, v95
	s_add_co_i32 s10, s10, s4
	s_cmp_eq_u32 s24, 0
	v_mbcnt_lo_u32_b32 v99, -1, 0
	s_cselect_b32 s31, s5, s10
	s_mov_b32 s5, 0
	s_lshl_b32 s4, s31, 5
	s_wait_kmcnt 0x0
	s_cmp_lt_i32 s4, s30
	s_cbranch_scc1 .LBB66_7
; %bb.5:
	v_mbcnt_lo_u32_b32 v0, -1, 0
	s_delay_alu instid0(VALU_DEP_1)
	v_dual_mov_b32 v100, 32 :: v_dual_bitop2_b32 v111, 16, v0 bitop3:0x14
	v_xor_b32_e32 v107, 8, v0
	v_xor_b32_e32 v108, 4, v0
	;; [unrolled: 1-line block ×4, first 2 shown]
	s_and_not1_b32 vcc_lo, exec_lo, s5
	s_cbranch_vccz .LBB66_8
; %bb.6:
	v_dual_mov_b32 v77, 0 :: v_dual_mov_b32 v25, 0
	v_dual_mov_b32 v93, 0xfeffffff :: v_dual_mov_b32 v26, 0
	s_delay_alu instid0(VALU_DEP_2) | instskip(NEXT) | instid1(VALU_DEP_2)
	v_dual_mov_b32 v23, 0 :: v_dual_mov_b32 v76, v77
	v_dual_mov_b32 v27, 0 :: v_dual_mov_b32 v92, v93
	;; [unrolled: 1-line block ×4, first 2 shown]
	s_branch .LBB66_20
.LBB66_7:
                                        ; implicit-def: $vgpr0
                                        ; implicit-def: $vgpr100
                                        ; implicit-def: $vgpr111
                                        ; implicit-def: $vgpr107
                                        ; implicit-def: $vgpr108
                                        ; implicit-def: $vgpr109
                                        ; implicit-def: $vgpr110
.LBB66_8:
	s_mul_f32 s5, s25, 0x4f7ffffe
	s_clause 0x1
	s_load_b128 s[24:27], s[0:1], 0x98
	s_load_b64 s[14:15], s[0:1], 0x8c
	s_sub_co_i32 s10, 0, s33
	s_clause 0x1
	s_load_b64 s[20:21], s[0:1], 0xa8
	s_load_b32 s29, s[0:1], 0x54
	s_cvt_u32_f32 s5, s5
	s_ashr_i32 s40, s3, 31
	s_abs_i32 s36, s28
	s_mov_b32 s11, s37
	s_mul_i32 s10, s10, s5
	s_ashr_i32 s38, s28, 31
	s_mul_hi_u32 s3, s5, s10
	s_ashr_i32 s39, s39, 1
	s_add_co_i32 s10, s5, s3
	s_ashr_i32 s3, s2, 31
	s_mul_u64 s[10:11], s[36:37], s[10:11]
	s_xor_b32 s37, s38, s40
	s_mul_i32 s5, s11, s33
	v_mad_u32 v104, v2, s39, v95
	s_sub_co_i32 s5, s36, s5
	s_wait_kmcnt 0x0
	s_ashr_i32 s10, s26, 2
	s_ashr_i32 s14, s14, 2
	s_add_co_i32 s26, s11, 1
	v_mul_lo_u32 v72, s14, v1
	s_sub_co_i32 s36, s5, s33
	s_cmp_ge_u32 s5, s33
	s_mul_u64 s[24:25], s[24:25], s[2:3]
	s_cselect_b32 s11, s26, s11
	s_cselect_b32 s5, s36, s5
	s_add_co_i32 s26, s11, 1
	s_cmp_ge_u32 s5, s33
	s_mul_u64 s[20:21], s[20:21], s[2:3]
	s_cselect_b32 s5, s26, s11
	s_lshl_b32 s3, s14, 3
	v_mul_lo_u32 v78, s10, v1
	v_add_nc_u32_e32 v74, s3, v72
	v_lshlrev_b32_e32 v80, 2, v96
	s_xor_b32 s5, s5, s37
	s_add_nc_u64 s[8:9], s[8:9], s[20:21]
	s_sub_co_i32 s5, s5, s37
	v_add_nc_u32_e32 v82, s3, v74
	v_lshl_add_u32 v103, v1, 9, v80
	v_mov_b32_e32 v81, 0
	s_mul_i32 s36, s5, s15
	s_mul_i32 s20, s5, s27
	v_add_nc_u32_e32 v84, s3, v82
	s_lshl_b32 s3, s10, 3
	s_delay_alu instid0(SALU_CYCLE_1) | instskip(SKIP_1) | instid1(VALU_DEP_3)
	v_dual_ashrrev_i32 v73, 31, v72 :: v_dual_add_nc_u32 v86, s3, v78
	v_mad_u32_u24 v101, 0x210, v1, v80
	v_dual_ashrrev_i32 v75, 31, v74 :: v_dual_ashrrev_i32 v85, 31, v84
	v_mul_u32_u24_e32 v102, 0x210, v95
	s_delay_alu instid0(VALU_DEP_4) | instskip(SKIP_2) | instid1(VALU_DEP_3)
	v_dual_add_nc_u32 v88, s3, v86 :: v_dual_ashrrev_i32 v87, 31, v86
	v_ashrrev_i32_e32 v83, 31, v82
	v_lshl_add_u32 v105, v1, 7, 0x6200
	v_dual_ashrrev_i32 v79, 31, v78 :: v_dual_ashrrev_i32 v89, 31, v88
	v_add_nc_u32_e32 v90, s3, v88
	v_add_nc_u32_e32 v106, 0x3000, v103
	v_dual_mov_b32 v17, 0xfeffffff :: v_dual_mov_b32 v20, v81
	s_delay_alu instid0(VALU_DEP_3)
	v_dual_mov_b32 v100, 32 :: v_dual_ashrrev_i32 v91, 31, v90
	v_dual_mov_b32 v21, v81 :: v_dual_mov_b32 v22, v81
	v_dual_mov_b32 v24, v81 :: v_dual_mov_b32 v23, v81
	;; [unrolled: 1-line block ×5, first 2 shown]
	s_add_nc_u64 s[6:7], s[6:7], s[24:25]
	s_ashr_i32 s37, s36, 31
	s_ashr_i32 s21, s20, 31
	s_add_nc_u64 s[6:7], s[6:7], s[36:37]
	s_add_nc_u64 s[8:9], s[8:9], s[20:21]
	s_ashr_i32 s15, s14, 31
	s_ashr_i32 s11, s10, 31
	s_add_nc_u64 s[20:21], s[0:1], 0xd0
	s_mov_b32 s3, 0xbbbac73d
.LBB66_9:                               ; =>This Inner Loop Header: Depth=1
	s_ashr_i32 s5, s4, 31
	v_mov_b32_e32 v36, 0
	s_mul_u64 s[24:25], s[4:5], s[14:15]
	s_delay_alu instid0(SALU_CYCLE_1) | instskip(NEXT) | instid1(SALU_CYCLE_1)
	s_lshl_b64 s[24:25], s[24:25], 2
	s_add_nc_u64 s[24:25], s[6:7], s[24:25]
	s_delay_alu instid0(SALU_CYCLE_1) | instskip(SKIP_3) | instid1(VALU_DEP_4)
	v_lshl_add_u64 v[0:1], v[72:73], 2, s[24:25]
	v_lshl_add_u64 v[2:3], v[74:75], 2, s[24:25]
	;; [unrolled: 1-line block ×4, first 2 shown]
	v_add_nc_u64_e32 v[18:19], v[0:1], v[80:81]
	s_delay_alu instid0(VALU_DEP_4) | instskip(NEXT) | instid1(VALU_DEP_4)
	v_add_nc_u64_e32 v[28:29], v[2:3], v[80:81]
	v_add_nc_u64_e32 v[30:31], v[4:5], v[80:81]
	s_delay_alu instid0(VALU_DEP_4)
	v_add_nc_u64_e32 v[32:33], v[6:7], v[80:81]
	s_clause 0x3
	global_load_b128 v[0:3], v[18:19], off
	global_load_b128 v[4:7], v[28:29], off
	;; [unrolled: 1-line block ×4, first 2 shown]
	s_wait_xcnt 0x3
	v_add_nc_u32_e32 v18, 0x1080, v101
	v_add_nc_u32_e32 v19, 0x2100, v101
	s_wait_xcnt 0x2
	v_add_nc_u32_e32 v28, 0x3180, v101
	s_wait_loadcnt 0x3
	ds_store_b128 v101, v[0:3]
	s_wait_loadcnt 0x2
	ds_store_b128 v18, v[4:7]
	;; [unrolled: 2-line block ×4, first 2 shown]
	s_wait_dscnt 0x0
	s_barrier_signal -1
	s_barrier_wait -1
	ds_load_b128 v[2:5], v102
	ds_load_b128 v[6:9], v97
	ds_load_b128 v[10:13], v97 offset:512
	v_dual_mov_b32 v1, 0 :: v_dual_add_nc_u32 v0, s4, v104
	s_wait_dscnt 0x1
	;;#ASMSTART
	v_dot2_f32_f16 v1, v2, v6, v1
	;;#ASMEND
	;;#ASMSTART
	v_dot2_f32_f16 v1, v3, v7, v1
	;;#ASMEND
	;;#ASMSTART
	v_dot2_f32_f16 v1, v4, v8, v1
	;;#ASMEND
	;;#ASMSTART
	v_dot2_f32_f16 v1, v5, v9, v1
	;;#ASMEND
	s_wait_dscnt 0x0
	;;#ASMSTART
	v_dot2_f32_f16 v36, v2, v10, v36
	;;#ASMEND
	;;#ASMSTART
	v_dot2_f32_f16 v36, v3, v11, v36
	;;#ASMEND
	;;#ASMSTART
	v_dot2_f32_f16 v36, v4, v12, v36
	;;#ASMEND
	;;#ASMSTART
	v_dot2_f32_f16 v36, v5, v13, v36
	;;#ASMEND
	ds_load_b128 v[2:5], v102 offset:16
	ds_load_b128 v[6:9], v97 offset:16
	ds_load_b128 v[10:13], v97 offset:528
	s_wait_dscnt 0x1
	;;#ASMSTART
	v_dot2_f32_f16 v1, v2, v6, v1
	;;#ASMEND
	;;#ASMSTART
	v_dot2_f32_f16 v1, v3, v7, v1
	;;#ASMEND
	;;#ASMSTART
	v_dot2_f32_f16 v1, v4, v8, v1
	;;#ASMEND
	;;#ASMSTART
	v_dot2_f32_f16 v1, v5, v9, v1
	;;#ASMEND
	s_wait_dscnt 0x0
	;;#ASMSTART
	v_dot2_f32_f16 v36, v2, v10, v36
	;;#ASMEND
	;;#ASMSTART
	v_dot2_f32_f16 v36, v3, v11, v36
	;;#ASMEND
	;;#ASMSTART
	v_dot2_f32_f16 v36, v4, v12, v36
	;;#ASMEND
	;;#ASMSTART
	v_dot2_f32_f16 v36, v5, v13, v36
	;;#ASMEND
	ds_load_b128 v[2:5], v102 offset:32
	ds_load_b128 v[6:9], v97 offset:32
	ds_load_b128 v[10:13], v97 offset:544
	;; [unrolled: 29-line block ×31, first 2 shown]
	s_wait_dscnt 0x1
	;;#ASMSTART
	v_dot2_f32_f16 v1, v2, v6, v1
	;;#ASMEND
	;;#ASMSTART
	v_dot2_f32_f16 v1, v3, v7, v1
	;;#ASMEND
	;; [unrolled: 3-line block ×4, first 2 shown]
	s_wait_dscnt 0x0
	;;#ASMSTART
	v_dot2_f32_f16 v36, v2, v10, v36
	;;#ASMEND
	;;#ASMSTART
	v_dot2_f32_f16 v36, v3, v11, v36
	;;#ASMEND
	;; [unrolled: 3-line block ×4, first 2 shown]
	global_load_u16 v18, v0, s[34:35] scale_offset
	v_cmp_ngt_f32_e64 s24, 0x3f200000, |v1|
                                        ; implicit-def: $vgpr0
	s_wait_xcnt 0x0
	s_and_saveexec_b32 s25, s24
	s_delay_alu instid0(SALU_CYCLE_1)
	s_xor_b32 s24, exec_lo, s25
	s_cbranch_execz .LBB66_11
; %bb.10:                               ;   in Loop: Header=BB66_9 Depth=1
	v_add_f32_e64 v0, |v1|, |v1|
	s_delay_alu instid0(VALU_DEP_1) | instskip(SKIP_1) | instid1(VALU_DEP_2)
	v_mul_f32_e32 v2, 0x3fb8aa3b, v0
	v_cmp_ngt_f32_e32 vcc_lo, 0xc2ce8ed0, v0
	v_rndne_f32_e32 v3, v2
	v_fma_f32 v4, 0x3fb8aa3b, v0, -v2
	s_delay_alu instid0(VALU_DEP_2) | instskip(NEXT) | instid1(VALU_DEP_2)
	v_sub_f32_e32 v2, v2, v3
	v_fmac_f32_e32 v4, 0x32a5705f, v0
	v_cvt_i32_f32_e32 v3, v3
	s_delay_alu instid0(VALU_DEP_2) | instskip(NEXT) | instid1(VALU_DEP_1)
	v_add_f32_e32 v2, v2, v4
	v_exp_f32_e32 v2, v2
	v_nop
	s_delay_alu instid0(TRANS32_DEP_1) | instskip(NEXT) | instid1(VALU_DEP_1)
	v_ldexp_f32 v2, v2, v3
	v_cndmask_b32_e32 v2, 0, v2, vcc_lo
	v_cmp_nlt_f32_e32 vcc_lo, 0x42b17218, v0
	s_delay_alu instid0(VALU_DEP_2) | instskip(NEXT) | instid1(VALU_DEP_1)
	v_cndmask_b32_e32 v0, 0x7f800000, v2, vcc_lo
	v_add_f32_e32 v0, 1.0, v0
	s_delay_alu instid0(VALU_DEP_1) | instskip(SKIP_1) | instid1(TRANS32_DEP_1)
	v_rcp_f32_e32 v0, v0
	v_nop
	v_fma_f32 v0, v0, -2.0, 1.0
.LBB66_11:                              ;   in Loop: Header=BB66_9 Depth=1
	s_and_not1_saveexec_b32 s24, s24
	s_cbranch_execz .LBB66_13
; %bb.12:                               ;   in Loop: Header=BB66_9 Depth=1
	v_mul_f32_e32 v0, v1, v1
	s_delay_alu instid0(VALU_DEP_1) | instskip(NEXT) | instid1(VALU_DEP_1)
	v_fmaak_f32 v2, s3, v0, 0x3ca908c9
	v_fmaak_f32 v2, v0, v2, 0xbd5c1c4e
	s_delay_alu instid0(VALU_DEP_1) | instskip(NEXT) | instid1(VALU_DEP_1)
	v_fmaak_f32 v2, v0, v2, 0x3e088382
	v_fmaak_f32 v2, v0, v2, 0xbeaaaa99
	s_delay_alu instid0(VALU_DEP_1) | instskip(NEXT) | instid1(VALU_DEP_1)
	v_mul_f32_e64 v2, |v1|, v2
	v_fma_f32 v0, v0, v2, |v1|
.LBB66_13:                              ;   in Loop: Header=BB66_9 Depth=1
	s_or_b32 exec_lo, exec_lo, s24
	s_delay_alu instid0(VALU_DEP_1)
	v_bfi_b32 v0, 0x7fffffff, v0, v1
	v_dual_max_num_f32 v2, v17, v17 :: v_dual_bitop2_b32 v111, 16, v99 bitop3:0x14
	v_cmp_ngt_f32_e64 s24, 0x3f200000, |v36|
                                        ; implicit-def: $vgpr35
	v_xor_b32_e32 v107, 8, v99
	s_wait_loadcnt 0x0
	v_fma_mix_f32 v19, s29, v0, v18 op_sel_hi:[0,0,1]
	v_cmp_gt_i32_e32 vcc_lo, 32, v111
	v_xor_b32_e32 v108, 4, v99
	v_xor_b32_e32 v110, 1, v99
	v_cndmask_b32_e32 v0, v99, v111, vcc_lo
	v_add_f32_e32 v1, 0x40051340, v19
	v_cmp_gt_i32_e32 vcc_lo, 32, v107
	s_delay_alu instid0(VALU_DEP_2) | instskip(SKIP_4) | instid1(VALU_DEP_2)
	v_dual_lshlrev_b32 v28, 2, v0 :: v_dual_max_num_f32 v0, v2, v1
	ds_bpermute_b32 v1, v28, v0
	s_wait_dscnt 0x0
	v_dual_max_num_f32 v1, v1, v1 :: v_dual_cndmask_b32 v2, v99, v107
	v_cmp_gt_i32_e32 vcc_lo, 32, v108
	v_dual_max_num_f32 v0, v0, v1 :: v_dual_lshlrev_b32 v29, 2, v2
	ds_bpermute_b32 v1, v29, v0
	s_wait_dscnt 0x0
	v_dual_cndmask_b32 v2, v99, v108 :: v_dual_max_num_f32 v1, v1, v1
	s_delay_alu instid0(VALU_DEP_1) | instskip(SKIP_3) | instid1(VALU_DEP_1)
	v_dual_lshlrev_b32 v30, 2, v2 :: v_dual_max_num_f32 v0, v0, v1
	ds_bpermute_b32 v1, v30, v0
	s_wait_dscnt 0x0
	v_dual_max_num_f32 v1, v1, v1 :: v_dual_bitop2_b32 v109, 2, v99 bitop3:0x14
	v_cmp_gt_i32_e32 vcc_lo, 32, v109
	s_delay_alu instid0(VALU_DEP_2) | instskip(SKIP_2) | instid1(VALU_DEP_2)
	v_max_num_f32_e32 v0, v0, v1
	v_cndmask_b32_e32 v2, v99, v109, vcc_lo
	v_cmp_gt_i32_e32 vcc_lo, 32, v110
	v_lshlrev_b32_e32 v31, 2, v2
	ds_bpermute_b32 v1, v31, v0
	s_wait_dscnt 0x0
	v_dual_cndmask_b32 v2, v99, v110 :: v_dual_max_num_f32 v1, v1, v1
	s_delay_alu instid0(VALU_DEP_1) | instskip(SKIP_2) | instid1(SALU_CYCLE_1)
	v_dual_max_num_f32 v32, v0, v1 :: v_dual_lshlrev_b32 v33, 2, v2
	ds_bpermute_b32 v34, v33, v32
	s_and_saveexec_b32 s25, s24
	s_xor_b32 s24, exec_lo, s25
	s_cbranch_execz .LBB66_15
; %bb.14:                               ;   in Loop: Header=BB66_9 Depth=1
	v_add_f32_e64 v0, |v36|, |v36|
	s_delay_alu instid0(VALU_DEP_1) | instskip(SKIP_1) | instid1(VALU_DEP_2)
	v_mul_f32_e32 v1, 0x3fb8aa3b, v0
	v_cmp_ngt_f32_e32 vcc_lo, 0xc2ce8ed0, v0
	v_rndne_f32_e32 v2, v1
	v_fma_f32 v3, 0x3fb8aa3b, v0, -v1
	s_delay_alu instid0(VALU_DEP_2) | instskip(NEXT) | instid1(VALU_DEP_2)
	v_sub_f32_e32 v1, v1, v2
	v_fmac_f32_e32 v3, 0x32a5705f, v0
	v_cvt_i32_f32_e32 v2, v2
	s_delay_alu instid0(VALU_DEP_2) | instskip(NEXT) | instid1(VALU_DEP_1)
	v_add_f32_e32 v1, v1, v3
	v_exp_f32_e32 v1, v1
	v_nop
	s_delay_alu instid0(TRANS32_DEP_1) | instskip(NEXT) | instid1(VALU_DEP_1)
	v_ldexp_f32 v1, v1, v2
	v_cndmask_b32_e32 v1, 0, v1, vcc_lo
	v_cmp_nlt_f32_e32 vcc_lo, 0x42b17218, v0
	s_delay_alu instid0(VALU_DEP_2) | instskip(NEXT) | instid1(VALU_DEP_1)
	v_cndmask_b32_e32 v0, 0x7f800000, v1, vcc_lo
	v_add_f32_e32 v0, 1.0, v0
	s_delay_alu instid0(VALU_DEP_1) | instskip(SKIP_1) | instid1(TRANS32_DEP_1)
	v_rcp_f32_e32 v0, v0
	v_nop
	v_fma_f32 v35, v0, -2.0, 1.0
.LBB66_15:                              ;   in Loop: Header=BB66_9 Depth=1
	s_and_not1_saveexec_b32 s24, s24
	s_cbranch_execz .LBB66_17
; %bb.16:                               ;   in Loop: Header=BB66_9 Depth=1
	v_mul_f32_e32 v0, v36, v36
	s_delay_alu instid0(VALU_DEP_1) | instskip(NEXT) | instid1(VALU_DEP_1)
	v_fmaak_f32 v1, s3, v0, 0x3ca908c9
	v_fmaak_f32 v1, v0, v1, 0xbd5c1c4e
	s_delay_alu instid0(VALU_DEP_1) | instskip(NEXT) | instid1(VALU_DEP_1)
	v_fmaak_f32 v1, v0, v1, 0x3e088382
	v_fmaak_f32 v1, v0, v1, 0xbeaaaa99
	s_delay_alu instid0(VALU_DEP_1) | instskip(NEXT) | instid1(VALU_DEP_1)
	v_mul_f32_e64 v1, |v36|, v1
	v_fma_f32 v35, v0, v1, |v36|
.LBB66_17:                              ;   in Loop: Header=BB66_9 Depth=1
	s_or_b32 exec_lo, exec_lo, s24
	s_mul_u64 s[24:25], s[4:5], s[10:11]
	s_wait_dscnt 0x0
	s_lshl_b64 s[24:25], s[24:25], 2
	s_barrier_signal -1
	s_add_nc_u64 s[24:25], s[8:9], s[24:25]
	s_barrier_wait -1
	v_lshl_add_u64 v[0:1], v[78:79], 2, s[24:25]
	v_lshl_add_u64 v[2:3], v[86:87], 2, s[24:25]
	;; [unrolled: 1-line block ×4, first 2 shown]
	s_delay_alu instid0(VALU_DEP_4) | instskip(NEXT) | instid1(VALU_DEP_4)
	v_add_nc_u64_e32 v[38:39], v[0:1], v[80:81]
	v_add_nc_u64_e32 v[40:41], v[2:3], v[80:81]
	s_delay_alu instid0(VALU_DEP_4) | instskip(NEXT) | instid1(VALU_DEP_4)
	v_add_nc_u64_e32 v[42:43], v[4:5], v[80:81]
	v_add_nc_u64_e32 v[44:45], v[6:7], v[80:81]
	v_cvt_f32_f16_e32 v37, v18
	v_bfi_b32 v18, 0x7fffffff, v35, v36
	v_add_nc_u32_e32 v115, 0x2000, v98
	s_clause 0x3
	global_load_b128 v[12:15], v[38:39], off
	global_load_b128 v[4:7], v[40:41], off
	;; [unrolled: 1-line block ×4, first 2 shown]
	v_add_nc_u32_e32 v114, 0x2800, v98
	v_add_nc_u32_e32 v113, 0x3000, v98
	v_dual_fmac_f32 v37, s29, v18 :: v_dual_max_num_f32 v18, v16, v16
	v_add_nc_u32_e32 v112, 0x3800, v98
	s_delay_alu instid0(VALU_DEP_2) | instskip(NEXT) | instid1(VALU_DEP_1)
	v_add_f32_e32 v35, 0x40051340, v37
	v_max_num_f32_e32 v18, v18, v35
	ds_bpermute_b32 v28, v28, v18
	s_wait_dscnt 0x0
	v_max_num_f32_e32 v28, v28, v28
	s_delay_alu instid0(VALU_DEP_1) | instskip(SKIP_3) | instid1(VALU_DEP_1)
	v_max_num_f32_e32 v18, v18, v28
	ds_bpermute_b32 v28, v29, v18
	s_wait_dscnt 0x0
	v_max_num_f32_e32 v28, v28, v28
	v_max_num_f32_e32 v18, v18, v28
	ds_bpermute_b32 v28, v30, v18
	s_wait_dscnt 0x0
	v_max_num_f32_e32 v28, v28, v28
	s_delay_alu instid0(VALU_DEP_1) | instskip(SKIP_3) | instid1(VALU_DEP_1)
	v_max_num_f32_e32 v18, v18, v28
	ds_bpermute_b32 v28, v31, v18
	s_wait_dscnt 0x0
	v_max_num_f32_e32 v28, v28, v28
	v_max_num_f32_e32 v31, v18, v28
	v_dual_max_num_f32 v18, v34, v34 :: v_dual_max_num_f32 v28, v32, v32
	s_delay_alu instid0(VALU_DEP_1) | instskip(SKIP_2) | instid1(VALU_DEP_1)
	v_max_num_f32_e32 v92, v28, v18
	ds_bpermute_b32 v29, v33, v31
	v_dual_sub_f32 v17, v17, v92 :: v_dual_sub_f32 v18, v19, v92
	v_dual_mul_f32 v19, 0x3fb8aa3b, v17 :: v_dual_mul_f32 v32, 0x3fb8aa3b, v18
	v_cmp_ngt_f32_e32 vcc_lo, 0xc2ce8ed0, v18
	s_delay_alu instid0(VALU_DEP_2)
	v_fma_f32 v34, 0x3fb8aa3b, v17, -v19
	s_wait_dscnt 0x0
	v_max_num_f32_e32 v33, v29, v29
	v_fma_f32 v35, 0x3fb8aa3b, v18, -v32
	v_rndne_f32_e32 v36, v32
	v_add_nc_u32_e32 v30, v105, v96
	v_add_nc_u32_e32 v29, 0x1000, v98
	v_max_num_f32_e32 v93, v31, v33
	v_rndne_f32_e32 v31, v19
	v_dual_fmac_f32 v34, 0x32a5705f, v17 :: v_dual_fmac_f32 v35, 0x32a5705f, v18
	v_sub_f32_e32 v32, v32, v36
	s_delay_alu instid0(VALU_DEP_4) | instskip(NEXT) | instid1(VALU_DEP_4)
	v_dual_sub_f32 v33, v37, v93 :: v_dual_add_nc_u32 v28, 0x800, v98
	v_dual_sub_f32 v19, v19, v31 :: v_dual_sub_f32 v37, v16, v93
	v_cvt_i32_f32_e32 v16, v31
	s_delay_alu instid0(VALU_DEP_3) | instskip(SKIP_1) | instid1(VALU_DEP_4)
	v_dual_add_f32 v31, v32, v35 :: v_dual_mul_f32 v32, 0x3fb8aa3b, v33
	v_cvt_i32_f32_e32 v35, v36
	v_dual_mul_f32 v36, 0x3fb8aa3b, v37 :: v_dual_add_f32 v19, v19, v34
	s_delay_alu instid0(VALU_DEP_3) | instskip(NEXT) | instid1(VALU_DEP_3)
	v_exp_f32_e32 v31, v31
	v_fma_f32 v34, 0x3fb8aa3b, v33, -v32
	s_wait_xcnt 0x3
	v_rndne_f32_e32 v38, v32
	v_fma_f32 v39, 0x3fb8aa3b, v37, -v36
	v_exp_f32_e32 v19, v19
	s_wait_xcnt 0x2
	v_rndne_f32_e32 v40, v36
	s_delay_alu instid0(VALU_DEP_2) | instskip(SKIP_2) | instid1(TRANS32_DEP_1)
	v_dual_sub_f32 v32, v32, v38 :: v_dual_fmac_f32 v39, 0x32a5705f, v37
	v_ldexp_f32 v31, v31, v35
	v_fmac_f32_e32 v34, 0x32a5705f, v33
	v_ldexp_f32 v16, v19, v16
	v_cvt_i32_f32_e32 v35, v40
	s_delay_alu instid0(VALU_DEP_4) | instskip(SKIP_3) | instid1(VALU_DEP_2)
	v_cndmask_b32_e32 v31, 0, v31, vcc_lo
	v_cmp_ngt_f32_e32 vcc_lo, 0xc2ce8ed0, v17
	v_add_f32_e32 v19, v32, v34
	v_cvt_i32_f32_e32 v34, v38
	v_exp_f32_e32 v19, v19
	v_nop
	s_delay_alu instid0(TRANS32_DEP_1) | instskip(SKIP_1) | instid1(VALU_DEP_1)
	v_ldexp_f32 v19, v19, v34
	v_sub_f32_e32 v36, v36, v40
	v_dual_add_f32 v32, v36, v39 :: v_dual_cndmask_b32 v36, 0, v16, vcc_lo
	v_cmp_nlt_f32_e32 vcc_lo, 0x42b17218, v18
	s_delay_alu instid0(VALU_DEP_2) | instskip(SKIP_2) | instid1(TRANS32_DEP_1)
	v_exp_f32_e32 v32, v32
	v_cndmask_b32_e32 v16, 0x7f800000, v31, vcc_lo
	v_cmp_nlt_f32_e32 vcc_lo, 0x42b17218, v17
	v_ldexp_f32 v31, v32, v35
	v_cndmask_b32_e32 v18, 0x7f800000, v36, vcc_lo
	v_cmp_ngt_f32_e32 vcc_lo, 0xc2ce8ed0, v33
	v_cndmask_b32_e32 v17, 0, v19, vcc_lo
	v_cmp_ngt_f32_e32 vcc_lo, 0xc2ce8ed0, v37
	v_dual_cndmask_b32 v19, 0, v31 :: v_dual_add_nc_u32 v116, 0x1800, v98
	v_cmp_nlt_f32_e32 vcc_lo, 0x42b17218, v33
	v_cvt_f16_f32_e32 v31, v18
	v_cndmask_b32_e32 v17, 0x7f800000, v17, vcc_lo
	v_cmp_nlt_f32_e32 vcc_lo, 0x42b17218, v37
	s_delay_alu instid0(VALU_DEP_3) | instskip(NEXT) | instid1(VALU_DEP_3)
	v_and_b32_e32 v31, 0xffff, v31
	v_cvt_pk_f16_f32 v32, v16, v17
	s_delay_alu instid0(VALU_DEP_2)
	v_mul_u32_u24_e32 v117, 0x10001, v31
	ds_store_b32 v30, v32
	v_pk_mul_f16 v27, v27, v117
	v_pk_mul_f16 v26, v26, v117
	s_wait_loadcnt 0x3
	ds_store_b128 v103, v[12:15]
	v_add_nc_u32_e32 v12, 0x1000, v103
	s_wait_loadcnt 0x2
	ds_store_b128 v12, v[4:7]
	v_add_nc_u32_e32 v4, 0x2000, v103
	s_wait_loadcnt 0x1
	ds_store_b128 v4, v[0:3]
	s_wait_loadcnt 0x0
	ds_store_b128 v106, v[8:11]
	s_wait_dscnt 0x0
	s_barrier_signal -1
	s_barrier_wait -1
	ds_load_b128 v[4:7], v105
	v_cndmask_b32_e32 v19, 0x7f800000, v19, vcc_lo
	s_delay_alu instid0(VALU_DEP_1) | instskip(NEXT) | instid1(VALU_DEP_1)
	v_cvt_f16_f32_e32 v33, v19
	v_and_b32_e32 v30, 0xffff, v33
	s_delay_alu instid0(VALU_DEP_1) | instskip(SKIP_3) | instid1(VALU_DEP_3)
	v_mul_u32_u24_e32 v122, 0x10001, v30
	v_pk_mul_f16 v30, v23, v117
	s_wait_dscnt 0x0
	v_and_b32_e32 v125, 0xffff, v5
	v_pk_mul_f16 v31, v22, v122
	v_pk_mul_f16 v123, v20, v122
	;; [unrolled: 1-line block ×3, first 2 shown]
	v_lshrrev_b32_e32 v5, 16, v5
	v_pk_fma_f32 v[76:77], v[76:77], v[18:19], v[16:17]
	ds_load_2addr_b64 v[118:121], v98 offset1:32
	ds_load_b128 v[64:67], v105 offset:16
	ds_load_b128 v[48:51], v105 offset:32
	;; [unrolled: 1-line block ×3, first 2 shown]
	ds_load_2addr_b64 v[20:23], v98 offset0:64 offset1:96
	ds_load_2addr_b64 v[8:11], v98 offset0:128 offset1:160
	;; [unrolled: 1-line block ×3, first 2 shown]
	ds_load_2addr_b64 v[12:15], v28 offset1:32
	ds_load_2addr_b64 v[36:39], v28 offset0:64 offset1:96
	ds_load_2addr_b64 v[68:71], v28 offset0:128 offset1:160
	;; [unrolled: 1-line block ×3, first 2 shown]
	v_and_b32_e32 v28, 0xffff, v4
	v_lshrrev_b32_e32 v4, 16, v4
	v_mul_u32_u24_e32 v5, 0x10001, v5
	ds_load_2addr_b64 v[56:59], v29 offset1:32
	ds_load_2addr_b64 v[52:55], v29 offset0:64 offset1:96
	ds_load_2addr_b64 v[44:47], v29 offset0:128 offset1:160
	;; [unrolled: 1-line block ×3, first 2 shown]
	ds_load_2addr_b64 v[32:35], v116 offset1:32
	v_mul_u32_u24_e32 v28, 0x10001, v28
	v_mul_u32_u24_e32 v4, 0x10001, v4
	s_wait_dscnt 0xf
	s_delay_alu instid0(VALU_DEP_2)
	v_pk_fma_f16 v126, v119, v28, v27
	v_pk_fma_f16 v127, v120, v28, v26
	;; [unrolled: 1-line block ×3, first 2 shown]
	v_pk_mul_f16 v26, v118, v28
	v_pk_fma_f16 v119, v119, v4, v31
	v_pk_fma_f16 v120, v120, v4, v123
	;; [unrolled: 1-line block ×3, first 2 shown]
	v_pk_mul_f16 v4, v118, v4
	v_mul_u32_u24_e32 v118, 0x10001, v125
	v_pk_fma_f16 v117, v25, v117, v26
	ds_load_2addr_b64 v[28:31], v116 offset0:64 offset1:96
	s_wait_dscnt 0xc
	v_pk_fma_f16 v119, v21, v5, v119
	v_pk_fma_f16 v4, v24, v122, v4
	;; [unrolled: 1-line block ×6, first 2 shown]
	v_and_b32_e32 v118, 0xffff, v6
	v_pk_fma_f16 v125, v20, v5, v4
	v_lshrrev_b32_e32 v4, 16, v6
	ds_load_2addr_b64 v[24:27], v116 offset0:128 offset1:160
	v_pk_fma_f16 v120, v22, v5, v120
	v_pk_fma_f16 v121, v23, v5, v121
	v_mul_u32_u24_e32 v5, 0x10001, v118
	ds_load_2addr_b64 v[20:23], v116 offset0:192 offset1:224
	v_lshrrev_b32_e32 v116, 16, v7
	v_and_b32_e32 v118, 0xffff, v7
	v_mul_u32_u24_e32 v126, 0x10001, v4
	s_wait_dscnt 0xd
	v_pk_fma_f16 v122, v9, v5, v122
	v_pk_fma_f16 v123, v10, v5, v123
	;; [unrolled: 1-line block ×4, first 2 shown]
	v_mul_u32_u24_e32 v118, 0x10001, v118
	v_pk_fma_f16 v119, v9, v126, v119
	v_pk_fma_f16 v120, v10, v126, v120
	;; [unrolled: 1-line block ×4, first 2 shown]
	v_and_b32_e32 v126, 0xffff, v64
	v_mul_u32_u24_e32 v116, 0x10001, v116
	v_lshrrev_b32_e32 v64, 16, v64
	s_wait_dscnt 0xc
	v_pk_fma_f16 v122, v1, v118, v122
	v_pk_fma_f16 v123, v2, v118, v123
	;; [unrolled: 1-line block ×4, first 2 shown]
	v_mul_u32_u24_e32 v118, 0x10001, v126
	v_pk_fma_f16 v119, v1, v116, v119
	v_pk_fma_f16 v120, v2, v116, v120
	;; [unrolled: 1-line block ×4, first 2 shown]
	v_and_b32_e32 v125, 0xffff, v65
	v_mul_u32_u24_e32 v64, 0x10001, v64
	v_lshrrev_b32_e32 v65, 16, v65
	ds_load_2addr_b64 v[4:7], v115 offset1:32
	ds_load_2addr_b64 v[8:11], v115 offset0:64 offset1:96
	ds_load_2addr_b64 v[0:3], v115 offset0:128 offset1:160
	s_wait_dscnt 0xe
	v_pk_fma_f16 v122, v13, v118, v122
	v_pk_fma_f16 v123, v14, v118, v123
	;; [unrolled: 1-line block ×4, first 2 shown]
	v_mul_u32_u24_e32 v118, 0x10001, v125
	v_pk_fma_f16 v119, v13, v64, v119
	v_pk_fma_f16 v120, v14, v64, v120
	;; [unrolled: 1-line block ×4, first 2 shown]
	ds_load_2addr_b64 v[12:15], v115 offset0:192 offset1:224
	v_lshrrev_b32_e32 v115, 16, v66
	v_and_b32_e32 v66, 0xffff, v66
	v_mul_u32_u24_e32 v65, 0x10001, v65
	s_wait_dscnt 0xe
	v_pk_fma_f16 v116, v37, v118, v122
	v_pk_fma_f16 v122, v38, v118, v123
	;; [unrolled: 1-line block ×4, first 2 shown]
	v_and_b32_e32 v118, 0xffff, v67
	v_mul_u32_u24_e32 v66, 0x10001, v66
	v_mul_u32_u24_e32 v115, 0x10001, v115
	v_pk_fma_f16 v119, v37, v65, v119
	v_pk_fma_f16 v120, v38, v65, v120
	;; [unrolled: 1-line block ×4, first 2 shown]
	v_dual_lshrrev_b32 v124, 16, v67 :: v_dual_lshrrev_b32 v126, 16, v48
	v_mul_u32_u24_e32 v118, 0x10001, v118
	s_wait_dscnt 0xd
	v_pk_fma_f16 v116, v69, v66, v116
	v_pk_fma_f16 v119, v69, v115, v119
	v_pk_fma_f16 v122, v70, v66, v122
	v_pk_fma_f16 v120, v70, v115, v120
	v_pk_fma_f16 v123, v71, v66, v123
	v_pk_fma_f16 v121, v71, v115, v121
	v_pk_fma_f16 v117, v68, v66, v117
	v_pk_fma_f16 v115, v68, v115, v64
	v_and_b32_e32 v125, 0xffff, v48
	v_mul_u32_u24_e32 v48, 0x10001, v124
	s_wait_dscnt 0xc
	v_pk_fma_f16 v116, v61, v118, v116
	v_pk_fma_f16 v122, v62, v118, v122
	;; [unrolled: 1-line block ×4, first 2 shown]
	v_and_b32_e32 v118, 0xffff, v49
	v_pk_fma_f16 v61, v61, v48, v119
	v_pk_fma_f16 v62, v62, v48, v120
	;; [unrolled: 1-line block ×4, first 2 shown]
	v_dual_lshrrev_b32 v115, 16, v49 :: v_dual_lshrrev_b32 v120, 16, v50
	v_mul_u32_u24_e32 v124, 0x10001, v125
	v_mul_u32_u24_e32 v126, 0x10001, v126
	v_and_b32_e32 v119, 0xffff, v50
	v_mul_u32_u24_e32 v118, 0x10001, v118
	v_mul_u32_u24_e32 v115, 0x10001, v115
	s_wait_dscnt 0xb
	v_pk_fma_f16 v116, v57, v124, v116
	v_pk_fma_f16 v122, v58, v124, v122
	;; [unrolled: 1-line block ×8, first 2 shown]
	ds_load_2addr_b64 v[36:39], v114 offset1:32
	ds_load_b128 v[68:71], v105 offset:64
	ds_load_b128 v[64:67], v105 offset:80
	v_lshrrev_b32_e32 v121, 16, v51
	v_and_b32_e32 v125, 0xffff, v51
	ds_load_2addr_b64 v[48:51], v114 offset0:64 offset1:96
	ds_load_2addr_b64 v[56:59], v114 offset0:128 offset1:160
	s_wait_dscnt 0xf
	v_pk_fma_f16 v116, v53, v118, v116
	v_pk_fma_f16 v122, v54, v118, v122
	;; [unrolled: 1-line block ×4, first 2 shown]
	ds_load_2addr_b64 v[60:63], v114 offset0:192 offset1:224
	v_mul_u32_u24_e32 v114, 0x10001, v119
	v_pk_fma_f16 v119, v53, v115, v127
	v_pk_fma_f16 v124, v54, v115, v128
	;; [unrolled: 1-line block ×4, first 2 shown]
	v_mul_u32_u24_e32 v120, 0x10001, v120
	v_lshrrev_b32_e32 v117, 16, v16
	s_wait_dscnt 0xf
	v_pk_fma_f16 v116, v45, v114, v116
	v_pk_fma_f16 v122, v46, v114, v122
	;; [unrolled: 1-line block ×4, first 2 shown]
	v_and_b32_e32 v16, 0xffff, v16
	v_pk_fma_f16 v118, v45, v120, v119
	v_pk_fma_f16 v119, v46, v120, v124
	v_pk_fma_f16 v124, v47, v120, v126
	v_pk_fma_f16 v115, v44, v120, v115
	v_and_b32_e32 v120, 0xffff, v17
	v_lshrrev_b32_e32 v126, 16, v17
	v_and_b32_e32 v127, 0xffff, v18
	v_mul_u32_u24_e32 v17, 0x10001, v125
	v_lshrrev_b32_e32 v125, 16, v18
	v_mul_u32_u24_e32 v18, 0x10001, v121
	v_mul_u32_u24_e32 v117, 0x10001, v117
	v_lshrrev_b32_e32 v128, 16, v19
	s_wait_dscnt 0xe
	v_pk_fma_f16 v116, v41, v17, v116
	v_pk_fma_f16 v121, v42, v17, v122
	;; [unrolled: 1-line block ×4, first 2 shown]
	v_mul_u32_u24_e32 v123, 0x10001, v16
	v_pk_fma_f16 v41, v41, v18, v118
	v_pk_fma_f16 v42, v42, v18, v119
	;; [unrolled: 1-line block ×4, first 2 shown]
	s_wait_dscnt 0xd
	v_pk_fma_f16 v116, v33, v123, v116
	v_pk_fma_f16 v118, v34, v123, v121
	;; [unrolled: 1-line block ×8, first 2 shown]
	v_mul_u32_u24_e32 v32, 0x10001, v120
	v_mul_u32_u24_e32 v122, 0x10001, v126
	v_and_b32_e32 v129, 0xffff, v19
	v_mul_u32_u24_e32 v123, 0x10001, v127
	s_wait_dscnt 0x4
	v_and_b32_e32 v115, 0xffff, v68
	v_pk_fma_f16 v116, v29, v32, v116
	v_pk_fma_f16 v118, v30, v32, v118
	;; [unrolled: 1-line block ×7, first 2 shown]
	v_mul_u32_u24_e32 v122, 0x10001, v125
	v_lshrrev_b32_e32 v68, 16, v68
	v_pk_fma_f16 v119, v31, v32, v119
	v_pk_fma_f16 v116, v25, v123, v116
	;; [unrolled: 1-line block ×7, first 2 shown]
	v_mul_u32_u24_e32 v125, 0x10001, v129
	v_mul_u32_u24_e32 v126, 0x10001, v128
	v_and_b32_e32 v117, 0xffff, v69
	v_dual_lshrrev_b32 v69, 16, v69 :: v_dual_lshrrev_b32 v121, 16, v70
	v_pk_fma_f16 v119, v27, v123, v119
	v_pk_fma_f16 v43, v27, v122, v43
	v_mul_u32_u24_e32 v115, 0x10001, v115
	v_pk_fma_f16 v116, v21, v125, v116
	v_pk_fma_f16 v41, v21, v126, v41
	;; [unrolled: 1-line block ×6, first 2 shown]
	v_mul_u32_u24_e32 v68, 0x10001, v68
	v_and_b32_e32 v70, 0xffff, v70
	v_pk_fma_f16 v119, v23, v125, v119
	v_pk_fma_f16 v43, v23, v126, v43
	;; [unrolled: 1-line block ×8, first 2 shown]
	v_mul_u32_u24_e32 v117, 0x10001, v117
	v_mul_u32_u24_e32 v69, 0x10001, v69
	v_lshrrev_b32_e32 v120, 16, v71
	v_pk_fma_f16 v119, v7, v115, v119
	v_pk_fma_f16 v43, v7, v68, v43
	;; [unrolled: 1-line block ×8, first 2 shown]
	v_mul_u32_u24_e32 v41, 0x10001, v70
	v_mul_u32_u24_e32 v42, 0x10001, v121
	ds_load_2addr_b64 v[52:55], v113 offset1:32
	ds_load_b128 v[44:47], v105 offset:96
	ds_load_b128 v[24:27], v105 offset:112
	ds_load_2addr_b64 v[16:19], v113 offset0:64 offset1:96
	ds_load_2addr_b64 v[32:35], v113 offset0:128 offset1:160
	;; [unrolled: 1-line block ×3, first 2 shown]
	s_wait_dscnt 0x9
	v_and_b32_e32 v113, 0xffff, v64
	v_lshrrev_b32_e32 v64, 16, v64
	v_pk_fma_f16 v119, v11, v117, v119
	v_pk_fma_f16 v11, v11, v69, v43
	v_mul_u32_u24_e32 v69, 0x10001, v120
	v_pk_fma_f16 v116, v1, v41, v116
	v_pk_fma_f16 v1, v1, v42, v9
	v_pk_fma_f16 v9, v0, v41, v114
	v_pk_fma_f16 v0, v0, v42, v8
	v_and_b32_e32 v71, 0xffff, v71
	v_and_b32_e32 v123, 0xffff, v65
	v_dual_lshrrev_b32 v65, 16, v65 :: v_dual_lshrrev_b32 v122, 16, v66
	v_mul_u32_u24_e32 v64, 0x10001, v64
	v_pk_fma_f16 v118, v2, v41, v118
	v_pk_fma_f16 v2, v2, v42, v10
	;; [unrolled: 1-line block ×3, first 2 shown]
	v_mul_u32_u24_e32 v43, 0x10001, v71
	v_pk_fma_f16 v119, v3, v41, v119
	v_pk_fma_f16 v3, v3, v42, v11
	v_mul_u32_u24_e32 v65, 0x10001, v65
	v_pk_fma_f16 v1, v13, v69, v1
	v_pk_fma_f16 v2, v14, v69, v2
	;; [unrolled: 1-line block ×3, first 2 shown]
	v_mul_u32_u24_e32 v70, 0x10001, v113
	v_pk_fma_f16 v8, v13, v43, v116
	v_pk_fma_f16 v10, v14, v43, v118
	;; [unrolled: 1-line block ×5, first 2 shown]
	s_wait_dscnt 0x4
	v_dual_lshrrev_b32 v124, 16, v67 :: v_dual_lshrrev_b32 v125, 16, v44
	v_mul_u32_u24_e32 v113, 0x10001, v122
	v_pk_fma_f16 v1, v37, v64, v1
	v_pk_fma_f16 v2, v38, v64, v2
	;; [unrolled: 1-line block ×3, first 2 shown]
	v_and_b32_e32 v66, 0xffff, v66
	v_mul_u32_u24_e32 v71, 0x10001, v123
	v_pk_fma_f16 v8, v37, v70, v8
	v_pk_fma_f16 v10, v38, v70, v10
	;; [unrolled: 1-line block ×5, first 2 shown]
	v_mul_u32_u24_e32 v120, 0x10001, v124
	v_pk_fma_f16 v1, v49, v65, v1
	v_pk_fma_f16 v2, v50, v65, v2
	;; [unrolled: 1-line block ×3, first 2 shown]
	v_and_b32_e32 v67, 0xffff, v67
	v_mul_u32_u24_e32 v66, 0x10001, v66
	v_pk_fma_f16 v8, v49, v71, v8
	v_pk_fma_f16 v10, v50, v71, v10
	v_pk_fma_f16 v11, v51, v71, v11
	v_pk_fma_f16 v3, v51, v65, v3
	v_pk_fma_f16 v9, v48, v71, v9
	v_dual_lshrrev_b32 v115, 16, v45 :: v_dual_lshrrev_b32 v68, 16, v46
	v_mul_u32_u24_e32 v121, 0x10001, v125
	v_pk_fma_f16 v1, v57, v113, v1
	v_pk_fma_f16 v2, v58, v113, v2
	;; [unrolled: 1-line block ×3, first 2 shown]
	v_and_b32_e32 v44, 0xffff, v44
	v_mul_u32_u24_e32 v67, 0x10001, v67
	v_pk_fma_f16 v8, v57, v66, v8
	v_pk_fma_f16 v10, v58, v66, v10
	;; [unrolled: 1-line block ×5, first 2 shown]
	ds_load_2addr_b64 v[20:23], v112 offset1:32
	v_mul_u32_u24_e32 v115, 0x10001, v115
	v_pk_fma_f16 v1, v61, v120, v1
	v_pk_fma_f16 v2, v62, v120, v2
	;; [unrolled: 1-line block ×3, first 2 shown]
	v_and_b32_e32 v45, 0xffff, v45
	v_mul_u32_u24_e32 v44, 0x10001, v44
	v_pk_fma_f16 v8, v61, v67, v8
	v_pk_fma_f16 v10, v62, v67, v10
	;; [unrolled: 1-line block ×5, first 2 shown]
	s_wait_dscnt 0x4
	v_dual_lshrrev_b32 v126, 16, v47 :: v_dual_lshrrev_b32 v117, 16, v24
	v_mul_u32_u24_e32 v68, 0x10001, v68
	v_pk_fma_f16 v1, v53, v121, v1
	v_pk_fma_f16 v2, v54, v121, v2
	s_wait_dscnt 0x3
	v_pk_fma_f16 v0, v16, v115, v0
	v_and_b32_e32 v46, 0xffff, v46
	v_mul_u32_u24_e32 v45, 0x10001, v45
	v_pk_fma_f16 v8, v53, v44, v8
	v_pk_fma_f16 v10, v54, v44, v10
	;; [unrolled: 1-line block ×5, first 2 shown]
	v_mul_u32_u24_e32 v122, 0x10001, v126
	v_pk_fma_f16 v1, v17, v115, v1
	v_pk_fma_f16 v2, v18, v115, v2
	s_wait_dscnt 0x2
	v_pk_fma_f16 v0, v32, v68, v0
	v_and_b32_e32 v47, 0xffff, v47
	ds_load_2addr_b64 v[4:7], v112 offset0:64 offset1:96
	v_mul_u32_u24_e32 v46, 0x10001, v46
	v_pk_fma_f16 v8, v17, v45, v8
	v_pk_fma_f16 v10, v18, v45, v10
	;; [unrolled: 1-line block ×5, first 2 shown]
	v_mul_u32_u24_e32 v117, 0x10001, v117
	v_pk_fma_f16 v1, v33, v68, v1
	v_pk_fma_f16 v2, v34, v68, v2
	s_wait_dscnt 0x2
	v_pk_fma_f16 v0, v28, v122, v0
	v_and_b32_e32 v24, 0xffff, v24
	v_mul_u32_u24_e32 v47, 0x10001, v47
	v_pk_fma_f16 v8, v33, v46, v8
	v_pk_fma_f16 v10, v34, v46, v10
	;; [unrolled: 1-line block ×7, first 2 shown]
	s_wait_dscnt 0x1
	v_pk_fma_f16 v13, v20, v117, v0
	v_dual_lshrrev_b32 v0, 16, v25 :: v_dual_lshrrev_b32 v19, 16, v26
	v_and_b32_e32 v40, 0xffff, v25
	v_mul_u32_u24_e32 v24, 0x10001, v24
	v_pk_fma_f16 v8, v29, v47, v8
	v_pk_fma_f16 v10, v30, v47, v10
	;; [unrolled: 1-line block ×7, first 2 shown]
	v_mul_u32_u24_e32 v17, 0x10001, v0
	ds_load_2addr_b64 v[0:3], v112 offset0:128 offset1:160
	v_pk_fma_f16 v8, v21, v24, v8
	v_pk_fma_f16 v9, v20, v24, v9
	;; [unrolled: 1-line block ×3, first 2 shown]
	v_mul_u32_u24_e32 v16, 0x10001, v40
	v_pk_fma_f16 v11, v23, v24, v11
	v_pk_fma_f16 v12, v23, v117, v12
	s_wait_dscnt 0x1
	v_pk_fma_f16 v13, v4, v17, v13
	v_pk_fma_f16 v14, v5, v17, v14
	;; [unrolled: 1-line block ×8, first 2 shown]
	ds_load_2addr_b64 v[4:7], v112 offset0:192 offset1:224
	s_wait_dscnt 0x0
	s_barrier_signal -1
	s_barrier_wait -1
	s_load_b32 s5, s[20:21], 0x4
	v_and_b32_e32 v18, 0xffff, v26
	v_mul_u32_u24_e32 v17, 0x10001, v19
	s_delay_alu instid0(VALU_DEP_2) | instskip(SKIP_1) | instid1(VALU_DEP_2)
	v_mul_u32_u24_e32 v16, 0x10001, v18
	v_lshrrev_b32_e32 v18, 16, v27
	v_pk_fma_f16 v9, v0, v16, v9
	s_delay_alu instid0(VALU_DEP_4)
	v_pk_fma_f16 v0, v0, v17, v13
	v_and_b32_e32 v13, 0xffff, v27
	v_pk_fma_f16 v8, v1, v16, v8
	v_pk_fma_f16 v1, v1, v17, v14
	v_pk_fma_f16 v10, v2, v16, v10
	v_mul_u32_u24_e32 v14, 0x10001, v18
	v_mul_u32_u24_e32 v13, 0x10001, v13
	v_pk_fma_f16 v2, v2, v17, v15
	v_pk_fma_f16 v11, v3, v16, v11
	;; [unrolled: 1-line block ×3, first 2 shown]
	s_wait_kmcnt 0x0
	s_lshl_b32 s5, s5, 5
	v_pk_fma_f16 v25, v4, v13, v9
	v_pk_fma_f16 v24, v4, v14, v0
	;; [unrolled: 1-line block ×8, first 2 shown]
	s_add_co_i32 s4, s5, s4
	s_delay_alu instid0(SALU_CYCLE_1)
	s_cmp_ge_i32 s4, s30
	s_cbranch_scc1 .LBB66_19
; %bb.18:                               ;   in Loop: Header=BB66_9 Depth=1
	v_dual_mov_b32 v17, v92 :: v_dual_mov_b32 v16, v93
	s_branch .LBB66_9
.LBB66_19:
	v_mov_b32_e32 v0, v99
.LBB66_20:
	v_cmp_lt_i32_e32 vcc_lo, v111, v100
	s_cmp_lg_u64 s[12:13], 0
	s_cselect_b32 s3, -1, 0
	s_cmp_eq_u32 s31, 0
	v_cndmask_b32_e32 v1, v0, v111, vcc_lo
	v_cmp_lt_i32_e32 vcc_lo, v107, v100
	s_cselect_b32 s4, -1, 0
	s_delay_alu instid0(SALU_CYCLE_1) | instskip(NEXT) | instid1(VALU_DEP_2)
	s_and_b32 s3, s4, s3
	v_lshlrev_b32_e32 v1, 2, v1
	ds_bpermute_b32 v2, v1, v76
	ds_bpermute_b32 v3, v1, v77
	v_cndmask_b32_e32 v1, v0, v107, vcc_lo
	v_cmp_lt_i32_e32 vcc_lo, v108, v100
	s_delay_alu instid0(VALU_DEP_2)
	v_lshlrev_b32_e32 v1, 2, v1
	s_wait_dscnt 0x0
	v_pk_add_f32 v[2:3], v[76:77], v[2:3]
	ds_bpermute_b32 v4, v1, v2
	ds_bpermute_b32 v5, v1, v3
	v_cndmask_b32_e32 v1, v0, v108, vcc_lo
	v_cmp_lt_i32_e32 vcc_lo, v109, v100
	s_delay_alu instid0(VALU_DEP_2)
	v_lshlrev_b32_e32 v1, 2, v1
	s_wait_dscnt 0x0
	v_pk_add_f32 v[2:3], v[2:3], v[4:5]
	ds_bpermute_b32 v4, v1, v2
	ds_bpermute_b32 v5, v1, v3
	v_cndmask_b32_e32 v1, v0, v109, vcc_lo
	v_cmp_lt_i32_e32 vcc_lo, v110, v100
	s_delay_alu instid0(VALU_DEP_2) | instskip(SKIP_1) | instid1(VALU_DEP_1)
	v_dual_cndmask_b32 v0, v0, v110 :: v_dual_lshlrev_b32 v1, 2, v1
	s_and_b32 vcc_lo, exec_lo, s3
	v_lshlrev_b32_e32 v6, 2, v0
	s_wait_dscnt 0x0
	v_pk_add_f32 v[2:3], v[2:3], v[4:5]
	ds_bpermute_b32 v4, v1, v2
	ds_bpermute_b32 v5, v1, v3
	s_wait_dscnt 0x0
	v_pk_add_f32 v[0:1], v[2:3], v[4:5]
	ds_bpermute_b32 v2, v6, v0
	ds_bpermute_b32 v3, v6, v1
	s_wait_dscnt 0x0
	v_pk_add_f32 v[0:1], v[0:1], v[2:3]
	s_cbranch_vccz .LBB66_22
; %bb.21:
	s_ashr_i32 s29, s28, 31
	v_dual_mov_b32 v2, 0 :: v_dual_max_num_f32 v4, v92, v92
	s_lshl_b64 s[4:5], s[28:29], 2
	v_max_num_f32_e32 v6, v93, v93
	s_add_nc_u64 s[4:5], s[12:13], s[4:5]
	global_load_b64 v[2:3], v2, s[4:5]
	s_wait_loadcnt 0x0
	v_dual_max_num_f32 v5, v2, v2 :: v_dual_max_num_f32 v7, v3, v3
	s_delay_alu instid0(VALU_DEP_1) | instskip(NEXT) | instid1(VALU_DEP_1)
	v_dual_max_num_f32 v4, v4, v5 :: v_dual_max_num_f32 v5, v6, v7
	v_dual_sub_f32 v6, v92, v4 :: v_dual_sub_f32 v7, v2, v4
	s_delay_alu instid0(VALU_DEP_2) | instskip(SKIP_1) | instid1(VALU_DEP_3)
	v_dual_sub_f32 v8, v93, v5 :: v_dual_sub_f32 v9, v3, v5
	v_mov_b64_e32 v[92:93], v[4:5]
	v_dual_mul_f32 v2, 0x3fb8aa3b, v6 :: v_dual_mul_f32 v3, 0x3fb8aa3b, v7
	s_delay_alu instid0(VALU_DEP_3) | instskip(SKIP_1) | instid1(VALU_DEP_3)
	v_mul_f32_e32 v10, 0x3fb8aa3b, v8
	v_cmp_ngt_f32_e32 vcc_lo, 0xc2ce8ed0, v6
	v_fma_f32 v12, 0x3fb8aa3b, v6, -v2
	v_rndne_f32_e32 v13, v2
	v_rndne_f32_e32 v15, v3
	v_fma_f32 v14, 0x3fb8aa3b, v7, -v3
	v_fma_f32 v16, 0x3fb8aa3b, v8, -v10
	v_fmac_f32_e32 v12, 0x32a5705f, v6
	s_delay_alu instid0(VALU_DEP_4) | instskip(SKIP_3) | instid1(VALU_DEP_4)
	v_dual_sub_f32 v2, v2, v13 :: v_dual_sub_f32 v3, v3, v15
	v_mul_f32_e32 v11, 0x3fb8aa3b, v9
	v_rndne_f32_e32 v17, v10
	v_fmac_f32_e32 v14, 0x32a5705f, v7
	v_add_f32_e32 v2, v2, v12
	v_fmac_f32_e32 v16, 0x32a5705f, v8
	v_fma_f32 v18, 0x3fb8aa3b, v9, -v11
	v_rndne_f32_e32 v19, v11
	v_cvt_i32_f32_e32 v12, v13
	v_exp_f32_e32 v2, v2
	s_delay_alu instid0(VALU_DEP_3) | instskip(NEXT) | instid1(VALU_DEP_3)
	v_dual_add_f32 v3, v3, v14 :: v_dual_fmac_f32 v18, 0x32a5705f, v9
	v_dual_sub_f32 v11, v11, v19 :: v_dual_sub_f32 v10, v10, v17
	v_cvt_i32_f32_e32 v13, v17
	s_delay_alu instid0(VALU_DEP_3) | instskip(NEXT) | instid1(TRANS32_DEP_2)
	v_exp_f32_e32 v3, v3
	v_ldexp_f32 v2, v2, v12
	s_delay_alu instid0(VALU_DEP_3) | instskip(SKIP_2) | instid1(VALU_DEP_4)
	v_dual_add_f32 v11, v11, v18 :: v_dual_add_f32 v10, v10, v16
	v_cvt_i32_f32_e32 v14, v15
	v_cvt_i32_f32_e32 v12, v19
	v_cndmask_b32_e32 v2, 0, v2, vcc_lo
	v_cmp_ngt_f32_e32 vcc_lo, 0xc2ce8ed0, v8
	v_exp_f32_e32 v10, v10
	v_exp_f32_e32 v11, v11
	s_delay_alu instid0(TRANS32_DEP_2) | instskip(NEXT) | instid1(TRANS32_DEP_1)
	v_ldexp_f32 v10, v10, v13
	v_ldexp_f32 v11, v11, v12
	s_delay_alu instid0(VALU_DEP_2) | instskip(SKIP_4) | instid1(VALU_DEP_2)
	v_cndmask_b32_e32 v10, 0, v10, vcc_lo
	v_cmp_nlt_f32_e32 vcc_lo, 0x42b17218, v6
	v_ldexp_f32 v6, v3, v14
	v_cndmask_b32_e32 v2, 0x7f800000, v2, vcc_lo
	v_cmp_nlt_f32_e32 vcc_lo, 0x42b17218, v8
	v_cvt_f16_f32_e32 v8, v2
	v_cndmask_b32_e32 v3, 0x7f800000, v10, vcc_lo
	v_cmp_ngt_f32_e32 vcc_lo, 0xc2ce8ed0, v7
	s_delay_alu instid0(VALU_DEP_3) | instskip(SKIP_2) | instid1(VALU_DEP_3)
	v_and_b32_e32 v8, 0xffff, v8
	v_cndmask_b32_e32 v6, 0, v6, vcc_lo
	v_cmp_ngt_f32_e32 vcc_lo, 0xc2ce8ed0, v9
	v_mul_u32_u24_e32 v8, 0x10001, v8
	v_cndmask_b32_e32 v10, 0, v11, vcc_lo
	v_cmp_nlt_f32_e32 vcc_lo, 0x42b17218, v7
	v_cvt_f16_f32_e32 v11, v3
	s_delay_alu instid0(VALU_DEP_4)
	v_pk_mul_f16 v25, v25, v8
	v_pk_mul_f16 v27, v27, v8
	;; [unrolled: 1-line block ×3, first 2 shown]
	v_cndmask_b32_e32 v6, 0x7f800000, v6, vcc_lo
	v_cmp_nlt_f32_e32 vcc_lo, 0x42b17218, v9
	v_and_b32_e32 v9, 0xffff, v11
	v_pk_mul_f16 v23, v23, v8
	v_cndmask_b32_e32 v7, 0x7f800000, v10, vcc_lo
	s_delay_alu instid0(VALU_DEP_1) | instskip(NEXT) | instid1(VALU_DEP_4)
	v_pk_fma_f32 v[0:1], v[0:1], v[2:3], v[6:7]
	v_mul_u32_u24_e32 v2, 0x10001, v9
	s_delay_alu instid0(VALU_DEP_1)
	v_pk_mul_f16 v24, v24, v2
	v_pk_mul_f16 v22, v22, v2
	;; [unrolled: 1-line block ×4, first 2 shown]
.LBB66_22:
	s_mov_b32 s3, exec_lo
	v_cmpx_gt_i32_e64 s22, v94
	s_cbranch_execz .LBB66_31
; %bb.23:
	s_load_b32 s0, s[0:1], 0xd4
	v_mov_b32_e32 v2, 1.0
	s_wait_kmcnt 0x0
	s_cmp_lg_u32 s0, 1
	s_cselect_b32 s3, -1, 0
	s_cmp_eq_u32 s0, 1
	s_cselect_b32 s1, -1, 0
	s_and_b32 vcc_lo, exec_lo, s3
	s_cbranch_vccnz .LBB66_25
; %bb.24:
	v_div_scale_f32 v2, null, v0, v0, 1.0
	s_delay_alu instid0(VALU_DEP_1) | instskip(SKIP_1) | instid1(TRANS32_DEP_1)
	v_rcp_f32_e32 v3, v2
	v_nop
	v_fma_f32 v4, -v2, v3, 1.0
	s_delay_alu instid0(VALU_DEP_1) | instskip(SKIP_1) | instid1(VALU_DEP_1)
	v_fmac_f32_e32 v3, v4, v3
	v_div_scale_f32 v4, vcc_lo, 1.0, v0, 1.0
	v_mul_f32_e32 v5, v4, v3
	s_delay_alu instid0(VALU_DEP_1) | instskip(NEXT) | instid1(VALU_DEP_1)
	v_fma_f32 v6, -v2, v5, v4
	v_fmac_f32_e32 v5, v6, v3
	s_delay_alu instid0(VALU_DEP_1) | instskip(NEXT) | instid1(VALU_DEP_1)
	v_fma_f32 v2, -v2, v5, v4
	v_div_fmas_f32 v2, v2, v3, v5
	s_delay_alu instid0(VALU_DEP_1)
	v_div_fixup_f32 v2, v2, v0, 1.0
.LBB66_25:
	v_mad_u32 v3, s2, s22, v94
	v_dual_mov_b32 v11, 0 :: v_dual_lshrrev_b32 v5, 16, v25
	v_dual_lshrrev_b32 v7, 16, v27 :: v_dual_lshrrev_b32 v9, 16, v26
	v_lshrrev_b32_e32 v13, 16, v23
	v_cvt_f32_f16_e32 v4, v25
	v_cvt_f32_f16_e32 v6, v27
	;; [unrolled: 1-line block ×5, first 2 shown]
	v_mad_u32 v3, v3, s23, s28
	v_cvt_f32_f16_e32 v12, v23
	v_cvt_f32_f16_e32 v9, v9
	;; [unrolled: 1-line block ×3, first 2 shown]
	v_cmp_eq_u32_e32 vcc_lo, 0, v95
	s_and_b32 s2, vcc_lo, s3
	v_mad_u32 v3, s0, v3, s31
	s_delay_alu instid0(VALU_DEP_1) | instskip(SKIP_3) | instid1(VALU_DEP_4)
	v_lshl_add_u32 v10, v3, 8, v96
	v_pk_mul_f32 v[4:5], v[2:3], v[4:5] op_sel_hi:[0,1]
	v_pk_mul_f32 v[6:7], v[2:3], v[6:7] op_sel_hi:[0,1]
	;; [unrolled: 1-line block ×3, first 2 shown]
	v_lshl_add_u64 v[14:15], v[10:11], 2, s[16:17]
	v_add_nc_u32_e32 v10, 0x80, v10
	s_delay_alu instid0(VALU_DEP_1)
	v_lshl_add_u64 v[16:17], v[10:11], 2, s[16:17]
	v_pk_mul_f32 v[10:11], v[2:3], v[12:13] op_sel_hi:[0,1]
	s_clause 0x1
	global_store_b128 v[14:15], v[4:7], off
	global_store_b128 v[16:17], v[8:11], off
	s_wait_xcnt 0x0
	s_and_saveexec_b32 s3, s2
	s_cbranch_execz .LBB66_27
; %bb.26:
	v_dual_mov_b32 v4, v92 :: v_dual_mov_b32 v5, v0
	global_store_b64 v3, v[4:5], s[18:19] scale_offset
.LBB66_27:
	s_wait_xcnt 0x0
	s_or_b32 exec_lo, exec_lo, s3
	v_mov_b32_e32 v0, 1.0
	s_and_not1_b32 vcc_lo, exec_lo, s1
	s_cbranch_vccnz .LBB66_29
; %bb.28:
	v_div_scale_f32 v0, null, v1, v1, 1.0
	s_delay_alu instid0(VALU_DEP_1) | instskip(SKIP_1) | instid1(TRANS32_DEP_1)
	v_rcp_f32_e32 v2, v0
	v_nop
	v_fma_f32 v4, -v0, v2, 1.0
	s_delay_alu instid0(VALU_DEP_1) | instskip(SKIP_1) | instid1(VALU_DEP_1)
	v_fmac_f32_e32 v2, v4, v2
	v_div_scale_f32 v4, vcc_lo, 1.0, v1, 1.0
	v_mul_f32_e32 v5, v4, v2
	s_delay_alu instid0(VALU_DEP_1) | instskip(NEXT) | instid1(VALU_DEP_1)
	v_fma_f32 v6, -v0, v5, v4
	v_fmac_f32_e32 v5, v6, v2
	s_delay_alu instid0(VALU_DEP_1) | instskip(NEXT) | instid1(VALU_DEP_1)
	v_fma_f32 v0, -v0, v5, v4
	v_div_fmas_f32 v0, v0, v2, v5
	s_delay_alu instid0(VALU_DEP_1)
	v_div_fixup_f32 v0, v0, v1, 1.0
.LBB66_29:
	v_dual_mov_b32 v9, 0 :: v_dual_add_nc_u32 v2, s0, v3
	v_dual_lshrrev_b32 v3, 16, v24 :: v_dual_lshrrev_b32 v6, 16, v22
	v_dual_lshrrev_b32 v10, 16, v20 :: v_dual_lshrrev_b32 v14, 16, v21
	s_delay_alu instid0(VALU_DEP_3) | instskip(SKIP_1) | instid1(VALU_DEP_4)
	v_lshl_add_u32 v8, v2, 8, v96
	v_cvt_f32_f16_e32 v4, v24
	v_cvt_f32_f16_e32 v5, v3
	;; [unrolled: 1-line block ×4, first 2 shown]
	v_lshl_add_u64 v[12:13], v[8:9], 2, s[16:17]
	v_add_nc_u32_e32 v8, 0x80, v8
	v_cvt_f32_f16_e32 v11, v10
	v_cvt_f32_f16_e32 v10, v20
	;; [unrolled: 1-line block ×4, first 2 shown]
	v_pk_mul_f32 v[4:5], v[0:1], v[4:5] op_sel_hi:[0,1]
	v_pk_mul_f32 v[6:7], v[0:1], v[6:7] op_sel_hi:[0,1]
	v_lshl_add_u64 v[16:17], v[8:9], 2, s[16:17]
	v_pk_mul_f32 v[8:9], v[0:1], v[10:11] op_sel_hi:[0,1]
	v_pk_mul_f32 v[10:11], v[0:1], v[14:15] op_sel_hi:[0,1]
	s_clause 0x1
	global_store_b128 v[12:13], v[4:7], off
	global_store_b128 v[16:17], v[8:11], off
	s_wait_xcnt 0x0
	s_and_b32 exec_lo, exec_lo, s2
	s_cbranch_execz .LBB66_31
; %bb.30:
	v_mov_b32_e32 v0, v93
	global_store_b64 v2, v[0:1], s[18:19] scale_offset
.LBB66_31:
	s_sendmsg sendmsg(MSG_DEALLOC_VGPRS)
	s_endpgm
	.section	.rodata,"a",@progbits
	.p2align	6, 0x0
	.amdhsa_kernel _ZL15flash_attn_tileILi256ELi256ELi8ELi2ELb1EEvPKcS1_S1_S1_S1_PKiPfP15HIP_vector_typeIfLj2EEffffjfiS5_IjLj3EEiiiiiiiiiiiliiliiiiil
		.amdhsa_group_segment_fixed_size 26112
		.amdhsa_private_segment_fixed_size 0
		.amdhsa_kernarg_size 464
		.amdhsa_user_sgpr_count 2
		.amdhsa_user_sgpr_dispatch_ptr 0
		.amdhsa_user_sgpr_queue_ptr 0
		.amdhsa_user_sgpr_kernarg_segment_ptr 1
		.amdhsa_user_sgpr_dispatch_id 0
		.amdhsa_user_sgpr_kernarg_preload_length 0
		.amdhsa_user_sgpr_kernarg_preload_offset 0
		.amdhsa_user_sgpr_private_segment_size 0
		.amdhsa_wavefront_size32 1
		.amdhsa_uses_dynamic_stack 0
		.amdhsa_enable_private_segment 0
		.amdhsa_system_sgpr_workgroup_id_x 1
		.amdhsa_system_sgpr_workgroup_id_y 1
		.amdhsa_system_sgpr_workgroup_id_z 1
		.amdhsa_system_sgpr_workgroup_info 0
		.amdhsa_system_vgpr_workitem_id 1
		.amdhsa_next_free_vgpr 130
		.amdhsa_next_free_sgpr 43
		.amdhsa_named_barrier_count 0
		.amdhsa_reserve_vcc 1
		.amdhsa_float_round_mode_32 0
		.amdhsa_float_round_mode_16_64 0
		.amdhsa_float_denorm_mode_32 3
		.amdhsa_float_denorm_mode_16_64 3
		.amdhsa_fp16_overflow 0
		.amdhsa_memory_ordered 1
		.amdhsa_forward_progress 1
		.amdhsa_inst_pref_size 77
		.amdhsa_round_robin_scheduling 0
		.amdhsa_exception_fp_ieee_invalid_op 0
		.amdhsa_exception_fp_denorm_src 0
		.amdhsa_exception_fp_ieee_div_zero 0
		.amdhsa_exception_fp_ieee_overflow 0
		.amdhsa_exception_fp_ieee_underflow 0
		.amdhsa_exception_fp_ieee_inexact 0
		.amdhsa_exception_int_div_zero 0
	.end_amdhsa_kernel
	.section	.text._ZL15flash_attn_tileILi256ELi256ELi8ELi2ELb1EEvPKcS1_S1_S1_S1_PKiPfP15HIP_vector_typeIfLj2EEffffjfiS5_IjLj3EEiiiiiiiiiiiliiliiiiil,"axG",@progbits,_ZL15flash_attn_tileILi256ELi256ELi8ELi2ELb1EEvPKcS1_S1_S1_S1_PKiPfP15HIP_vector_typeIfLj2EEffffjfiS5_IjLj3EEiiiiiiiiiiiliiliiiiil,comdat
.Lfunc_end66:
	.size	_ZL15flash_attn_tileILi256ELi256ELi8ELi2ELb1EEvPKcS1_S1_S1_S1_PKiPfP15HIP_vector_typeIfLj2EEffffjfiS5_IjLj3EEiiiiiiiiiiiliiliiiiil, .Lfunc_end66-_ZL15flash_attn_tileILi256ELi256ELi8ELi2ELb1EEvPKcS1_S1_S1_S1_PKiPfP15HIP_vector_typeIfLj2EEffffjfiS5_IjLj3EEiiiiiiiiiiiliiliiiiil
                                        ; -- End function
	.set _ZL15flash_attn_tileILi256ELi256ELi8ELi2ELb1EEvPKcS1_S1_S1_S1_PKiPfP15HIP_vector_typeIfLj2EEffffjfiS5_IjLj3EEiiiiiiiiiiiliiliiiiil.num_vgpr, 130
	.set _ZL15flash_attn_tileILi256ELi256ELi8ELi2ELb1EEvPKcS1_S1_S1_S1_PKiPfP15HIP_vector_typeIfLj2EEffffjfiS5_IjLj3EEiiiiiiiiiiiliiliiiiil.num_agpr, 0
	.set _ZL15flash_attn_tileILi256ELi256ELi8ELi2ELb1EEvPKcS1_S1_S1_S1_PKiPfP15HIP_vector_typeIfLj2EEffffjfiS5_IjLj3EEiiiiiiiiiiiliiliiiiil.numbered_sgpr, 43
	.set _ZL15flash_attn_tileILi256ELi256ELi8ELi2ELb1EEvPKcS1_S1_S1_S1_PKiPfP15HIP_vector_typeIfLj2EEffffjfiS5_IjLj3EEiiiiiiiiiiiliiliiiiil.num_named_barrier, 0
	.set _ZL15flash_attn_tileILi256ELi256ELi8ELi2ELb1EEvPKcS1_S1_S1_S1_PKiPfP15HIP_vector_typeIfLj2EEffffjfiS5_IjLj3EEiiiiiiiiiiiliiliiiiil.private_seg_size, 0
	.set _ZL15flash_attn_tileILi256ELi256ELi8ELi2ELb1EEvPKcS1_S1_S1_S1_PKiPfP15HIP_vector_typeIfLj2EEffffjfiS5_IjLj3EEiiiiiiiiiiiliiliiiiil.uses_vcc, 1
	.set _ZL15flash_attn_tileILi256ELi256ELi8ELi2ELb1EEvPKcS1_S1_S1_S1_PKiPfP15HIP_vector_typeIfLj2EEffffjfiS5_IjLj3EEiiiiiiiiiiiliiliiiiil.uses_flat_scratch, 0
	.set _ZL15flash_attn_tileILi256ELi256ELi8ELi2ELb1EEvPKcS1_S1_S1_S1_PKiPfP15HIP_vector_typeIfLj2EEffffjfiS5_IjLj3EEiiiiiiiiiiiliiliiiiil.has_dyn_sized_stack, 0
	.set _ZL15flash_attn_tileILi256ELi256ELi8ELi2ELb1EEvPKcS1_S1_S1_S1_PKiPfP15HIP_vector_typeIfLj2EEffffjfiS5_IjLj3EEiiiiiiiiiiiliiliiiiil.has_recursion, 0
	.set _ZL15flash_attn_tileILi256ELi256ELi8ELi2ELb1EEvPKcS1_S1_S1_S1_PKiPfP15HIP_vector_typeIfLj2EEffffjfiS5_IjLj3EEiiiiiiiiiiiliiliiiiil.has_indirect_call, 0
	.section	.AMDGPU.csdata,"",@progbits
; Kernel info:
; codeLenInByte = 9852
; TotalNumSgprs: 45
; NumVgprs: 130
; ScratchSize: 0
; MemoryBound: 0
; FloatMode: 240
; IeeeMode: 1
; LDSByteSize: 26112 bytes/workgroup (compile time only)
; SGPRBlocks: 0
; VGPRBlocks: 8
; NumSGPRsForWavesPerEU: 45
; NumVGPRsForWavesPerEU: 130
; NamedBarCnt: 0
; Occupancy: 7
; WaveLimiterHint : 1
; COMPUTE_PGM_RSRC2:SCRATCH_EN: 0
; COMPUTE_PGM_RSRC2:USER_SGPR: 2
; COMPUTE_PGM_RSRC2:TRAP_HANDLER: 0
; COMPUTE_PGM_RSRC2:TGID_X_EN: 1
; COMPUTE_PGM_RSRC2:TGID_Y_EN: 1
; COMPUTE_PGM_RSRC2:TGID_Z_EN: 1
; COMPUTE_PGM_RSRC2:TIDIG_COMP_CNT: 1
	.section	.text._ZL15flash_attn_tileILi256ELi256ELi4ELi2ELb1EEvPKcS1_S1_S1_S1_PKiPfP15HIP_vector_typeIfLj2EEffffjfiS5_IjLj3EEiiiiiiiiiiiliiliiiiil,"axG",@progbits,_ZL15flash_attn_tileILi256ELi256ELi4ELi2ELb1EEvPKcS1_S1_S1_S1_PKiPfP15HIP_vector_typeIfLj2EEffffjfiS5_IjLj3EEiiiiiiiiiiiliiliiiiil,comdat
	.globl	_ZL15flash_attn_tileILi256ELi256ELi4ELi2ELb1EEvPKcS1_S1_S1_S1_PKiPfP15HIP_vector_typeIfLj2EEffffjfiS5_IjLj3EEiiiiiiiiiiiliiliiiiil ; -- Begin function _ZL15flash_attn_tileILi256ELi256ELi4ELi2ELb1EEvPKcS1_S1_S1_S1_PKiPfP15HIP_vector_typeIfLj2EEffffjfiS5_IjLj3EEiiiiiiiiiiiliiliiiiil
	.p2align	8
	.type	_ZL15flash_attn_tileILi256ELi256ELi4ELi2ELb1EEvPKcS1_S1_S1_S1_PKiPfP15HIP_vector_typeIfLj2EEffffjfiS5_IjLj3EEiiiiiiiiiiiliiliiiiil,@function
_ZL15flash_attn_tileILi256ELi256ELi4ELi2ELb1EEvPKcS1_S1_S1_S1_PKiPfP15HIP_vector_typeIfLj2EEffffjfiS5_IjLj3EEiiiiiiiiiiiliiliiiiil: ; @_ZL15flash_attn_tileILi256ELi256ELi4ELi2ELb1EEvPKcS1_S1_S1_S1_PKiPfP15HIP_vector_typeIfLj2EEffffjfiS5_IjLj3EEiiiiiiiiiiiliiliiiiil
; %bb.0:
	s_clause 0x1
	s_load_b128 s[20:23], s[0:1], 0x5c
	s_load_b64 s[30:31], s[0:1], 0x80
	s_bfe_u32 s5, ttmp6, 0x40014
	s_lshr_b32 s4, ttmp7, 16
	s_add_co_i32 s5, s5, 1
	s_bfe_u32 s6, ttmp6, 0x40008
	s_mul_i32 s5, s4, s5
	s_getreg_b32 s24, hwreg(HW_REG_IB_STS2, 6, 4)
	s_add_co_i32 s6, s6, s5
	s_load_b64 s[38:39], s[0:1], 0xb8
	s_mov_b32 s37, 0
	s_mov_b64 s[34:35], 0
	s_wait_kmcnt 0x0
	s_lshr_b32 s2, s23, 31
	s_delay_alu instid0(SALU_CYCLE_1) | instskip(NEXT) | instid1(SALU_CYCLE_1)
	s_add_co_i32 s2, s23, s2
	s_ashr_i32 s2, s2, 1
	s_delay_alu instid0(SALU_CYCLE_1) | instskip(SKIP_1) | instid1(SALU_CYCLE_2)
	s_cvt_f32_u32 s3, s2
	s_sub_co_i32 s7, 0, s2
	v_rcp_iflag_f32_e32 v1, s3
	v_nop
	s_delay_alu instid0(TRANS32_DEP_1) | instskip(SKIP_1) | instid1(SALU_CYCLE_3)
	v_readfirstlane_b32 s3, v1
	s_mul_f32 s3, s3, 0x4f7ffffe
	s_cvt_u32_f32 s3, s3
	s_delay_alu instid0(SALU_CYCLE_3) | instskip(NEXT) | instid1(SALU_CYCLE_1)
	s_mul_i32 s7, s7, s3
	s_mul_hi_u32 s7, s3, s7
	s_delay_alu instid0(SALU_CYCLE_1) | instskip(SKIP_2) | instid1(SALU_CYCLE_1)
	s_add_co_i32 s3, s3, s7
	s_cmp_eq_u32 s24, 0
	s_cselect_b32 s4, s4, s6
	s_mul_hi_u32 s3, s4, s3
	s_delay_alu instid0(SALU_CYCLE_1) | instskip(SKIP_2) | instid1(SALU_CYCLE_1)
	s_mul_i32 s5, s3, s2
	s_add_co_i32 s6, s3, 1
	s_sub_co_i32 s5, s4, s5
	s_sub_co_i32 s7, s5, s2
	s_cmp_ge_u32 s5, s2
	s_cselect_b32 s3, s6, s3
	s_cselect_b32 s5, s7, s5
	s_add_co_i32 s6, s3, 1
	s_cmp_ge_u32 s5, s2
	s_cselect_b32 s2, s6, s3
	s_abs_i32 s3, s31
	s_lshl_b32 s4, s4, 1
	s_cvt_f32_u32 s5, s3
	s_sub_co_i32 s6, 0, s3
	s_mul_i32 s7, s2, s23
	s_abs_i32 s8, s23
	v_rcp_iflag_f32_e32 v1, s5
	s_sub_co_i32 s28, s4, s7
	v_nop
	s_delay_alu instid0(TRANS32_DEP_1) | instskip(SKIP_1) | instid1(SALU_CYCLE_3)
	v_readfirstlane_b32 s5, v1
	s_mul_f32 s5, s5, 0x4f7ffffe
	s_cvt_u32_f32 s5, s5
	s_delay_alu instid0(SALU_CYCLE_3) | instskip(NEXT) | instid1(SALU_CYCLE_1)
	s_mul_i32 s6, s6, s5
	s_mul_hi_u32 s6, s5, s6
	s_delay_alu instid0(SALU_CYCLE_1) | instskip(NEXT) | instid1(SALU_CYCLE_1)
	s_add_co_i32 s5, s5, s6
	s_mul_hi_u32 s4, s8, s5
	s_xor_b32 s5, s23, s31
	s_mul_i32 s6, s4, s3
	s_ashr_i32 s25, s5, 31
	s_sub_co_i32 s5, s8, s6
	s_add_co_i32 s6, s4, 1
	s_sub_co_i32 s7, s5, s3
	s_cmp_ge_u32 s5, s3
	s_cselect_b32 s4, s6, s4
	s_cselect_b32 s5, s7, s5
	s_add_co_i32 s6, s4, 1
	s_cmp_ge_u32 s5, s3
	s_cselect_b32 s3, s6, s4
	s_load_b512 s[4:19], s[0:1], 0x0
	s_xor_b32 s3, s3, s25
	s_delay_alu instid0(SALU_CYCLE_1) | instskip(NEXT) | instid1(SALU_CYCLE_1)
	s_sub_co_i32 s3, s3, s25
	s_abs_i32 s33, s3
	s_delay_alu instid0(SALU_CYCLE_1) | instskip(NEXT) | instid1(SALU_CYCLE_3)
	s_cvt_f32_u32 s25, s33
	v_rcp_iflag_f32_e32 v1, s25
	v_nop
	s_delay_alu instid0(TRANS32_DEP_1)
	v_readfirstlane_b32 s25, v1
	s_wait_kmcnt 0x0
	s_cmp_eq_u64 s[10:11], 0
	s_cbranch_scc1 .LBB67_2
; %bb.1:
	s_abs_i32 s29, s38
	s_abs_i32 s31, s2
	s_cvt_f32_u32 s26, s29
	s_sub_co_i32 s27, 0, s29
	s_delay_alu instid0(SALU_CYCLE_2) | instskip(SKIP_1) | instid1(TRANS32_DEP_1)
	v_rcp_iflag_f32_e32 v1, s26
	v_nop
	v_readfirstlane_b32 s26, v1
	s_mul_f32 s26, s26, 0x4f7ffffe
	s_delay_alu instid0(SALU_CYCLE_3) | instskip(NEXT) | instid1(SALU_CYCLE_3)
	s_cvt_u32_f32 s26, s26
	s_mul_i32 s27, s27, s26
	s_delay_alu instid0(SALU_CYCLE_1) | instskip(NEXT) | instid1(SALU_CYCLE_1)
	s_mul_hi_u32 s27, s26, s27
	s_add_co_i32 s26, s26, s27
	s_delay_alu instid0(SALU_CYCLE_1) | instskip(SKIP_2) | instid1(SALU_CYCLE_1)
	s_mul_hi_u32 s34, s31, s26
	s_load_b64 s[26:27], s[0:1], 0xc8
	s_mul_i32 s34, s34, s29
	s_sub_co_i32 s31, s31, s34
	s_ashr_i32 s34, s2, 31
	s_sub_co_i32 s35, s31, s29
	s_cmp_ge_u32 s31, s29
	s_cselect_b32 s31, s35, s31
	s_delay_alu instid0(SALU_CYCLE_1) | instskip(SKIP_2) | instid1(SALU_CYCLE_1)
	s_sub_co_i32 s35, s31, s29
	s_cmp_ge_u32 s31, s29
	s_cselect_b32 s29, s35, s31
	s_xor_b32 s29, s29, s34
	s_delay_alu instid0(SALU_CYCLE_1) | instskip(NEXT) | instid1(SALU_CYCLE_1)
	s_sub_co_i32 s34, s29, s34
	s_ashr_i32 s35, s34, 31
	s_wait_kmcnt 0x0
	s_mul_u64 s[26:27], s[26:27], s[34:35]
	s_delay_alu instid0(SALU_CYCLE_1)
	s_add_nc_u64 s[34:35], s[10:11], s[26:27]
.LBB67_2:
	s_bfe_u32 s10, ttmp6, 0x4000c
	s_and_b32 s11, ttmp6, 15
	s_add_co_i32 s10, s10, 1
	v_bfe_u32 v1, v0, 10, 10
	s_mul_i32 s10, ttmp9, s10
	s_load_b96 s[40:42], s[0:1], 0x70
	s_add_co_i32 s11, s11, s10
	s_cmp_eq_u32 s24, 0
	v_and_b32_e32 v103, 0x3ff, v0
	s_cselect_b32 s10, ttmp9, s11
	v_lshl_add_u32 v105, v1, 10, 0x4200
	v_lshl_add_u32 v102, s10, 2, v1
	s_delay_alu instid0(VALU_DEP_3) | instskip(NEXT) | instid1(VALU_DEP_2)
	v_dual_mov_b32 v3, 0 :: v_dual_lshlrev_b32 v6, 4, v103
	v_mul_hi_u32 v2, s20, v102
	s_delay_alu instid0(VALU_DEP_2) | instskip(SKIP_3) | instid1(VALU_DEP_2)
	v_mov_b32_e32 v7, v3
	s_wait_kmcnt 0x0
	s_mul_i32 s20, s28, s41
	s_ashr_i32 s27, s41, 31
	v_add_nc_u32_e32 v2, v102, v2
	s_mov_b32 s26, s41
	s_ashr_i32 s41, s40, 31
	s_delay_alu instid0(SALU_CYCLE_1) | instskip(NEXT) | instid1(VALU_DEP_1)
	s_lshr_b64 s[40:41], s[40:41], 2
	v_lshrrev_b32_e32 v2, s21, v2
	s_ashr_i32 s21, s20, 31
	s_delay_alu instid0(VALU_DEP_1) | instskip(NEXT) | instid1(VALU_DEP_1)
	v_mul_lo_u32 v2, v2, s22
	v_sub_nc_u32_e32 v2, v102, v2
	s_delay_alu instid0(VALU_DEP_1) | instskip(SKIP_1) | instid1(SALU_CYCLE_1)
	v_mul_u64_e32 v[4:5], s[40:41], v[2:3]
	s_mul_i32 s40, s2, s42
	s_ashr_i32 s41, s40, 31
	s_delay_alu instid0(SALU_CYCLE_1) | instskip(NEXT) | instid1(SALU_CYCLE_1)
	s_add_nc_u64 s[4:5], s[4:5], s[40:41]
	s_add_nc_u64 s[4:5], s[4:5], s[20:21]
	s_delay_alu instid0(VALU_DEP_1) | instid1(SALU_CYCLE_1)
	v_lshl_add_u64 v[4:5], v[4:5], 2, s[4:5]
	s_and_b64 s[4:5], s[26:27], -4
	s_cmp_eq_u64 s[14:15], 0
	s_delay_alu instid0(VALU_DEP_1)
	v_add_nc_u64_e32 v[12:13], v[4:5], v[6:7]
	s_clause 0x1
	global_load_b128 v[4:7], v[12:13], off
	global_load_b128 v[8:11], v[12:13], off offset:512
	v_add_nc_u64_e32 v[20:21], s[4:5], v[12:13]
	s_load_b32 s4, s[0:1], 0x40
	s_clause 0x1
	global_load_b128 v[12:15], v[20:21], off
	global_load_b128 v[16:19], v[20:21], off offset:512
	s_wait_loadcnt 0x3
	s_wait_kmcnt 0x0
	v_fma_mixlo_f16 v3, s4, v4, 0
	v_fma_mixlo_f16 v4, s4, v5, 0
	v_lshlrev_b32_e32 v106, 3, v103
	v_fma_mixlo_f16 v5, s4, v6, 0
	v_fma_mixlo_f16 v6, s4, v7, 0
	s_wait_loadcnt 0x2
	v_fma_mixlo_f16 v7, s4, v8, 0
	v_fma_mixlo_f16 v8, s4, v9, 0
	;; [unrolled: 1-line block ×4, first 2 shown]
	v_dual_lshlrev_b32 v4, 16, v4 :: v_dual_add_nc_u32 v0, v105, v106
	s_delay_alu instid0(VALU_DEP_4)
	v_lshlrev_b32_e32 v8, 16, v8
	v_and_b32_e32 v3, 0xffff, v3
	v_lshlrev_b32_e32 v6, 16, v6
	v_and_b32_e32 v5, 0xffff, v5
	v_and_b32_e32 v7, 0xffff, v7
	v_lshlrev_b32_e32 v10, 16, v10
	v_and_b32_e32 v9, 0xffff, v9
	s_wait_loadcnt 0x1
	v_fma_mixlo_f16 v11, s4, v12, 0
	v_fma_mixlo_f16 v12, s4, v13, 0
	v_fma_mixlo_f16 v13, s4, v14, 0
	v_fma_mixlo_f16 v14, s4, v15, 0
	s_wait_loadcnt 0x0
	v_fma_mixlo_f16 v15, s4, v16, 0
	v_fma_mixlo_f16 v16, s4, v17, 0
	;; [unrolled: 1-line block ×4, first 2 shown]
	v_or_b32_e32 v3, v4, v3
	v_or3_b32 v5, v6, v5, 0
	v_or_b32_e32 v6, v8, v7
	v_or3_b32 v7, v10, v9, 0
	v_dual_lshlrev_b32 v8, 16, v12 :: v_dual_lshlrev_b32 v10, 16, v14
	v_and_b32_e32 v9, 0xffff, v11
	v_and_b32_e32 v11, 0xffff, v13
	v_dual_lshlrev_b32 v12, 16, v16 :: v_dual_lshlrev_b32 v14, 16, v18
	v_and_b32_e32 v13, 0xffff, v15
	v_and_b32_e32 v15, 0xffff, v17
	v_or3_b32 v4, 0, 0, v3
	v_or_b32_e32 v3, v8, v9
	v_or3_b32 v6, 0, 0, v6
	v_or_b32_e32 v12, v12, v13
	v_or3_b32 v9, v10, v11, 0
	v_or3_b32 v11, v14, v15, 0
	;; [unrolled: 1-line block ×3, first 2 shown]
	s_delay_alu instid0(VALU_DEP_4)
	v_or3_b32 v10, 0, 0, v12
	ds_store_2addr_b64 v0, v[4:5], v[6:7] offset1:32
	ds_store_2addr_b64 v0, v[8:9], v[10:11] offset0:64 offset1:96
	s_wait_dscnt 0x0
	s_barrier_signal -1
	s_barrier_wait -1
	s_cbranch_scc1 .LBB67_4
; %bb.3:
	s_load_b32 s4, s[0:1], 0xd0
	s_wait_kmcnt 0x0
	s_mul_i32 s4, s4, s2
	s_delay_alu instid0(SALU_CYCLE_1)
	s_add_co_i32 s4, s4, s10
	s_load_b32 s30, s[14:15], s4 offset:0x0 scale_offset
.LBB67_4:
	s_wait_xcnt 0x0
	s_bfe_u32 s4, ttmp6, 0x40010
	s_and_b32 s5, ttmp7, 0xffff
	s_add_co_i32 s4, s4, 1
	s_bfe_u32 s10, ttmp6, 0x40004
	s_mul_i32 s4, s5, s4
	v_lshlrev_b32_e32 v104, 2, v103
	s_add_co_i32 s10, s10, s4
	s_cmp_eq_u32 s24, 0
	v_mbcnt_lo_u32_b32 v107, -1, 0
	s_cselect_b32 s31, s5, s10
	s_mov_b32 s5, 0
	s_lshl_b32 s4, s31, 5
	s_wait_kmcnt 0x0
	s_cmp_lt_i32 s4, s30
	s_cbranch_scc1 .LBB67_7
; %bb.5:
	v_mbcnt_lo_u32_b32 v0, -1, 0
	s_delay_alu instid0(VALU_DEP_1)
	v_dual_mov_b32 v108, 32 :: v_dual_bitop2_b32 v132, 16, v0 bitop3:0x14
	v_xor_b32_e32 v128, 8, v0
	v_xor_b32_e32 v129, 4, v0
	;; [unrolled: 1-line block ×4, first 2 shown]
	s_and_not1_b32 vcc_lo, exec_lo, s5
	s_cbranch_vccz .LBB67_8
; %bb.6:
	v_dual_mov_b32 v101, 0xfeffffff :: v_dual_mov_b32 v40, 0
	v_dual_mov_b32 v81, 0 :: v_dual_mov_b32 v43, 0
	;; [unrolled: 1-line block ×3, first 2 shown]
	s_delay_alu instid0(VALU_DEP_2)
	v_dual_mov_b32 v100, v101 :: v_dual_mov_b32 v80, v81
	v_dual_mov_b32 v36, 0 :: v_dual_mov_b32 v39, 0
	;; [unrolled: 1-line block ×3, first 2 shown]
	s_branch .LBB67_20
.LBB67_7:
                                        ; implicit-def: $vgpr0
                                        ; implicit-def: $vgpr108
                                        ; implicit-def: $vgpr132
                                        ; implicit-def: $vgpr128
                                        ; implicit-def: $vgpr129
                                        ; implicit-def: $vgpr130
                                        ; implicit-def: $vgpr131
.LBB67_8:
	s_mul_f32 s5, s25, 0x4f7ffffe
	s_clause 0x1
	s_load_b128 s[24:27], s[0:1], 0x98
	s_load_b64 s[20:21], s[0:1], 0x8c
	s_sub_co_i32 s10, 0, s33
	s_ashr_i32 s15, s3, 31
	s_cvt_u32_f32 s5, s5
	s_abs_i32 s36, s28
	s_mov_b32 s11, s37
	s_ashr_i32 s14, s28, 31
	s_mul_i32 s10, s10, s5
	s_xor_b32 s15, s14, s15
	s_mul_hi_u32 s3, s5, s10
	s_ashr_i32 s40, s39, 1
	s_add_co_i32 s10, s5, s3
	s_ashr_i32 s3, s2, 31
	s_mul_u64 s[10:11], s[36:37], s[10:11]
	s_clause 0x1
	s_load_b64 s[38:39], s[0:1], 0xa8
	s_load_b32 s29, s[0:1], 0x54
	s_mul_i32 s5, s11, s33
	v_mad_u32 v119, v2, s40, v103
	s_sub_co_i32 s5, s36, s5
	s_wait_kmcnt 0x0
	s_ashr_i32 s10, s26, 2
	s_ashr_i32 s14, s20, 2
	s_add_co_i32 s36, s11, 1
	v_mul_lo_u32 v64, s14, v1
	s_sub_co_i32 s37, s5, s33
	s_cmp_ge_u32 s5, s33
	v_mul_lo_u32 v74, s10, v1
	s_cselect_b32 s11, s36, s11
	s_cselect_b32 s5, s37, s5
	s_add_co_i32 s36, s11, 1
	s_cmp_ge_u32 s5, s33
	s_mul_u64 s[24:25], s[24:25], s[2:3]
	s_cselect_b32 s5, s36, s11
	s_and_b32 s11, s20, -4
	s_xor_b32 s5, s5, s15
	v_add_nc_u32_e32 v66, s11, v64
	v_lshlrev_b32_e32 v68, 2, v104
	s_sub_co_i32 s5, s5, s15
	s_add_nc_u64 s[6:7], s[6:7], s[24:25]
	s_mul_i32 s24, s5, s21
	v_add_nc_u32_e32 v70, s11, v66
	s_mul_u64 s[20:21], s[38:39], s[2:3]
	s_and_b32 s3, s26, -4
	v_mad_u32_u24 v109, 0x210, v1, v68
	v_lshl_add_u32 v118, v1, 9, v68
	v_dual_mov_b32 v69, 0 :: v_dual_add_nc_u32 v72, s11, v70
	s_add_nc_u64 s[8:9], s[8:9], s[20:21]
	v_ashrrev_i32_e32 v71, 31, v70
	v_add_nc_u32_e32 v110, 0x840, v109
	s_delay_alu instid0(VALU_DEP_3) | instskip(SKIP_2) | instid1(VALU_DEP_2)
	v_add_nc_u32_e32 v76, s11, v72
	s_mul_i32 s20, s5, s27
	v_dual_ashrrev_i32 v65, 31, v64 :: v_dual_ashrrev_i32 v67, 31, v66
	v_dual_add_nc_u32 v82, s3, v74 :: v_dual_add_nc_u32 v78, s11, v76
	v_ashrrev_i32_e32 v73, 31, v72
	v_ashrrev_i32_e32 v77, 31, v76
	v_dual_mov_b32 v108, 32 :: v_dual_add_nc_u32 v111, 0x1080, v109
	s_delay_alu instid0(VALU_DEP_4) | instskip(SKIP_3) | instid1(VALU_DEP_4)
	v_add_nc_u32_e32 v84, s11, v78
	v_add_nc_u32_e32 v86, s3, v82
	v_ashrrev_i32_e32 v79, 31, v78
	v_dual_mov_b32 v37, v69 :: v_dual_add_nc_u32 v112, 0x18c0, v109
	v_dual_add_nc_u32 v88, s11, v84 :: v_dual_ashrrev_i32 v85, 31, v84
	s_delay_alu instid0(VALU_DEP_4) | instskip(SKIP_1) | instid1(VALU_DEP_3)
	v_add_nc_u32_e32 v90, s3, v86
	v_dual_mov_b32 v80, v69 :: v_dual_add_nc_u32 v113, 0x2100, v109
	v_ashrrev_i32_e32 v89, 31, v88
	v_dual_mov_b32 v81, v69 :: v_dual_add_nc_u32 v114, 0x2940, v109
	s_delay_alu instid0(VALU_DEP_4) | instskip(SKIP_3) | instid1(VALU_DEP_4)
	v_add_nc_u32_e32 v92, s3, v90
	v_ashrrev_i32_e32 v75, 31, v74
	v_dual_mov_b32 v38, v69 :: v_dual_add_nc_u32 v115, 0x3180, v109
	v_dual_mov_b32 v39, v69 :: v_dual_add_nc_u32 v116, 0x39c0, v109
	v_add_nc_u32_e32 v94, s3, v92
	v_mul_u32_u24_e32 v117, 0x210, v103
	v_lshl_add_u32 v120, v1, 7, 0x5200
	v_dual_mov_b32 v36, v69 :: v_dual_add_nc_u32 v121, 0x800, v118
	s_delay_alu instid0(VALU_DEP_4) | instskip(SKIP_2) | instid1(VALU_DEP_3)
	v_dual_add_nc_u32 v96, s3, v94 :: v_dual_ashrrev_i32 v95, 31, v94
	v_ashrrev_i32_e32 v87, 31, v86
	v_dual_ashrrev_i32 v83, 31, v82 :: v_dual_ashrrev_i32 v93, 31, v92
	v_add_nc_u32_e32 v98, s3, v96
	v_dual_mov_b32 v41, v69 :: v_dual_add_nc_u32 v122, 0x1000, v118
	v_dual_mov_b32 v42, v69 :: v_dual_add_nc_u32 v123, 0x1800, v118
	v_dual_ashrrev_i32 v91, 31, v90 :: v_dual_ashrrev_i32 v97, 31, v96
	v_dual_mov_b32 v43, v69 :: v_dual_add_nc_u32 v124, 0x2000, v118
	v_dual_mov_b32 v40, v69 :: v_dual_add_nc_u32 v125, 0x2800, v118
	v_add_nc_u32_e32 v126, 0x3000, v118
	v_add_nc_u32_e32 v127, 0x3800, v118
	v_dual_mov_b32 v32, 0xfeffffff :: v_dual_ashrrev_i32 v99, 31, v98
	v_mov_b32_e32 v33, 0xfeffffff
	s_ashr_i32 s25, s24, 31
	s_ashr_i32 s21, s20, 31
	s_add_nc_u64 s[6:7], s[6:7], s[24:25]
	s_add_nc_u64 s[8:9], s[8:9], s[20:21]
	s_ashr_i32 s15, s14, 31
	s_ashr_i32 s11, s10, 31
	s_add_nc_u64 s[20:21], s[0:1], 0xd0
	s_mov_b32 s3, 0xbbbac73d
.LBB67_9:                               ; =>This Inner Loop Header: Depth=1
	s_ashr_i32 s5, s4, 31
	v_mov_b32_e32 v52, 0
	s_mul_u64 s[24:25], s[4:5], s[14:15]
	s_delay_alu instid0(SALU_CYCLE_1) | instskip(NEXT) | instid1(SALU_CYCLE_1)
	s_lshl_b64 s[24:25], s[24:25], 2
	s_add_nc_u64 s[24:25], s[6:7], s[24:25]
	s_delay_alu instid0(SALU_CYCLE_1)
	v_lshl_add_u64 v[0:1], v[64:65], 2, s[24:25]
	v_lshl_add_u64 v[2:3], v[66:67], 2, s[24:25]
	v_lshl_add_u64 v[4:5], v[70:71], 2, s[24:25]
	v_lshl_add_u64 v[6:7], v[72:73], 2, s[24:25]
	v_lshl_add_u64 v[8:9], v[76:77], 2, s[24:25]
	v_lshl_add_u64 v[10:11], v[78:79], 2, s[24:25]
	v_add_nc_u64_e32 v[0:1], v[0:1], v[68:69]
	v_lshl_add_u64 v[12:13], v[84:85], 2, s[24:25]
	v_lshl_add_u64 v[14:15], v[88:89], 2, s[24:25]
	v_add_nc_u64_e32 v[16:17], v[2:3], v[68:69]
	v_add_nc_u64_e32 v[18:19], v[4:5], v[68:69]
	;; [unrolled: 1-line block ×7, first 2 shown]
	s_clause 0x7
	global_load_b128 v[0:3], v[0:1], off
	global_load_b128 v[4:7], v[16:17], off
	global_load_b128 v[8:11], v[18:19], off
	global_load_b128 v[12:15], v[20:21], off
	global_load_b128 v[16:19], v[22:23], off
	global_load_b128 v[20:23], v[24:25], off
	global_load_b128 v[24:27], v[26:27], off
	global_load_b128 v[28:31], v[28:29], off
	s_wait_loadcnt 0x7
	ds_store_b128 v109, v[0:3]
	s_wait_loadcnt 0x6
	ds_store_b128 v110, v[4:7]
	;; [unrolled: 2-line block ×8, first 2 shown]
	s_wait_dscnt 0x0
	s_barrier_signal -1
	s_barrier_wait -1
	ds_load_b128 v[2:5], v117
	ds_load_b128 v[6:9], v105
	ds_load_b128 v[10:13], v105 offset:512
	v_dual_mov_b32 v1, 0 :: v_dual_add_nc_u32 v0, s4, v119
	s_wait_dscnt 0x1
	;;#ASMSTART
	v_dot2_f32_f16 v1, v2, v6, v1
	;;#ASMEND
	;;#ASMSTART
	v_dot2_f32_f16 v1, v3, v7, v1
	;;#ASMEND
	;;#ASMSTART
	v_dot2_f32_f16 v1, v4, v8, v1
	;;#ASMEND
	;;#ASMSTART
	v_dot2_f32_f16 v1, v5, v9, v1
	;;#ASMEND
	s_wait_dscnt 0x0
	;;#ASMSTART
	v_dot2_f32_f16 v52, v2, v10, v52
	;;#ASMEND
	;;#ASMSTART
	v_dot2_f32_f16 v52, v3, v11, v52
	;;#ASMEND
	;;#ASMSTART
	v_dot2_f32_f16 v52, v4, v12, v52
	;;#ASMEND
	;;#ASMSTART
	v_dot2_f32_f16 v52, v5, v13, v52
	;;#ASMEND
	ds_load_b128 v[2:5], v117 offset:16
	ds_load_b128 v[6:9], v105 offset:16
	ds_load_b128 v[10:13], v105 offset:528
	s_wait_dscnt 0x1
	;;#ASMSTART
	v_dot2_f32_f16 v1, v2, v6, v1
	;;#ASMEND
	;;#ASMSTART
	v_dot2_f32_f16 v1, v3, v7, v1
	;;#ASMEND
	;;#ASMSTART
	v_dot2_f32_f16 v1, v4, v8, v1
	;;#ASMEND
	;;#ASMSTART
	v_dot2_f32_f16 v1, v5, v9, v1
	;;#ASMEND
	s_wait_dscnt 0x0
	;;#ASMSTART
	v_dot2_f32_f16 v52, v2, v10, v52
	;;#ASMEND
	;;#ASMSTART
	v_dot2_f32_f16 v52, v3, v11, v52
	;;#ASMEND
	;;#ASMSTART
	v_dot2_f32_f16 v52, v4, v12, v52
	;;#ASMEND
	;;#ASMSTART
	v_dot2_f32_f16 v52, v5, v13, v52
	;;#ASMEND
	ds_load_b128 v[2:5], v117 offset:32
	ds_load_b128 v[6:9], v105 offset:32
	ds_load_b128 v[10:13], v105 offset:544
	;; [unrolled: 29-line block ×31, first 2 shown]
	s_wait_dscnt 0x1
	;;#ASMSTART
	v_dot2_f32_f16 v1, v2, v6, v1
	;;#ASMEND
	;;#ASMSTART
	v_dot2_f32_f16 v1, v3, v7, v1
	;;#ASMEND
	;; [unrolled: 3-line block ×4, first 2 shown]
	s_wait_dscnt 0x0
	;;#ASMSTART
	v_dot2_f32_f16 v52, v2, v10, v52
	;;#ASMEND
	;;#ASMSTART
	v_dot2_f32_f16 v52, v3, v11, v52
	;;#ASMEND
	;; [unrolled: 3-line block ×4, first 2 shown]
	global_load_u16 v34, v0, s[34:35] scale_offset
	v_cmp_ngt_f32_e64 s24, 0x3f200000, |v1|
                                        ; implicit-def: $vgpr0
	s_wait_xcnt 0x0
	s_and_saveexec_b32 s25, s24
	s_delay_alu instid0(SALU_CYCLE_1)
	s_xor_b32 s24, exec_lo, s25
	s_cbranch_execz .LBB67_11
; %bb.10:                               ;   in Loop: Header=BB67_9 Depth=1
	v_add_f32_e64 v0, |v1|, |v1|
	s_delay_alu instid0(VALU_DEP_1) | instskip(SKIP_1) | instid1(VALU_DEP_2)
	v_mul_f32_e32 v2, 0x3fb8aa3b, v0
	v_cmp_ngt_f32_e32 vcc_lo, 0xc2ce8ed0, v0
	v_rndne_f32_e32 v3, v2
	v_fma_f32 v4, 0x3fb8aa3b, v0, -v2
	s_delay_alu instid0(VALU_DEP_2) | instskip(NEXT) | instid1(VALU_DEP_2)
	v_sub_f32_e32 v2, v2, v3
	v_fmac_f32_e32 v4, 0x32a5705f, v0
	v_cvt_i32_f32_e32 v3, v3
	s_delay_alu instid0(VALU_DEP_2) | instskip(NEXT) | instid1(VALU_DEP_1)
	v_add_f32_e32 v2, v2, v4
	v_exp_f32_e32 v2, v2
	v_nop
	s_delay_alu instid0(TRANS32_DEP_1) | instskip(NEXT) | instid1(VALU_DEP_1)
	v_ldexp_f32 v2, v2, v3
	v_cndmask_b32_e32 v2, 0, v2, vcc_lo
	v_cmp_nlt_f32_e32 vcc_lo, 0x42b17218, v0
	s_delay_alu instid0(VALU_DEP_2) | instskip(NEXT) | instid1(VALU_DEP_1)
	v_cndmask_b32_e32 v0, 0x7f800000, v2, vcc_lo
	v_add_f32_e32 v0, 1.0, v0
	s_delay_alu instid0(VALU_DEP_1) | instskip(SKIP_1) | instid1(TRANS32_DEP_1)
	v_rcp_f32_e32 v0, v0
	v_nop
	v_fma_f32 v0, v0, -2.0, 1.0
.LBB67_11:                              ;   in Loop: Header=BB67_9 Depth=1
	s_and_not1_saveexec_b32 s24, s24
	s_cbranch_execz .LBB67_13
; %bb.12:                               ;   in Loop: Header=BB67_9 Depth=1
	v_mul_f32_e32 v0, v1, v1
	s_delay_alu instid0(VALU_DEP_1) | instskip(NEXT) | instid1(VALU_DEP_1)
	v_fmaak_f32 v2, s3, v0, 0x3ca908c9
	v_fmaak_f32 v2, v0, v2, 0xbd5c1c4e
	s_delay_alu instid0(VALU_DEP_1) | instskip(NEXT) | instid1(VALU_DEP_1)
	v_fmaak_f32 v2, v0, v2, 0x3e088382
	v_fmaak_f32 v2, v0, v2, 0xbeaaaa99
	s_delay_alu instid0(VALU_DEP_1) | instskip(NEXT) | instid1(VALU_DEP_1)
	v_mul_f32_e64 v2, |v1|, v2
	v_fma_f32 v0, v0, v2, |v1|
.LBB67_13:                              ;   in Loop: Header=BB67_9 Depth=1
	s_or_b32 exec_lo, exec_lo, s24
	s_delay_alu instid0(VALU_DEP_1)
	v_bfi_b32 v0, 0x7fffffff, v0, v1
	v_dual_max_num_f32 v2, v32, v32 :: v_dual_bitop2_b32 v132, 16, v107 bitop3:0x14
	v_cmp_ngt_f32_e64 s24, 0x3f200000, |v52|
                                        ; implicit-def: $vgpr51
	v_xor_b32_e32 v129, 4, v107
	s_wait_loadcnt 0x0
	v_fma_mix_f32 v35, s29, v0, v34 op_sel_hi:[0,0,1]
	v_cmp_gt_i32_e32 vcc_lo, 32, v132
	v_xor_b32_e32 v130, 2, v107
	v_xor_b32_e32 v131, 1, v107
	s_delay_alu instid0(VALU_DEP_4) | instskip(NEXT) | instid1(VALU_DEP_1)
	v_dual_add_f32 v1, 0x40051340, v35 :: v_dual_cndmask_b32 v0, v107, v132
	v_dual_lshlrev_b32 v44, 2, v0 :: v_dual_max_num_f32 v0, v2, v1
	ds_bpermute_b32 v1, v44, v0
	s_wait_dscnt 0x0
	v_dual_max_num_f32 v1, v1, v1 :: v_dual_bitop2_b32 v128, 8, v107 bitop3:0x14
	s_delay_alu instid0(VALU_DEP_1) | instskip(NEXT) | instid1(VALU_DEP_2)
	v_cmp_gt_i32_e32 vcc_lo, 32, v128
	v_dual_max_num_f32 v0, v0, v1 :: v_dual_cndmask_b32 v2, v107, v128, vcc_lo
	v_cmp_gt_i32_e32 vcc_lo, 32, v129
	s_delay_alu instid0(VALU_DEP_2)
	v_dual_cndmask_b32 v2, v107, v129 :: v_dual_lshlrev_b32 v45, 2, v2
	v_cmp_gt_i32_e32 vcc_lo, 32, v130
	ds_bpermute_b32 v1, v45, v0
	v_lshlrev_b32_e32 v46, 2, v2
	v_cndmask_b32_e32 v2, v107, v130, vcc_lo
	v_cmp_gt_i32_e32 vcc_lo, 32, v131
	s_wait_dscnt 0x0
	s_delay_alu instid0(VALU_DEP_2) | instskip(NEXT) | instid1(VALU_DEP_1)
	v_dual_lshlrev_b32 v47, 2, v2 :: v_dual_max_num_f32 v1, v1, v1
	v_max_num_f32_e32 v0, v0, v1
	ds_bpermute_b32 v1, v46, v0
	s_wait_dscnt 0x0
	v_max_num_f32_e32 v1, v1, v1
	s_delay_alu instid0(VALU_DEP_1) | instskip(SKIP_3) | instid1(VALU_DEP_1)
	v_max_num_f32_e32 v0, v0, v1
	ds_bpermute_b32 v1, v47, v0
	s_wait_dscnt 0x0
	v_dual_cndmask_b32 v2, v107, v131 :: v_dual_max_num_f32 v1, v1, v1
	v_dual_max_num_f32 v48, v0, v1 :: v_dual_lshlrev_b32 v49, 2, v2
	ds_bpermute_b32 v50, v49, v48
	s_and_saveexec_b32 s25, s24
	s_delay_alu instid0(SALU_CYCLE_1)
	s_xor_b32 s24, exec_lo, s25
	s_cbranch_execz .LBB67_15
; %bb.14:                               ;   in Loop: Header=BB67_9 Depth=1
	v_add_f32_e64 v0, |v52|, |v52|
	s_delay_alu instid0(VALU_DEP_1) | instskip(SKIP_1) | instid1(VALU_DEP_2)
	v_mul_f32_e32 v1, 0x3fb8aa3b, v0
	v_cmp_ngt_f32_e32 vcc_lo, 0xc2ce8ed0, v0
	v_rndne_f32_e32 v2, v1
	v_fma_f32 v3, 0x3fb8aa3b, v0, -v1
	s_delay_alu instid0(VALU_DEP_2) | instskip(NEXT) | instid1(VALU_DEP_2)
	v_sub_f32_e32 v1, v1, v2
	v_fmac_f32_e32 v3, 0x32a5705f, v0
	v_cvt_i32_f32_e32 v2, v2
	s_delay_alu instid0(VALU_DEP_2) | instskip(NEXT) | instid1(VALU_DEP_1)
	v_add_f32_e32 v1, v1, v3
	v_exp_f32_e32 v1, v1
	v_nop
	s_delay_alu instid0(TRANS32_DEP_1) | instskip(NEXT) | instid1(VALU_DEP_1)
	v_ldexp_f32 v1, v1, v2
	v_cndmask_b32_e32 v1, 0, v1, vcc_lo
	v_cmp_nlt_f32_e32 vcc_lo, 0x42b17218, v0
	s_delay_alu instid0(VALU_DEP_2) | instskip(NEXT) | instid1(VALU_DEP_1)
	v_cndmask_b32_e32 v0, 0x7f800000, v1, vcc_lo
	v_add_f32_e32 v0, 1.0, v0
	s_delay_alu instid0(VALU_DEP_1) | instskip(SKIP_1) | instid1(TRANS32_DEP_1)
	v_rcp_f32_e32 v0, v0
	v_nop
	v_fma_f32 v51, v0, -2.0, 1.0
.LBB67_15:                              ;   in Loop: Header=BB67_9 Depth=1
	s_and_not1_saveexec_b32 s24, s24
	s_cbranch_execz .LBB67_17
; %bb.16:                               ;   in Loop: Header=BB67_9 Depth=1
	v_mul_f32_e32 v0, v52, v52
	s_delay_alu instid0(VALU_DEP_1) | instskip(NEXT) | instid1(VALU_DEP_1)
	v_fmaak_f32 v1, s3, v0, 0x3ca908c9
	v_fmaak_f32 v1, v0, v1, 0xbd5c1c4e
	s_delay_alu instid0(VALU_DEP_1) | instskip(NEXT) | instid1(VALU_DEP_1)
	v_fmaak_f32 v1, v0, v1, 0x3e088382
	v_fmaak_f32 v1, v0, v1, 0xbeaaaa99
	s_delay_alu instid0(VALU_DEP_1) | instskip(NEXT) | instid1(VALU_DEP_1)
	v_mul_f32_e64 v1, |v52|, v1
	v_fma_f32 v51, v0, v1, |v52|
.LBB67_17:                              ;   in Loop: Header=BB67_9 Depth=1
	s_or_b32 exec_lo, exec_lo, s24
	s_mul_u64 s[24:25], s[4:5], s[10:11]
	s_wait_dscnt 0x0
	s_lshl_b64 s[24:25], s[24:25], 2
	s_barrier_signal -1
	s_add_nc_u64 s[24:25], s[8:9], s[24:25]
	s_barrier_wait -1
	v_lshl_add_u64 v[2:3], v[82:83], 2, s[24:25]
	v_lshl_add_u64 v[4:5], v[86:87], 2, s[24:25]
	;; [unrolled: 1-line block ×5, first 2 shown]
	v_add_nc_u64_e32 v[6:7], v[2:3], v[68:69]
	v_lshl_add_u64 v[2:3], v[90:91], 2, s[24:25]
	v_add_nc_u64_e32 v[8:9], v[4:5], v[68:69]
	v_lshl_add_u64 v[4:5], v[92:93], 2, s[24:25]
	;; [unrolled: 2-line block ×3, first 2 shown]
	v_add_nc_u64_e32 v[16:17], v[2:3], v[68:69]
	v_add_nc_u64_e32 v[20:21], v[10:11], v[68:69]
	;; [unrolled: 1-line block ×5, first 2 shown]
	s_clause 0x7
	global_load_b128 v[0:3], v[0:1], off
	global_load_b128 v[4:7], v[6:7], off
	;; [unrolled: 1-line block ×8, first 2 shown]
	v_cvt_f32_f16_e32 v34, v34
	v_bfi_b32 v51, 0x7fffffff, v51, v52
	v_add_nc_u32_e32 v137, 0x1800, v106
	v_add_nc_u32_e32 v136, 0x2000, v106
	;; [unrolled: 1-line block ×4, first 2 shown]
	v_dual_fmac_f32 v34, s29, v51 :: v_dual_max_num_f32 v51, v33, v33
	v_add_nc_u32_e32 v133, 0x3800, v106
	s_delay_alu instid0(VALU_DEP_2) | instskip(NEXT) | instid1(VALU_DEP_1)
	v_add_f32_e32 v52, 0x40051340, v34
	v_max_num_f32_e32 v51, v51, v52
	ds_bpermute_b32 v44, v44, v51
	s_wait_dscnt 0x0
	v_max_num_f32_e32 v44, v44, v44
	s_delay_alu instid0(VALU_DEP_1) | instskip(SKIP_3) | instid1(VALU_DEP_1)
	v_max_num_f32_e32 v44, v51, v44
	ds_bpermute_b32 v45, v45, v44
	s_wait_dscnt 0x0
	v_max_num_f32_e32 v45, v45, v45
	v_max_num_f32_e32 v44, v44, v45
	ds_bpermute_b32 v45, v46, v44
	s_wait_dscnt 0x0
	v_dual_max_num_f32 v46, v50, v50 :: v_dual_max_num_f32 v45, v45, v45
	s_delay_alu instid0(VALU_DEP_1) | instskip(SKIP_2) | instid1(VALU_DEP_1)
	v_max_num_f32_e32 v44, v44, v45
	ds_bpermute_b32 v45, v47, v44
	v_max_num_f32_e32 v47, v48, v48
	v_max_num_f32_e32 v100, v47, v46
	s_delay_alu instid0(VALU_DEP_1) | instskip(NEXT) | instid1(VALU_DEP_1)
	v_dual_sub_f32 v32, v32, v100 :: v_dual_sub_f32 v35, v35, v100
	v_dual_mul_f32 v46, 0x3fb8aa3b, v32 :: v_dual_mul_f32 v47, 0x3fb8aa3b, v35
	v_cmp_ngt_f32_e32 vcc_lo, 0xc2ce8ed0, v32
	s_wait_dscnt 0x0
	v_max_num_f32_e32 v45, v45, v45
	s_delay_alu instid0(VALU_DEP_3) | instskip(SKIP_1) | instid1(VALU_DEP_3)
	v_fma_f32 v48, 0x3fb8aa3b, v32, -v46
	v_fma_f32 v50, 0x3fb8aa3b, v35, -v47
	v_max_num_f32_e32 v44, v44, v45
	s_delay_alu instid0(VALU_DEP_3) | instskip(NEXT) | instid1(VALU_DEP_3)
	v_fmac_f32_e32 v48, 0x32a5705f, v32
	v_fmac_f32_e32 v50, 0x32a5705f, v35
	ds_bpermute_b32 v45, v49, v44
	v_rndne_f32_e32 v49, v46
	s_wait_dscnt 0x0
	v_max_num_f32_e32 v45, v45, v45
	s_delay_alu instid0(VALU_DEP_1) | instskip(SKIP_3) | instid1(VALU_DEP_4)
	v_max_num_f32_e32 v101, v44, v45
	v_rndne_f32_e32 v44, v47
	v_sub_f32_e32 v45, v46, v49
	v_cvt_i32_f32_e32 v46, v49
	v_dual_sub_f32 v33, v33, v101 :: v_dual_sub_f32 v49, v34, v101
	s_delay_alu instid0(VALU_DEP_4) | instskip(NEXT) | instid1(VALU_DEP_4)
	v_sub_f32_e32 v34, v47, v44
	v_add_f32_e32 v45, v45, v48
	v_cvt_i32_f32_e32 v44, v44
	s_delay_alu instid0(VALU_DEP_4) | instskip(SKIP_1) | instid1(VALU_DEP_4)
	v_mul_f32_e32 v47, 0x3fb8aa3b, v33
	v_mul_f32_e32 v48, 0x3fb8aa3b, v49
	v_exp_f32_e32 v45, v45
	s_delay_alu instid0(VALU_DEP_2)
	v_rndne_f32_e32 v51, v47
	v_add_f32_e32 v34, v34, v50
	v_fma_f32 v50, 0x3fb8aa3b, v33, -v47
	v_fma_f32 v52, 0x3fb8aa3b, v49, -v48
	v_rndne_f32_e32 v53, v48
	v_sub_f32_e32 v54, v47, v51
	v_exp_f32_e32 v34, v34
	v_ldexp_f32 v45, v45, v46
	v_dual_fmac_f32 v50, 0x32a5705f, v33 :: v_dual_add_nc_u32 v47, v120, v104
	v_sub_f32_e32 v48, v48, v53
	s_delay_alu instid0(TRANS32_DEP_1) | instskip(NEXT) | instid1(VALU_DEP_4)
	v_ldexp_f32 v34, v34, v44
	v_cndmask_b32_e32 v45, 0, v45, vcc_lo
	v_cmp_ngt_f32_e32 vcc_lo, 0xc2ce8ed0, v35
	v_add_f32_e32 v44, v54, v50
	v_cvt_i32_f32_e32 v50, v53
	v_cndmask_b32_e32 v34, 0, v34, vcc_lo
	v_cmp_nlt_f32_e32 vcc_lo, 0x42b17218, v32
	s_delay_alu instid0(VALU_DEP_4)
	v_exp_f32_e32 v44, v44
	v_cndmask_b32_e32 v32, 0x7f800000, v45, vcc_lo
	v_cmp_nlt_f32_e32 vcc_lo, 0x42b17218, v35
	v_cndmask_b32_e32 v34, 0x7f800000, v34, vcc_lo
	v_cmp_ngt_f32_e32 vcc_lo, 0xc2ce8ed0, v33
	v_fmac_f32_e32 v52, 0x32a5705f, v49
	s_delay_alu instid0(VALU_DEP_1) | instskip(SKIP_1) | instid1(VALU_DEP_2)
	v_add_f32_e32 v46, v48, v52
	v_cvt_i32_f32_e32 v48, v51
	v_exp_f32_e32 v46, v46
	s_delay_alu instid0(VALU_DEP_1) | instskip(NEXT) | instid1(VALU_DEP_1)
	v_ldexp_f32 v44, v44, v48
	v_cndmask_b32_e32 v35, 0, v44, vcc_lo
	s_delay_alu instid0(TRANS32_DEP_1) | instskip(SKIP_2) | instid1(VALU_DEP_3)
	v_ldexp_f32 v45, v46, v50
	v_cmp_ngt_f32_e32 vcc_lo, 0xc2ce8ed0, v49
	v_cvt_f16_f32_e32 v46, v32
	v_cndmask_b32_e32 v44, 0, v45, vcc_lo
	v_cmp_nlt_f32_e32 vcc_lo, 0x42b17218, v33
	s_delay_alu instid0(VALU_DEP_3) | instskip(SKIP_3) | instid1(VALU_DEP_4)
	v_and_b32_e32 v46, 0xffff, v46
	v_add_nc_u32_e32 v45, 0x800, v106
	v_cndmask_b32_e32 v33, 0x7f800000, v35, vcc_lo
	v_cmp_nlt_f32_e32 vcc_lo, 0x42b17218, v49
	v_mul_u32_u24_e32 v46, 0x10001, v46
	v_cndmask_b32_e32 v35, 0x7f800000, v44, vcc_lo
	s_delay_alu instid0(VALU_DEP_2)
	v_pk_mul_f16 v43, v43, v46
	v_pk_mul_f16 v42, v42, v46
	v_pk_mul_f16 v41, v41, v46
	v_add_nc_u32_e32 v44, 0x1000, v106
	v_cvt_pk_f16_f32 v49, v34, v35
	v_pk_fma_f32 v[80:81], v[80:81], v[32:33], v[34:35]
	ds_store_b32 v47, v49
	s_wait_loadcnt 0x7
	ds_store_b128 v118, v[0:3]
	s_wait_loadcnt 0x6
	ds_store_b128 v121, v[4:7]
	;; [unrolled: 2-line block ×8, first 2 shown]
	s_wait_dscnt 0x0
	s_barrier_signal -1
	s_barrier_wait -1
	ds_load_b128 v[0:3], v120
	ds_load_2addr_b64 v[28:31], v106 offset1:32
	s_wait_dscnt 0x1
	v_and_b32_e32 v35, 0xffff, v0
	v_lshrrev_b32_e32 v0, 16, v0
	v_cvt_f16_f32_e32 v48, v33
	s_delay_alu instid0(VALU_DEP_3) | instskip(NEXT) | instid1(VALU_DEP_3)
	v_mul_u32_u24_e32 v35, 0x10001, v35
	v_mul_u32_u24_e32 v0, 0x10001, v0
	s_delay_alu instid0(VALU_DEP_3) | instskip(NEXT) | instid1(VALU_DEP_1)
	v_and_b32_e32 v48, 0xffff, v48
	v_mul_u32_u24_e32 v47, 0x10001, v48
	ds_load_b128 v[60:63], v120 offset:16
	ds_load_b128 v[24:27], v120 offset:32
	;; [unrolled: 1-line block ×3, first 2 shown]
	ds_load_2addr_b64 v[48:51], v106 offset0:64 offset1:96
	ds_load_2addr_b64 v[138:141], v106 offset0:128 offset1:160
	;; [unrolled: 1-line block ×3, first 2 shown]
	ds_load_2addr_b64 v[20:23], v45 offset1:32
	ds_load_2addr_b64 v[12:15], v45 offset0:64 offset1:96
	ds_load_2addr_b64 v[4:7], v45 offset0:128 offset1:160
	;; [unrolled: 1-line block ×3, first 2 shown]
	s_wait_dscnt 0xa
	v_pk_fma_f16 v45, v31, v35, v41
	v_lshrrev_b32_e32 v146, 16, v3
	v_pk_mul_f16 v32, v39, v47
	v_pk_mul_f16 v33, v38, v47
	;; [unrolled: 1-line block ×3, first 2 shown]
	v_lshrrev_b32_e32 v37, 16, v1
	v_pk_fma_f16 v38, v29, v35, v43
	v_pk_fma_f16 v39, v30, v35, v42
	v_pk_mul_f16 v35, v28, v35
	v_and_b32_e32 v1, 0xffff, v1
	v_pk_fma_f16 v29, v29, v0, v32
	v_pk_fma_f16 v30, v30, v0, v33
	;; [unrolled: 1-line block ×3, first 2 shown]
	v_pk_mul_f16 v0, v28, v0
	v_lshrrev_b32_e32 v28, 16, v2
	v_and_b32_e32 v2, 0xffff, v2
	v_mul_u32_u24_e32 v1, 0x10001, v1
	v_mul_u32_u24_e32 v37, 0x10001, v37
	v_pk_fma_f16 v46, v40, v46, v35
	v_and_b32_e32 v3, 0xffff, v3
	v_pk_fma_f16 v0, v36, v47, v0
	s_wait_dscnt 0x6
	v_pk_fma_f16 v36, v49, v1, v38
	v_pk_fma_f16 v29, v49, v37, v29
	;; [unrolled: 1-line block ×5, first 2 shown]
	v_mul_u32_u24_e32 v2, 0x10001, v2
	v_mul_u32_u24_e32 v28, 0x10001, v28
	v_pk_fma_f16 v30, v50, v37, v30
	v_pk_fma_f16 v31, v51, v37, v31
	;; [unrolled: 1-line block ×3, first 2 shown]
	v_and_b32_e32 v37, 0xffff, v60
	v_mul_u32_u24_e32 v3, 0x10001, v3
	s_wait_dscnt 0x5
	v_pk_fma_f16 v36, v139, v2, v36
	v_pk_fma_f16 v29, v139, v28, v29
	;; [unrolled: 1-line block ×5, first 2 shown]
	v_lshrrev_b32_e32 v2, 16, v60
	v_mul_u32_u24_e32 v146, 0x10001, v146
	v_pk_fma_f16 v30, v140, v28, v30
	v_pk_fma_f16 v31, v141, v28, v31
	;; [unrolled: 1-line block ×3, first 2 shown]
	v_mul_u32_u24_e32 v60, 0x10001, v37
	s_wait_dscnt 0x4
	v_pk_fma_f16 v138, v143, v3, v36
	v_pk_fma_f16 v139, v143, v146, v29
	;; [unrolled: 1-line block ×5, first 2 shown]
	v_and_b32_e32 v3, 0xffff, v61
	ds_load_2addr_b64 v[56:59], v44 offset1:32
	ds_load_2addr_b64 v[52:55], v44 offset0:64 offset1:96
	ds_load_2addr_b64 v[32:35], v44 offset0:128 offset1:160
	;; [unrolled: 1-line block ×3, first 2 shown]
	ds_load_2addr_b64 v[48:51], v137 offset1:32
	ds_load_2addr_b64 v[44:47], v137 offset0:64 offset1:96
	v_pk_fma_f16 v141, v144, v146, v30
	v_pk_fma_f16 v144, v145, v146, v31
	v_pk_fma_f16 v0, v142, v146, v0
	ds_load_2addr_b64 v[36:39], v137 offset0:128 offset1:160
	ds_load_2addr_b64 v[28:31], v137 offset0:192 offset1:224
	v_mul_u32_u24_e32 v2, 0x10001, v2
	s_wait_dscnt 0xb
	v_pk_fma_f16 v137, v21, v60, v138
	v_pk_fma_f16 v138, v22, v60, v140
	;; [unrolled: 1-line block ×4, first 2 shown]
	v_lshrrev_b32_e32 v60, 16, v61
	v_mul_u32_u24_e32 v3, 0x10001, v3
	v_pk_fma_f16 v61, v21, v2, v139
	v_pk_fma_f16 v139, v22, v2, v141
	;; [unrolled: 1-line block ×4, first 2 shown]
	v_and_b32_e32 v2, 0xffff, v62
	v_mul_u32_u24_e32 v60, 0x10001, v60
	s_wait_dscnt 0xa
	v_pk_fma_f16 v137, v13, v3, v137
	v_pk_fma_f16 v138, v14, v3, v138
	;; [unrolled: 1-line block ×4, first 2 shown]
	v_lshrrev_b32_e32 v3, 16, v62
	v_mul_u32_u24_e32 v2, 0x10001, v2
	v_pk_fma_f16 v61, v13, v60, v61
	v_pk_fma_f16 v62, v14, v60, v139
	;; [unrolled: 1-line block ×4, first 2 shown]
	v_lshrrev_b32_e32 v141, 16, v63
	v_and_b32_e32 v63, 0xffff, v63
	v_mul_u32_u24_e32 v142, 0x10001, v3
	s_wait_dscnt 0x9
	v_pk_fma_f16 v137, v5, v2, v137
	v_pk_fma_f16 v138, v6, v2, v138
	;; [unrolled: 1-line block ×3, first 2 shown]
	v_mul_u32_u24_e32 v63, 0x10001, v63
	v_pk_fma_f16 v61, v5, v142, v61
	v_pk_fma_f16 v62, v6, v142, v62
	v_pk_fma_f16 v139, v7, v142, v139
	v_pk_fma_f16 v60, v4, v142, v60
	v_and_b32_e32 v142, 0xffff, v24
	v_mul_u32_u24_e32 v141, 0x10001, v141
	v_lshrrev_b32_e32 v24, 16, v24
	ds_load_2addr_b64 v[20:23], v136 offset1:32
	ds_load_2addr_b64 v[12:15], v136 offset0:64 offset1:96
	v_pk_fma_f16 v143, v4, v2, v1
	ds_load_2addr_b64 v[0:3], v136 offset0:128 offset1:160
	ds_load_2addr_b64 v[4:7], v136 offset0:192 offset1:224
	v_mul_u32_u24_e32 v136, 0x10001, v142
	s_wait_dscnt 0xc
	v_pk_fma_f16 v137, v9, v63, v137
	v_pk_fma_f16 v61, v9, v141, v61
	v_pk_fma_f16 v138, v10, v63, v138
	v_pk_fma_f16 v62, v10, v141, v62
	v_pk_fma_f16 v140, v11, v63, v140
	v_pk_fma_f16 v139, v11, v141, v139
	v_pk_fma_f16 v60, v8, v141, v60
	v_lshrrev_b32_e32 v141, 16, v25
	v_and_b32_e32 v25, 0xffff, v25
	v_mul_u32_u24_e32 v24, 0x10001, v24
	v_pk_fma_f16 v63, v8, v63, v143
	s_wait_dscnt 0xb
	v_pk_fma_f16 v137, v57, v136, v137
	v_pk_fma_f16 v138, v58, v136, v138
	;; [unrolled: 1-line block ×3, first 2 shown]
	v_mul_u32_u24_e32 v25, 0x10001, v25
	v_mul_u32_u24_e32 v141, 0x10001, v141
	v_pk_fma_f16 v57, v57, v24, v61
	v_pk_fma_f16 v58, v58, v24, v62
	;; [unrolled: 1-line block ×5, first 2 shown]
	v_and_b32_e32 v136, 0xffff, v26
	s_wait_dscnt 0xa
	v_pk_fma_f16 v60, v53, v25, v137
	v_pk_fma_f16 v61, v53, v141, v57
	;; [unrolled: 1-line block ×7, first 2 shown]
	v_dual_lshrrev_b32 v141, 16, v26 :: v_dual_lshrrev_b32 v142, 16, v27
	v_pk_fma_f16 v63, v52, v25, v63
	v_mul_u32_u24_e32 v136, 0x10001, v136
	v_and_b32_e32 v143, 0xffff, v27
	s_delay_alu instid0(VALU_DEP_4)
	v_mul_u32_u24_e32 v141, 0x10001, v141
	v_mul_u32_u24_e32 v142, 0x10001, v142
	ds_load_2addr_b64 v[8:11], v135 offset1:32
	s_wait_dscnt 0xa
	v_pk_fma_f16 v60, v33, v136, v60
	v_pk_fma_f16 v62, v34, v136, v62
	;; [unrolled: 1-line block ×4, first 2 shown]
	v_and_b32_e32 v136, 0xffff, v16
	v_pk_fma_f16 v61, v33, v141, v61
	v_pk_fma_f16 v137, v34, v141, v137
	;; [unrolled: 1-line block ×4, first 2 shown]
	v_lshrrev_b32_e32 v16, 16, v16
	v_mul_u32_u24_e32 v141, 0x10001, v143
	v_mul_u32_u24_e32 v136, 0x10001, v136
	s_wait_dscnt 0x9
	v_pk_fma_f16 v61, v41, v142, v61
	v_pk_fma_f16 v137, v42, v142, v137
	v_mul_u32_u24_e32 v16, 0x10001, v16
	v_pk_fma_f16 v60, v41, v141, v60
	v_pk_fma_f16 v62, v42, v141, v62
	;; [unrolled: 1-line block ×6, first 2 shown]
	ds_load_b128 v[56:59], v120 offset:64
	ds_load_b128 v[52:55], v120 offset:80
	ds_load_2addr_b64 v[24:27], v135 offset0:64 offset1:96
	ds_load_2addr_b64 v[32:35], v135 offset0:128 offset1:160
	;; [unrolled: 1-line block ×3, first 2 shown]
	v_and_b32_e32 v135, 0xffff, v17
	s_wait_dscnt 0xd
	v_pk_fma_f16 v60, v49, v136, v60
	v_pk_fma_f16 v61, v49, v16, v61
	;; [unrolled: 1-line block ×8, first 2 shown]
	v_dual_lshrrev_b32 v16, 16, v17 :: v_dual_lshrrev_b32 v141, 16, v19
	v_lshrrev_b32_e32 v140, 16, v18
	v_mul_u32_u24_e32 v17, 0x10001, v135
	v_and_b32_e32 v135, 0xffff, v18
	s_delay_alu instid0(VALU_DEP_4)
	v_mul_u32_u24_e32 v143, 0x10001, v16
	v_and_b32_e32 v142, 0xffff, v19
	v_mul_u32_u24_e32 v140, 0x10001, v140
	s_wait_dscnt 0xc
	v_pk_fma_f16 v60, v45, v17, v60
	v_pk_fma_f16 v62, v46, v17, v62
	;; [unrolled: 1-line block ×4, first 2 shown]
	v_mul_u32_u24_e32 v135, 0x10001, v135
	v_pk_fma_f16 v61, v45, v143, v61
	v_pk_fma_f16 v137, v46, v143, v137
	;; [unrolled: 1-line block ×4, first 2 shown]
	s_wait_dscnt 0x4
	v_lshrrev_b32_e32 v143, 16, v56
	v_pk_fma_f16 v60, v37, v135, v60
	v_pk_fma_f16 v62, v38, v135, v62
	;; [unrolled: 1-line block ×4, first 2 shown]
	v_and_b32_e32 v56, 0xffff, v56
	v_pk_fma_f16 v61, v37, v140, v61
	v_pk_fma_f16 v135, v38, v140, v137
	;; [unrolled: 1-line block ×4, first 2 shown]
	v_mul_u32_u24_e32 v36, 0x10001, v142
	v_mul_u32_u24_e32 v141, 0x10001, v141
	v_lshrrev_b32_e32 v139, 16, v57
	v_and_b32_e32 v57, 0xffff, v57
	v_mul_u32_u24_e32 v56, 0x10001, v56
	v_pk_fma_f16 v60, v29, v36, v60
	v_pk_fma_f16 v62, v30, v36, v62
	v_pk_fma_f16 v138, v31, v36, v138
	v_pk_fma_f16 v63, v28, v36, v63
	v_pk_fma_f16 v61, v29, v141, v61
	v_pk_fma_f16 v135, v30, v141, v135
	v_pk_fma_f16 v137, v31, v141, v137
	v_pk_fma_f16 v136, v28, v141, v136
	v_mul_u32_u24_e32 v141, 0x10001, v143
	v_dual_lshrrev_b32 v140, 16, v58 :: v_dual_lshrrev_b32 v142, 16, v59
	v_and_b32_e32 v58, 0xffff, v58
	v_pk_fma_f16 v60, v21, v56, v60
	v_pk_fma_f16 v62, v22, v56, v62
	v_pk_fma_f16 v138, v23, v56, v138
	v_pk_fma_f16 v56, v20, v56, v63
	v_pk_fma_f16 v61, v21, v141, v61
	v_pk_fma_f16 v135, v22, v141, v135
	v_pk_fma_f16 v137, v23, v141, v137
	v_pk_fma_f16 v136, v20, v141, v136
	v_mul_u32_u24_e32 v57, 0x10001, v57
	v_mul_u32_u24_e32 v139, 0x10001, v139
	v_and_b32_e32 v59, 0xffff, v59
	v_mul_u32_u24_e32 v58, 0x10001, v58
	ds_load_2addr_b64 v[48:51], v134 offset1:32
	v_pk_fma_f16 v60, v13, v57, v60
	v_pk_fma_f16 v62, v14, v57, v62
	;; [unrolled: 1-line block ×8, first 2 shown]
	v_mul_u32_u24_e32 v137, 0x10001, v140
	ds_load_b128 v[16:19], v120 offset:96
	ds_load_b128 v[20:23], v120 offset:112
	ds_load_2addr_b64 v[44:47], v134 offset0:64 offset1:96
	ds_load_2addr_b64 v[36:39], v134 offset0:128 offset1:160
	;; [unrolled: 1-line block ×3, first 2 shown]
	s_wait_dscnt 0x9
	v_dual_lshrrev_b32 v134, 16, v52 :: v_dual_lshrrev_b32 v63, 16, v53
	v_and_b32_e32 v52, 0xffff, v52
	v_pk_fma_f16 v60, v1, v58, v60
	v_pk_fma_f16 v62, v2, v58, v62
	;; [unrolled: 1-line block ×4, first 2 shown]
	v_mul_u32_u24_e32 v59, 0x10001, v59
	v_mul_u32_u24_e32 v138, 0x10001, v142
	v_pk_fma_f16 v1, v1, v137, v13
	v_pk_fma_f16 v2, v2, v137, v14
	;; [unrolled: 1-line block ×4, first 2 shown]
	v_and_b32_e32 v53, 0xffff, v53
	v_mul_u32_u24_e32 v52, 0x10001, v52
	v_mul_u32_u24_e32 v134, 0x10001, v134
	v_pk_fma_f16 v12, v5, v59, v60
	v_pk_fma_f16 v1, v5, v138, v1
	;; [unrolled: 1-line block ×8, first 2 shown]
	v_dual_lshrrev_b32 v141, 16, v54 :: v_dual_lshrrev_b32 v143, 16, v55
	v_and_b32_e32 v54, 0xffff, v54
	v_mul_u32_u24_e32 v53, 0x10001, v53
	v_mul_u32_u24_e32 v63, 0x10001, v63
	v_pk_fma_f16 v1, v9, v134, v1
	v_pk_fma_f16 v2, v10, v134, v2
	;; [unrolled: 1-line block ×4, first 2 shown]
	v_and_b32_e32 v55, 0xffff, v55
	v_mul_u32_u24_e32 v54, 0x10001, v54
	v_mul_u32_u24_e32 v139, 0x10001, v141
	v_pk_fma_f16 v3, v11, v134, v3
	s_wait_dscnt 0x8
	v_pk_fma_f16 v1, v25, v63, v1
	v_pk_fma_f16 v2, v26, v63, v2
	;; [unrolled: 1-line block ×5, first 2 shown]
	s_wait_dscnt 0x4
	v_dual_lshrrev_b32 v57, 16, v16 :: v_dual_lshrrev_b32 v61, 16, v17
	v_and_b32_e32 v16, 0xffff, v16
	v_mul_u32_u24_e32 v55, 0x10001, v55
	v_mul_u32_u24_e32 v140, 0x10001, v143
	v_pk_fma_f16 v5, v10, v52, v5
	v_pk_fma_f16 v6, v11, v52, v6
	;; [unrolled: 1-line block ×8, first 2 shown]
	v_and_b32_e32 v17, 0xffff, v17
	v_mul_u32_u24_e32 v16, 0x10001, v16
	v_mul_u32_u24_e32 v57, 0x10001, v57
	v_pk_fma_f16 v5, v26, v53, v5
	v_pk_fma_f16 v6, v27, v53, v6
	;; [unrolled: 1-line block ×8, first 2 shown]
	v_dual_lshrrev_b32 v135, 16, v18 :: v_dual_lshrrev_b32 v11, 16, v19
	v_and_b32_e32 v18, 0xffff, v18
	v_mul_u32_u24_e32 v17, 0x10001, v17
	v_mul_u32_u24_e32 v61, 0x10001, v61
	v_pk_fma_f16 v5, v34, v54, v5
	v_pk_fma_f16 v6, v35, v54, v6
	v_pk_fma_f16 v3, v43, v140, v3
	v_pk_fma_f16 v1, v49, v57, v1
	v_pk_fma_f16 v2, v50, v57, v2
	v_pk_fma_f16 v7, v48, v16, v7
	v_pk_fma_f16 v0, v48, v57, v0
	v_pk_fma_f16 v4, v41, v55, v4
	v_mul_u32_u24_e32 v18, 0x10001, v18
	v_mul_u32_u24_e32 v135, 0x10001, v135
	v_pk_fma_f16 v5, v42, v55, v5
	v_pk_fma_f16 v6, v43, v55, v6
	;; [unrolled: 1-line block ×3, first 2 shown]
	s_wait_dscnt 0x2
	v_pk_fma_f16 v1, v45, v61, v1
	v_pk_fma_f16 v8, v46, v61, v2
	;; [unrolled: 1-line block ×8, first 2 shown]
	s_wait_dscnt 0x1
	v_pk_fma_f16 v9, v36, v18, v2
	v_pk_fma_f16 v10, v36, v135, v0
	;; [unrolled: 1-line block ×3, first 2 shown]
	ds_load_2addr_b64 v[0:3], v133 offset1:32
	v_and_b32_e32 v58, 0xffff, v19
	v_pk_fma_f16 v4, v45, v17, v4
	v_pk_fma_f16 v5, v46, v17, v5
	;; [unrolled: 1-line block ×3, first 2 shown]
	v_mul_u32_u24_e32 v11, 0x10001, v11
	v_mul_u32_u24_e32 v14, 0x10001, v58
	v_pk_fma_f16 v4, v37, v18, v4
	v_pk_fma_f16 v13, v38, v18, v5
	;; [unrolled: 1-line block ×3, first 2 shown]
	v_and_b32_e32 v18, 0xffff, v20
	v_lshrrev_b32_e32 v19, 16, v20
	v_pk_fma_f16 v16, v39, v135, v7
	s_wait_dscnt 0x1
	v_pk_fma_f16 v17, v29, v14, v4
	ds_load_2addr_b64 v[4:7], v133 offset0:64 offset1:96
	v_pk_fma_f16 v8, v38, v135, v8
	v_pk_fma_f16 v9, v28, v14, v9
	;; [unrolled: 1-line block ×3, first 2 shown]
	v_mul_u32_u24_e32 v18, 0x10001, v18
	v_mul_u32_u24_e32 v19, 0x10001, v19
	v_pk_fma_f16 v12, v29, v11, v12
	v_pk_fma_f16 v13, v30, v14, v13
	;; [unrolled: 1-line block ×5, first 2 shown]
	s_wait_dscnt 0x1
	v_pk_fma_f16 v16, v0, v18, v9
	v_pk_fma_f16 v0, v0, v19, v10
	v_and_b32_e32 v9, 0xffff, v21
	v_lshrrev_b32_e32 v10, 16, v21
	v_pk_fma_f16 v17, v1, v18, v17
	v_pk_fma_f16 v1, v1, v19, v12
	v_pk_fma_f16 v12, v2, v18, v13
	v_pk_fma_f16 v2, v2, v19, v8
	v_mul_u32_u24_e32 v13, 0x10001, v9
	v_mul_u32_u24_e32 v20, 0x10001, v10
	ds_load_2addr_b64 v[8:11], v133 offset0:128 offset1:160
	v_pk_fma_f16 v14, v3, v18, v14
	v_pk_fma_f16 v3, v3, v19, v15
	s_wait_dscnt 0x1
	v_pk_fma_f16 v15, v4, v13, v16
	v_pk_fma_f16 v4, v4, v20, v0
	;; [unrolled: 1-line block ×8, first 2 shown]
	ds_load_2addr_b64 v[0:3], v133 offset0:192 offset1:224
	s_wait_dscnt 0x0
	s_barrier_signal -1
	s_barrier_wait -1
	s_load_b32 s5, s[20:21], 0x4
	v_and_b32_e32 v17, 0xffff, v22
	v_lshrrev_b32_e32 v18, 16, v22
	s_delay_alu instid0(VALU_DEP_2) | instskip(NEXT) | instid1(VALU_DEP_2)
	v_mul_u32_u24_e32 v14, 0x10001, v17
	v_mul_u32_u24_e32 v17, 0x10001, v18
	v_lshrrev_b32_e32 v18, 16, v23
	s_delay_alu instid0(VALU_DEP_3) | instskip(NEXT) | instid1(VALU_DEP_3)
	v_pk_fma_f16 v15, v8, v14, v15
	v_pk_fma_f16 v4, v8, v17, v4
	v_and_b32_e32 v8, 0xffff, v23
	v_pk_fma_f16 v16, v9, v14, v16
	v_pk_fma_f16 v5, v9, v17, v5
	;; [unrolled: 1-line block ×3, first 2 shown]
	v_mul_u32_u24_e32 v12, 0x10001, v18
	v_mul_u32_u24_e32 v8, 0x10001, v8
	v_pk_fma_f16 v6, v10, v17, v6
	v_pk_fma_f16 v10, v11, v14, v13
	;; [unrolled: 1-line block ×3, first 2 shown]
	s_wait_kmcnt 0x0
	s_lshl_b32 s5, s5, 5
	v_pk_fma_f16 v40, v0, v8, v15
	v_pk_fma_f16 v36, v0, v12, v4
	;; [unrolled: 1-line block ×8, first 2 shown]
	s_add_co_i32 s4, s5, s4
	s_delay_alu instid0(SALU_CYCLE_1)
	s_cmp_ge_i32 s4, s30
	s_cbranch_scc1 .LBB67_19
; %bb.18:                               ;   in Loop: Header=BB67_9 Depth=1
	v_dual_mov_b32 v32, v100 :: v_dual_mov_b32 v33, v101
	s_branch .LBB67_9
.LBB67_19:
	v_mov_b32_e32 v0, v107
.LBB67_20:
	v_cmp_lt_i32_e32 vcc_lo, v132, v108
	s_cmp_lg_u64 s[12:13], 0
	s_cselect_b32 s3, -1, 0
	s_cmp_eq_u32 s31, 0
	v_cndmask_b32_e32 v1, v0, v132, vcc_lo
	v_cmp_lt_i32_e32 vcc_lo, v128, v108
	s_cselect_b32 s4, -1, 0
	s_delay_alu instid0(SALU_CYCLE_1) | instskip(NEXT) | instid1(VALU_DEP_2)
	s_and_b32 s3, s4, s3
	v_lshlrev_b32_e32 v1, 2, v1
	ds_bpermute_b32 v2, v1, v80
	ds_bpermute_b32 v3, v1, v81
	v_cndmask_b32_e32 v1, v0, v128, vcc_lo
	v_cmp_lt_i32_e32 vcc_lo, v129, v108
	s_delay_alu instid0(VALU_DEP_2)
	v_lshlrev_b32_e32 v1, 2, v1
	s_wait_dscnt 0x0
	v_pk_add_f32 v[2:3], v[80:81], v[2:3]
	ds_bpermute_b32 v4, v1, v2
	ds_bpermute_b32 v5, v1, v3
	v_cndmask_b32_e32 v1, v0, v129, vcc_lo
	v_cmp_lt_i32_e32 vcc_lo, v130, v108
	s_delay_alu instid0(VALU_DEP_2)
	v_lshlrev_b32_e32 v1, 2, v1
	s_wait_dscnt 0x0
	v_pk_add_f32 v[2:3], v[2:3], v[4:5]
	ds_bpermute_b32 v4, v1, v2
	ds_bpermute_b32 v5, v1, v3
	v_cndmask_b32_e32 v1, v0, v130, vcc_lo
	v_cmp_lt_i32_e32 vcc_lo, v131, v108
	s_delay_alu instid0(VALU_DEP_2) | instskip(SKIP_1) | instid1(VALU_DEP_1)
	v_dual_cndmask_b32 v0, v0, v131 :: v_dual_lshlrev_b32 v1, 2, v1
	s_and_b32 vcc_lo, exec_lo, s3
	v_lshlrev_b32_e32 v6, 2, v0
	s_wait_dscnt 0x0
	v_pk_add_f32 v[2:3], v[2:3], v[4:5]
	ds_bpermute_b32 v4, v1, v2
	ds_bpermute_b32 v5, v1, v3
	s_wait_dscnt 0x0
	v_pk_add_f32 v[0:1], v[2:3], v[4:5]
	ds_bpermute_b32 v2, v6, v0
	ds_bpermute_b32 v3, v6, v1
	s_wait_dscnt 0x0
	v_pk_add_f32 v[0:1], v[0:1], v[2:3]
	s_cbranch_vccz .LBB67_22
; %bb.21:
	s_ashr_i32 s29, s28, 31
	v_dual_mov_b32 v2, 0 :: v_dual_max_num_f32 v4, v100, v100
	s_lshl_b64 s[4:5], s[28:29], 2
	v_max_num_f32_e32 v6, v101, v101
	s_add_nc_u64 s[4:5], s[12:13], s[4:5]
	global_load_b64 v[2:3], v2, s[4:5]
	s_wait_loadcnt 0x0
	v_dual_max_num_f32 v5, v2, v2 :: v_dual_max_num_f32 v7, v3, v3
	s_delay_alu instid0(VALU_DEP_1) | instskip(NEXT) | instid1(VALU_DEP_1)
	v_dual_max_num_f32 v4, v4, v5 :: v_dual_max_num_f32 v5, v6, v7
	v_dual_sub_f32 v6, v100, v4 :: v_dual_sub_f32 v7, v2, v4
	s_delay_alu instid0(VALU_DEP_2) | instskip(SKIP_1) | instid1(VALU_DEP_3)
	v_dual_sub_f32 v8, v101, v5 :: v_dual_sub_f32 v9, v3, v5
	v_mov_b64_e32 v[100:101], v[4:5]
	v_dual_mul_f32 v2, 0x3fb8aa3b, v6 :: v_dual_mul_f32 v3, 0x3fb8aa3b, v7
	s_delay_alu instid0(VALU_DEP_3) | instskip(SKIP_1) | instid1(VALU_DEP_3)
	v_mul_f32_e32 v10, 0x3fb8aa3b, v8
	v_cmp_ngt_f32_e32 vcc_lo, 0xc2ce8ed0, v6
	v_fma_f32 v12, 0x3fb8aa3b, v6, -v2
	v_rndne_f32_e32 v13, v2
	v_rndne_f32_e32 v15, v3
	v_fma_f32 v14, 0x3fb8aa3b, v7, -v3
	v_fma_f32 v16, 0x3fb8aa3b, v8, -v10
	v_fmac_f32_e32 v12, 0x32a5705f, v6
	s_delay_alu instid0(VALU_DEP_4) | instskip(SKIP_3) | instid1(VALU_DEP_4)
	v_dual_sub_f32 v2, v2, v13 :: v_dual_sub_f32 v3, v3, v15
	v_mul_f32_e32 v11, 0x3fb8aa3b, v9
	v_rndne_f32_e32 v17, v10
	v_fmac_f32_e32 v14, 0x32a5705f, v7
	v_add_f32_e32 v2, v2, v12
	v_fmac_f32_e32 v16, 0x32a5705f, v8
	v_fma_f32 v18, 0x3fb8aa3b, v9, -v11
	v_rndne_f32_e32 v19, v11
	v_cvt_i32_f32_e32 v12, v13
	v_exp_f32_e32 v2, v2
	s_delay_alu instid0(VALU_DEP_3) | instskip(NEXT) | instid1(VALU_DEP_3)
	v_dual_add_f32 v3, v3, v14 :: v_dual_fmac_f32 v18, 0x32a5705f, v9
	v_dual_sub_f32 v11, v11, v19 :: v_dual_sub_f32 v10, v10, v17
	v_cvt_i32_f32_e32 v13, v17
	s_delay_alu instid0(VALU_DEP_3) | instskip(NEXT) | instid1(TRANS32_DEP_2)
	v_exp_f32_e32 v3, v3
	v_ldexp_f32 v2, v2, v12
	s_delay_alu instid0(VALU_DEP_3) | instskip(SKIP_2) | instid1(VALU_DEP_4)
	v_dual_add_f32 v11, v11, v18 :: v_dual_add_f32 v10, v10, v16
	v_cvt_i32_f32_e32 v14, v15
	v_cvt_i32_f32_e32 v12, v19
	v_cndmask_b32_e32 v2, 0, v2, vcc_lo
	v_cmp_ngt_f32_e32 vcc_lo, 0xc2ce8ed0, v8
	v_exp_f32_e32 v10, v10
	v_exp_f32_e32 v11, v11
	s_delay_alu instid0(TRANS32_DEP_2) | instskip(NEXT) | instid1(TRANS32_DEP_1)
	v_ldexp_f32 v10, v10, v13
	v_ldexp_f32 v11, v11, v12
	s_delay_alu instid0(VALU_DEP_2) | instskip(SKIP_4) | instid1(VALU_DEP_2)
	v_cndmask_b32_e32 v10, 0, v10, vcc_lo
	v_cmp_nlt_f32_e32 vcc_lo, 0x42b17218, v6
	v_ldexp_f32 v6, v3, v14
	v_cndmask_b32_e32 v2, 0x7f800000, v2, vcc_lo
	v_cmp_nlt_f32_e32 vcc_lo, 0x42b17218, v8
	v_cvt_f16_f32_e32 v8, v2
	v_cndmask_b32_e32 v3, 0x7f800000, v10, vcc_lo
	v_cmp_ngt_f32_e32 vcc_lo, 0xc2ce8ed0, v7
	s_delay_alu instid0(VALU_DEP_3) | instskip(SKIP_2) | instid1(VALU_DEP_3)
	v_and_b32_e32 v8, 0xffff, v8
	v_cndmask_b32_e32 v6, 0, v6, vcc_lo
	v_cmp_ngt_f32_e32 vcc_lo, 0xc2ce8ed0, v9
	v_mul_u32_u24_e32 v8, 0x10001, v8
	v_cndmask_b32_e32 v10, 0, v11, vcc_lo
	v_cmp_nlt_f32_e32 vcc_lo, 0x42b17218, v7
	v_cvt_f16_f32_e32 v11, v3
	s_delay_alu instid0(VALU_DEP_4)
	v_pk_mul_f16 v40, v40, v8
	v_pk_mul_f16 v43, v43, v8
	;; [unrolled: 1-line block ×3, first 2 shown]
	v_cndmask_b32_e32 v6, 0x7f800000, v6, vcc_lo
	v_cmp_nlt_f32_e32 vcc_lo, 0x42b17218, v9
	v_and_b32_e32 v9, 0xffff, v11
	v_pk_mul_f16 v41, v41, v8
	v_cndmask_b32_e32 v7, 0x7f800000, v10, vcc_lo
	s_delay_alu instid0(VALU_DEP_1) | instskip(NEXT) | instid1(VALU_DEP_4)
	v_pk_fma_f32 v[0:1], v[0:1], v[2:3], v[6:7]
	v_mul_u32_u24_e32 v2, 0x10001, v9
	s_delay_alu instid0(VALU_DEP_1)
	v_pk_mul_f16 v36, v36, v2
	v_pk_mul_f16 v39, v39, v2
	;; [unrolled: 1-line block ×4, first 2 shown]
.LBB67_22:
	s_mov_b32 s3, exec_lo
	v_cmpx_gt_i32_e64 s22, v102
	s_cbranch_execz .LBB67_31
; %bb.23:
	s_load_b32 s0, s[0:1], 0xd4
	v_mov_b32_e32 v2, 1.0
	s_wait_kmcnt 0x0
	s_cmp_lg_u32 s0, 1
	s_cselect_b32 s3, -1, 0
	s_cmp_eq_u32 s0, 1
	s_cselect_b32 s1, -1, 0
	s_and_b32 vcc_lo, exec_lo, s3
	s_cbranch_vccnz .LBB67_25
; %bb.24:
	v_div_scale_f32 v2, null, v0, v0, 1.0
	s_delay_alu instid0(VALU_DEP_1) | instskip(SKIP_1) | instid1(TRANS32_DEP_1)
	v_rcp_f32_e32 v3, v2
	v_nop
	v_fma_f32 v4, -v2, v3, 1.0
	s_delay_alu instid0(VALU_DEP_1) | instskip(SKIP_1) | instid1(VALU_DEP_1)
	v_fmac_f32_e32 v3, v4, v3
	v_div_scale_f32 v4, vcc_lo, 1.0, v0, 1.0
	v_mul_f32_e32 v5, v4, v3
	s_delay_alu instid0(VALU_DEP_1) | instskip(NEXT) | instid1(VALU_DEP_1)
	v_fma_f32 v6, -v2, v5, v4
	v_fmac_f32_e32 v5, v6, v3
	s_delay_alu instid0(VALU_DEP_1) | instskip(NEXT) | instid1(VALU_DEP_1)
	v_fma_f32 v2, -v2, v5, v4
	v_div_fmas_f32 v2, v2, v3, v5
	s_delay_alu instid0(VALU_DEP_1)
	v_div_fixup_f32 v2, v2, v0, 1.0
.LBB67_25:
	v_mad_u32 v3, s2, s22, v102
	v_dual_mov_b32 v11, 0 :: v_dual_lshrrev_b32 v5, 16, v40
	v_dual_lshrrev_b32 v7, 16, v43 :: v_dual_lshrrev_b32 v9, 16, v42
	v_lshrrev_b32_e32 v13, 16, v41
	v_cvt_f32_f16_e32 v4, v40
	v_cvt_f32_f16_e32 v6, v43
	;; [unrolled: 1-line block ×5, first 2 shown]
	v_mad_u32 v3, v3, s23, s28
	v_cvt_f32_f16_e32 v12, v41
	v_cvt_f32_f16_e32 v9, v9
	;; [unrolled: 1-line block ×3, first 2 shown]
	v_cmp_eq_u32_e32 vcc_lo, 0, v103
	s_and_b32 s2, vcc_lo, s3
	v_mad_u32 v3, s0, v3, s31
	s_delay_alu instid0(VALU_DEP_1) | instskip(SKIP_3) | instid1(VALU_DEP_4)
	v_lshl_add_u32 v10, v3, 8, v104
	v_pk_mul_f32 v[4:5], v[2:3], v[4:5] op_sel_hi:[0,1]
	v_pk_mul_f32 v[6:7], v[2:3], v[6:7] op_sel_hi:[0,1]
	;; [unrolled: 1-line block ×3, first 2 shown]
	v_lshl_add_u64 v[14:15], v[10:11], 2, s[16:17]
	v_add_nc_u32_e32 v10, 0x80, v10
	s_delay_alu instid0(VALU_DEP_1)
	v_lshl_add_u64 v[16:17], v[10:11], 2, s[16:17]
	v_pk_mul_f32 v[10:11], v[2:3], v[12:13] op_sel_hi:[0,1]
	s_clause 0x1
	global_store_b128 v[14:15], v[4:7], off
	global_store_b128 v[16:17], v[8:11], off
	s_wait_xcnt 0x0
	s_and_saveexec_b32 s3, s2
	s_cbranch_execz .LBB67_27
; %bb.26:
	v_dual_mov_b32 v4, v100 :: v_dual_mov_b32 v5, v0
	global_store_b64 v3, v[4:5], s[18:19] scale_offset
.LBB67_27:
	s_wait_xcnt 0x0
	s_or_b32 exec_lo, exec_lo, s3
	v_mov_b32_e32 v0, 1.0
	s_and_not1_b32 vcc_lo, exec_lo, s1
	s_cbranch_vccnz .LBB67_29
; %bb.28:
	v_div_scale_f32 v0, null, v1, v1, 1.0
	s_delay_alu instid0(VALU_DEP_1) | instskip(SKIP_1) | instid1(TRANS32_DEP_1)
	v_rcp_f32_e32 v2, v0
	v_nop
	v_fma_f32 v4, -v0, v2, 1.0
	s_delay_alu instid0(VALU_DEP_1) | instskip(SKIP_1) | instid1(VALU_DEP_1)
	v_fmac_f32_e32 v2, v4, v2
	v_div_scale_f32 v4, vcc_lo, 1.0, v1, 1.0
	v_mul_f32_e32 v5, v4, v2
	s_delay_alu instid0(VALU_DEP_1) | instskip(NEXT) | instid1(VALU_DEP_1)
	v_fma_f32 v6, -v0, v5, v4
	v_fmac_f32_e32 v5, v6, v2
	s_delay_alu instid0(VALU_DEP_1) | instskip(NEXT) | instid1(VALU_DEP_1)
	v_fma_f32 v0, -v0, v5, v4
	v_div_fmas_f32 v0, v0, v2, v5
	s_delay_alu instid0(VALU_DEP_1)
	v_div_fixup_f32 v0, v0, v1, 1.0
.LBB67_29:
	v_dual_mov_b32 v9, 0 :: v_dual_add_nc_u32 v2, s0, v3
	v_dual_lshrrev_b32 v3, 16, v36 :: v_dual_lshrrev_b32 v6, 16, v39
	v_dual_lshrrev_b32 v10, 16, v38 :: v_dual_lshrrev_b32 v14, 16, v37
	s_delay_alu instid0(VALU_DEP_3) | instskip(SKIP_1) | instid1(VALU_DEP_4)
	v_lshl_add_u32 v8, v2, 8, v104
	v_cvt_f32_f16_e32 v4, v36
	v_cvt_f32_f16_e32 v5, v3
	;; [unrolled: 1-line block ×4, first 2 shown]
	v_lshl_add_u64 v[12:13], v[8:9], 2, s[16:17]
	v_add_nc_u32_e32 v8, 0x80, v8
	v_cvt_f32_f16_e32 v11, v10
	v_cvt_f32_f16_e32 v10, v38
	v_cvt_f32_f16_e32 v15, v14
	v_cvt_f32_f16_e32 v14, v37
	v_pk_mul_f32 v[4:5], v[0:1], v[4:5] op_sel_hi:[0,1]
	v_pk_mul_f32 v[6:7], v[0:1], v[6:7] op_sel_hi:[0,1]
	v_lshl_add_u64 v[16:17], v[8:9], 2, s[16:17]
	v_pk_mul_f32 v[8:9], v[0:1], v[10:11] op_sel_hi:[0,1]
	v_pk_mul_f32 v[10:11], v[0:1], v[14:15] op_sel_hi:[0,1]
	s_clause 0x1
	global_store_b128 v[12:13], v[4:7], off
	global_store_b128 v[16:17], v[8:11], off
	s_wait_xcnt 0x0
	s_and_b32 exec_lo, exec_lo, s2
	s_cbranch_execz .LBB67_31
; %bb.30:
	v_mov_b32_e32 v0, v101
	global_store_b64 v2, v[0:1], s[18:19] scale_offset
.LBB67_31:
	s_sendmsg sendmsg(MSG_DEALLOC_VGPRS)
	s_endpgm
	.section	.rodata,"a",@progbits
	.p2align	6, 0x0
	.amdhsa_kernel _ZL15flash_attn_tileILi256ELi256ELi4ELi2ELb1EEvPKcS1_S1_S1_S1_PKiPfP15HIP_vector_typeIfLj2EEffffjfiS5_IjLj3EEiiiiiiiiiiiliiliiiiil
		.amdhsa_group_segment_fixed_size 21504
		.amdhsa_private_segment_fixed_size 0
		.amdhsa_kernarg_size 464
		.amdhsa_user_sgpr_count 2
		.amdhsa_user_sgpr_dispatch_ptr 0
		.amdhsa_user_sgpr_queue_ptr 0
		.amdhsa_user_sgpr_kernarg_segment_ptr 1
		.amdhsa_user_sgpr_dispatch_id 0
		.amdhsa_user_sgpr_kernarg_preload_length 0
		.amdhsa_user_sgpr_kernarg_preload_offset 0
		.amdhsa_user_sgpr_private_segment_size 0
		.amdhsa_wavefront_size32 1
		.amdhsa_uses_dynamic_stack 0
		.amdhsa_enable_private_segment 0
		.amdhsa_system_sgpr_workgroup_id_x 1
		.amdhsa_system_sgpr_workgroup_id_y 1
		.amdhsa_system_sgpr_workgroup_id_z 1
		.amdhsa_system_sgpr_workgroup_info 0
		.amdhsa_system_vgpr_workitem_id 1
		.amdhsa_next_free_vgpr 147
		.amdhsa_next_free_sgpr 43
		.amdhsa_named_barrier_count 0
		.amdhsa_reserve_vcc 1
		.amdhsa_float_round_mode_32 0
		.amdhsa_float_round_mode_16_64 0
		.amdhsa_float_denorm_mode_32 3
		.amdhsa_float_denorm_mode_16_64 3
		.amdhsa_fp16_overflow 0
		.amdhsa_memory_ordered 1
		.amdhsa_forward_progress 1
		.amdhsa_inst_pref_size 81
		.amdhsa_round_robin_scheduling 0
		.amdhsa_exception_fp_ieee_invalid_op 0
		.amdhsa_exception_fp_denorm_src 0
		.amdhsa_exception_fp_ieee_div_zero 0
		.amdhsa_exception_fp_ieee_overflow 0
		.amdhsa_exception_fp_ieee_underflow 0
		.amdhsa_exception_fp_ieee_inexact 0
		.amdhsa_exception_int_div_zero 0
	.end_amdhsa_kernel
	.section	.text._ZL15flash_attn_tileILi256ELi256ELi4ELi2ELb1EEvPKcS1_S1_S1_S1_PKiPfP15HIP_vector_typeIfLj2EEffffjfiS5_IjLj3EEiiiiiiiiiiiliiliiiiil,"axG",@progbits,_ZL15flash_attn_tileILi256ELi256ELi4ELi2ELb1EEvPKcS1_S1_S1_S1_PKiPfP15HIP_vector_typeIfLj2EEffffjfiS5_IjLj3EEiiiiiiiiiiiliiliiiiil,comdat
.Lfunc_end67:
	.size	_ZL15flash_attn_tileILi256ELi256ELi4ELi2ELb1EEvPKcS1_S1_S1_S1_PKiPfP15HIP_vector_typeIfLj2EEffffjfiS5_IjLj3EEiiiiiiiiiiiliiliiiiil, .Lfunc_end67-_ZL15flash_attn_tileILi256ELi256ELi4ELi2ELb1EEvPKcS1_S1_S1_S1_PKiPfP15HIP_vector_typeIfLj2EEffffjfiS5_IjLj3EEiiiiiiiiiiiliiliiiiil
                                        ; -- End function
	.set _ZL15flash_attn_tileILi256ELi256ELi4ELi2ELb1EEvPKcS1_S1_S1_S1_PKiPfP15HIP_vector_typeIfLj2EEffffjfiS5_IjLj3EEiiiiiiiiiiiliiliiiiil.num_vgpr, 147
	.set _ZL15flash_attn_tileILi256ELi256ELi4ELi2ELb1EEvPKcS1_S1_S1_S1_PKiPfP15HIP_vector_typeIfLj2EEffffjfiS5_IjLj3EEiiiiiiiiiiiliiliiiiil.num_agpr, 0
	.set _ZL15flash_attn_tileILi256ELi256ELi4ELi2ELb1EEvPKcS1_S1_S1_S1_PKiPfP15HIP_vector_typeIfLj2EEffffjfiS5_IjLj3EEiiiiiiiiiiiliiliiiiil.numbered_sgpr, 43
	.set _ZL15flash_attn_tileILi256ELi256ELi4ELi2ELb1EEvPKcS1_S1_S1_S1_PKiPfP15HIP_vector_typeIfLj2EEffffjfiS5_IjLj3EEiiiiiiiiiiiliiliiiiil.num_named_barrier, 0
	.set _ZL15flash_attn_tileILi256ELi256ELi4ELi2ELb1EEvPKcS1_S1_S1_S1_PKiPfP15HIP_vector_typeIfLj2EEffffjfiS5_IjLj3EEiiiiiiiiiiiliiliiiiil.private_seg_size, 0
	.set _ZL15flash_attn_tileILi256ELi256ELi4ELi2ELb1EEvPKcS1_S1_S1_S1_PKiPfP15HIP_vector_typeIfLj2EEffffjfiS5_IjLj3EEiiiiiiiiiiiliiliiiiil.uses_vcc, 1
	.set _ZL15flash_attn_tileILi256ELi256ELi4ELi2ELb1EEvPKcS1_S1_S1_S1_PKiPfP15HIP_vector_typeIfLj2EEffffjfiS5_IjLj3EEiiiiiiiiiiiliiliiiiil.uses_flat_scratch, 0
	.set _ZL15flash_attn_tileILi256ELi256ELi4ELi2ELb1EEvPKcS1_S1_S1_S1_PKiPfP15HIP_vector_typeIfLj2EEffffjfiS5_IjLj3EEiiiiiiiiiiiliiliiiiil.has_dyn_sized_stack, 0
	.set _ZL15flash_attn_tileILi256ELi256ELi4ELi2ELb1EEvPKcS1_S1_S1_S1_PKiPfP15HIP_vector_typeIfLj2EEffffjfiS5_IjLj3EEiiiiiiiiiiiliiliiiiil.has_recursion, 0
	.set _ZL15flash_attn_tileILi256ELi256ELi4ELi2ELb1EEvPKcS1_S1_S1_S1_PKiPfP15HIP_vector_typeIfLj2EEffffjfiS5_IjLj3EEiiiiiiiiiiiliiliiiiil.has_indirect_call, 0
	.section	.AMDGPU.csdata,"",@progbits
; Kernel info:
; codeLenInByte = 10272
; TotalNumSgprs: 45
; NumVgprs: 147
; ScratchSize: 0
; MemoryBound: 0
; FloatMode: 240
; IeeeMode: 1
; LDSByteSize: 21504 bytes/workgroup (compile time only)
; SGPRBlocks: 0
; VGPRBlocks: 9
; NumSGPRsForWavesPerEU: 45
; NumVGPRsForWavesPerEU: 147
; NamedBarCnt: 0
; Occupancy: 6
; WaveLimiterHint : 1
; COMPUTE_PGM_RSRC2:SCRATCH_EN: 0
; COMPUTE_PGM_RSRC2:USER_SGPR: 2
; COMPUTE_PGM_RSRC2:TRAP_HANDLER: 0
; COMPUTE_PGM_RSRC2:TGID_X_EN: 1
; COMPUTE_PGM_RSRC2:TGID_Y_EN: 1
; COMPUTE_PGM_RSRC2:TGID_Z_EN: 1
; COMPUTE_PGM_RSRC2:TIDIG_COMP_CNT: 1
	.section	.text._ZL15flash_attn_tileILi256ELi256ELi2ELi2ELb1EEvPKcS1_S1_S1_S1_PKiPfP15HIP_vector_typeIfLj2EEffffjfiS5_IjLj3EEiiiiiiiiiiiliiliiiiil,"axG",@progbits,_ZL15flash_attn_tileILi256ELi256ELi2ELi2ELb1EEvPKcS1_S1_S1_S1_PKiPfP15HIP_vector_typeIfLj2EEffffjfiS5_IjLj3EEiiiiiiiiiiiliiliiiiil,comdat
	.globl	_ZL15flash_attn_tileILi256ELi256ELi2ELi2ELb1EEvPKcS1_S1_S1_S1_PKiPfP15HIP_vector_typeIfLj2EEffffjfiS5_IjLj3EEiiiiiiiiiiiliiliiiiil ; -- Begin function _ZL15flash_attn_tileILi256ELi256ELi2ELi2ELb1EEvPKcS1_S1_S1_S1_PKiPfP15HIP_vector_typeIfLj2EEffffjfiS5_IjLj3EEiiiiiiiiiiiliiliiiiil
	.p2align	8
	.type	_ZL15flash_attn_tileILi256ELi256ELi2ELi2ELb1EEvPKcS1_S1_S1_S1_PKiPfP15HIP_vector_typeIfLj2EEffffjfiS5_IjLj3EEiiiiiiiiiiiliiliiiiil,@function
_ZL15flash_attn_tileILi256ELi256ELi2ELi2ELb1EEvPKcS1_S1_S1_S1_PKiPfP15HIP_vector_typeIfLj2EEffffjfiS5_IjLj3EEiiiiiiiiiiiliiliiiiil: ; @_ZL15flash_attn_tileILi256ELi256ELi2ELi2ELb1EEvPKcS1_S1_S1_S1_PKiPfP15HIP_vector_typeIfLj2EEffffjfiS5_IjLj3EEiiiiiiiiiiiliiliiiiil
; %bb.0:
	s_clause 0x1
	s_load_b128 s[20:23], s[0:1], 0x5c
	s_load_b64 s[30:31], s[0:1], 0x80
	s_bfe_u32 s5, ttmp6, 0x40014
	s_lshr_b32 s4, ttmp7, 16
	s_add_co_i32 s5, s5, 1
	s_bfe_u32 s6, ttmp6, 0x40008
	s_mul_i32 s5, s4, s5
	s_load_b64 s[36:37], s[0:1], 0xb8
	s_add_co_i32 s6, s6, s5
	s_mov_b64 s[34:35], 0
	s_wait_kmcnt 0x0
	s_lshr_b32 s2, s23, 31
	s_delay_alu instid0(SALU_CYCLE_1) | instskip(NEXT) | instid1(SALU_CYCLE_1)
	s_add_co_i32 s2, s23, s2
	s_ashr_i32 s3, s2, 1
	s_delay_alu instid0(SALU_CYCLE_1) | instskip(SKIP_1) | instid1(SALU_CYCLE_2)
	s_cvt_f32_u32 s2, s3
	s_sub_co_i32 s8, 0, s3
	v_rcp_iflag_f32_e32 v1, s2
	v_nop
	s_delay_alu instid0(TRANS32_DEP_1) | instskip(SKIP_1) | instid1(SALU_CYCLE_3)
	v_readfirstlane_b32 s2, v1
	s_mul_f32 s2, s2, 0x4f7ffffe
	s_cvt_u32_f32 s7, s2
	s_getreg_b32 s2, hwreg(HW_REG_IB_STS2, 6, 4)
	s_delay_alu instid0(SALU_CYCLE_2) | instskip(NEXT) | instid1(SALU_CYCLE_1)
	s_mul_i32 s8, s8, s7
	s_mul_hi_u32 s8, s7, s8
	s_delay_alu instid0(SALU_CYCLE_1) | instskip(SKIP_2) | instid1(SALU_CYCLE_1)
	s_add_co_i32 s7, s7, s8
	s_cmp_eq_u32 s2, 0
	s_cselect_b32 s4, s4, s6
	s_mul_hi_u32 s5, s4, s7
	s_delay_alu instid0(SALU_CYCLE_1) | instskip(SKIP_2) | instid1(SALU_CYCLE_1)
	s_mul_i32 s6, s5, s3
	s_add_co_i32 s7, s5, 1
	s_sub_co_i32 s6, s4, s6
	s_sub_co_i32 s8, s6, s3
	s_cmp_ge_u32 s6, s3
	s_cselect_b32 s5, s7, s5
	s_cselect_b32 s6, s8, s6
	s_add_co_i32 s7, s5, 1
	s_cmp_ge_u32 s6, s3
	s_cselect_b32 s28, s7, s5
	s_abs_i32 s3, s31
	s_lshl_b32 s4, s4, 1
	s_cvt_f32_u32 s5, s3
	s_sub_co_i32 s6, 0, s3
	s_mul_i32 s7, s28, s23
	s_abs_i32 s8, s23
	v_rcp_iflag_f32_e32 v1, s5
	s_sub_co_i32 s33, s4, s7
	v_nop
	s_delay_alu instid0(TRANS32_DEP_1) | instskip(SKIP_1) | instid1(SALU_CYCLE_3)
	v_readfirstlane_b32 s5, v1
	s_mul_f32 s5, s5, 0x4f7ffffe
	s_cvt_u32_f32 s5, s5
	s_delay_alu instid0(SALU_CYCLE_3) | instskip(NEXT) | instid1(SALU_CYCLE_1)
	s_mul_i32 s6, s6, s5
	s_mul_hi_u32 s6, s5, s6
	s_delay_alu instid0(SALU_CYCLE_1) | instskip(NEXT) | instid1(SALU_CYCLE_1)
	s_add_co_i32 s5, s5, s6
	s_mul_hi_u32 s4, s8, s5
	s_xor_b32 s5, s23, s31
	s_mul_i32 s6, s4, s3
	s_ashr_i32 s24, s5, 31
	s_sub_co_i32 s5, s8, s6
	s_add_co_i32 s6, s4, 1
	s_sub_co_i32 s7, s5, s3
	s_cmp_ge_u32 s5, s3
	s_cselect_b32 s4, s6, s4
	s_cselect_b32 s5, s7, s5
	s_add_co_i32 s6, s4, 1
	s_cmp_ge_u32 s5, s3
	s_cselect_b32 s3, s6, s4
	s_load_b512 s[4:19], s[0:1], 0x0
	s_xor_b32 s3, s3, s24
	s_delay_alu instid0(SALU_CYCLE_1) | instskip(NEXT) | instid1(SALU_CYCLE_1)
	s_sub_co_i32 s29, s3, s24
	s_abs_i32 s38, s29
	s_delay_alu instid0(SALU_CYCLE_1) | instskip(NEXT) | instid1(SALU_CYCLE_3)
	s_cvt_f32_u32 s3, s38
	v_rcp_iflag_f32_e32 v1, s3
	s_mov_b32 s3, 0
	v_nop
	s_delay_alu instid0(TRANS32_DEP_1)
	v_readfirstlane_b32 s24, v1
	s_wait_kmcnt 0x0
	s_cmp_eq_u64 s[10:11], 0
	s_cbranch_scc1 .LBB68_2
; %bb.1:
	s_abs_i32 s25, s36
	s_abs_i32 s31, s28
	s_cvt_f32_u32 s26, s25
	s_sub_co_i32 s27, 0, s25
	s_delay_alu instid0(SALU_CYCLE_2) | instskip(SKIP_1) | instid1(TRANS32_DEP_1)
	v_rcp_iflag_f32_e32 v1, s26
	v_nop
	v_readfirstlane_b32 s26, v1
	s_mul_f32 s26, s26, 0x4f7ffffe
	s_delay_alu instid0(SALU_CYCLE_3) | instskip(NEXT) | instid1(SALU_CYCLE_3)
	s_cvt_u32_f32 s26, s26
	s_mul_i32 s27, s27, s26
	s_delay_alu instid0(SALU_CYCLE_1) | instskip(NEXT) | instid1(SALU_CYCLE_1)
	s_mul_hi_u32 s27, s26, s27
	s_add_co_i32 s26, s26, s27
	s_delay_alu instid0(SALU_CYCLE_1) | instskip(SKIP_2) | instid1(SALU_CYCLE_1)
	s_mul_hi_u32 s34, s31, s26
	s_load_b64 s[26:27], s[0:1], 0xc8
	s_mul_i32 s34, s34, s25
	s_sub_co_i32 s31, s31, s34
	s_ashr_i32 s34, s28, 31
	s_sub_co_i32 s35, s31, s25
	s_cmp_ge_u32 s31, s25
	s_cselect_b32 s31, s35, s31
	s_delay_alu instid0(SALU_CYCLE_1) | instskip(SKIP_2) | instid1(SALU_CYCLE_1)
	s_sub_co_i32 s35, s31, s25
	s_cmp_ge_u32 s31, s25
	s_cselect_b32 s25, s35, s31
	s_xor_b32 s25, s25, s34
	s_delay_alu instid0(SALU_CYCLE_1) | instskip(NEXT) | instid1(SALU_CYCLE_1)
	s_sub_co_i32 s34, s25, s34
	s_ashr_i32 s35, s34, 31
	s_wait_kmcnt 0x0
	s_mul_u64 s[26:27], s[26:27], s[34:35]
	s_delay_alu instid0(SALU_CYCLE_1)
	s_add_nc_u64 s[34:35], s[10:11], s[26:27]
.LBB68_2:
	s_bfe_u32 s10, ttmp6, 0x4000c
	v_dual_lshrrev_b32 v1, 10, v0 :: v_dual_mov_b32 v73, 0
	s_add_co_i32 s10, s10, 1
	s_and_b32 s11, ttmp6, 15
	s_mul_i32 s10, ttmp9, s10
	s_delay_alu instid0(VALU_DEP_1)
	v_bfe_u32 v1, v1, 1, 9
	s_add_co_i32 s11, s11, s10
	s_cmp_eq_u32 s2, 0
	s_load_b96 s[40:42], s[0:1], 0x70
	s_cselect_b32 s10, ttmp9, s11
	v_and_b32_e32 v111, 0x3ff, v0
	v_lshl_add_u32 v110, s10, 1, v1
	v_bfe_u32 v72, v0, 10, 1
	v_dual_mov_b32 v3, v73 :: v_dual_mov_b32 v9, v73
	s_delay_alu instid0(VALU_DEP_4) | instskip(NEXT) | instid1(VALU_DEP_4)
	v_lshlrev_b32_e32 v8, 4, v111
	v_mul_hi_u32 v1, s20, v110
	s_delay_alu instid0(VALU_DEP_1) | instskip(SKIP_3) | instid1(SALU_CYCLE_1)
	v_dual_lshlrev_b32 v109, 3, v111 :: v_dual_add_nc_u32 v1, v110, v1
	s_wait_kmcnt 0x0
	s_mov_b32 s20, s41
	s_mul_i32 s26, s33, s41
	s_ashr_i32 s27, s26, 31
	v_lshrrev_b32_e32 v1, s21, v1
	s_ashr_i32 s21, s41, 31
	s_ashr_i32 s41, s40, 31
	s_lshr_b64 s[20:21], s[20:21], 2
	s_delay_alu instid0(VALU_DEP_1) | instskip(SKIP_2) | instid1(VALU_DEP_2)
	v_mul_lo_u32 v1, v1, s22
	v_mul_u64_e32 v[4:5], s[20:21], v[72:73]
	s_lshr_b64 s[20:21], s[40:41], 2
	v_sub_nc_u32_e32 v2, v110, v1
	v_bfe_u32 v1, v0, 10, 10
	s_delay_alu instid0(VALU_DEP_2) | instskip(SKIP_1) | instid1(VALU_DEP_2)
	v_mul_u64_e32 v[6:7], s[20:21], v[2:3]
	s_mul_i32 s20, s28, s42
	v_lshlrev_b32_e32 v0, 9, v1
	s_ashr_i32 s21, s20, 31
	s_cmp_eq_u64 s[14:15], 0
	s_add_nc_u64 s[4:5], s[4:5], s[20:21]
	s_delay_alu instid0(SALU_CYCLE_1) | instskip(SKIP_3) | instid1(VALU_DEP_1)
	s_add_nc_u64 s[4:5], s[4:5], s[26:27]
	v_add_nc_u32_e32 v112, 0x4200, v0
	v_lshl_add_u64 v[4:5], v[4:5], 2, s[4:5]
	s_load_b32 s4, s[0:1], 0x40
	v_lshl_add_u64 v[4:5], v[6:7], 2, v[4:5]
	s_delay_alu instid0(VALU_DEP_1)
	v_add_nc_u64_e32 v[12:13], v[4:5], v[8:9]
	s_clause 0x1
	global_load_b128 v[4:7], v[12:13], off
	global_load_b128 v[8:11], v[12:13], off offset:512
	s_wait_loadcnt 0x1
	s_wait_kmcnt 0x0
	v_fma_mixlo_f16 v3, s4, v4, 0
	v_fma_mixlo_f16 v4, s4, v5, 0
	;; [unrolled: 1-line block ×4, first 2 shown]
	s_wait_loadcnt 0x0
	v_fma_mixlo_f16 v7, s4, v8, 0
	v_fma_mixlo_f16 v8, s4, v9, 0
	;; [unrolled: 1-line block ×4, first 2 shown]
	v_dual_lshlrev_b32 v4, 16, v4 :: v_dual_lshlrev_b32 v6, 16, v6
	v_and_b32_e32 v3, 0xffff, v3
	s_delay_alu instid0(VALU_DEP_3)
	v_dual_lshlrev_b32 v8, 16, v8 :: v_dual_lshlrev_b32 v10, 16, v10
	v_and_b32_e32 v7, 0xffff, v7
	v_and_b32_e32 v5, 0xffff, v5
	;; [unrolled: 1-line block ×3, first 2 shown]
	v_or_b32_e32 v3, v4, v3
	v_add_nc_u32_e32 v11, v112, v109
	v_or_b32_e32 v8, v8, v7
	v_or3_b32 v5, v6, v5, 0
	v_or3_b32 v7, v10, v9, 0
	;; [unrolled: 1-line block ×3, first 2 shown]
	s_delay_alu instid0(VALU_DEP_4)
	v_or3_b32 v6, 0, 0, v8
	ds_store_2addr_b64 v11, v[4:5], v[6:7] offset1:32
	s_wait_dscnt 0x0
	s_barrier_signal -1
	s_barrier_wait -1
	s_cbranch_scc1 .LBB68_4
; %bb.3:
	s_load_b32 s4, s[0:1], 0xd0
	s_wait_kmcnt 0x0
	s_mul_i32 s4, s4, s28
	s_delay_alu instid0(SALU_CYCLE_1)
	s_add_co_i32 s4, s4, s10
	s_load_b32 s30, s[14:15], s4 offset:0x0 scale_offset
.LBB68_4:
	s_wait_xcnt 0x0
	s_bfe_u32 s4, ttmp6, 0x40010
	s_and_b32 s5, ttmp7, 0xffff
	s_add_co_i32 s4, s4, 1
	s_bfe_u32 s10, ttmp6, 0x40004
	s_mul_i32 s4, s5, s4
	v_lshlrev_b32_e32 v73, 2, v111
	s_add_co_i32 s10, s10, s4
	s_cmp_eq_u32 s2, 0
	v_mbcnt_lo_u32_b32 v113, -1, 0
	s_cselect_b32 s31, s5, s10
	s_mov_b32 s2, 0
	s_lshl_b32 s4, s31, 5
	s_wait_kmcnt 0x0
	s_cmp_lt_i32 s4, s30
	s_cbranch_scc1 .LBB68_7
; %bb.5:
	v_mbcnt_lo_u32_b32 v3, -1, 0
	s_delay_alu instid0(VALU_DEP_1)
	v_dual_mov_b32 v116, 32 :: v_dual_bitop2_b32 v135, 16, v3 bitop3:0x14
	v_xor_b32_e32 v136, 8, v3
	v_xor_b32_e32 v137, 4, v3
	v_xor_b32_e32 v138, 2, v3
	v_xor_b32_e32 v139, 1, v3
	s_and_not1_b32 vcc_lo, exec_lo, s2
	s_cbranch_vccz .LBB68_8
; %bb.6:
	v_dual_mov_b32 v45, 0 :: v_dual_mov_b32 v140, 0
	v_dual_mov_b32 v108, 0xfeffffff :: v_dual_mov_b32 v33, 0
	;; [unrolled: 1-line block ×3, first 2 shown]
	s_branch .LBB68_16
.LBB68_7:
                                        ; implicit-def: $vgpr3
                                        ; implicit-def: $vgpr116
                                        ; implicit-def: $vgpr135
                                        ; implicit-def: $vgpr136
                                        ; implicit-def: $vgpr137
                                        ; implicit-def: $vgpr138
                                        ; implicit-def: $vgpr139
.LBB68_8:
	s_mul_f32 s5, s24, 0x4f7ffffe
	s_clause 0x1
	s_load_b128 s[24:27], s[0:1], 0x98
	s_load_b64 s[20:21], s[0:1], 0x8c
	s_sub_co_i32 s10, 0, s38
	s_abs_i32 s2, s33
	s_cvt_u32_f32 s5, s5
	s_mov_b32 s11, s3
	s_ashr_i32 s14, s33, 31
	s_ashr_i32 s15, s29, 31
	s_mul_i32 s10, s10, s5
	s_ashr_i32 s37, s37, 1
	s_mul_hi_u32 s10, s5, s10
	s_ashr_i32 s29, s28, 31
	s_add_co_i32 s10, s5, s10
	s_xor_b32 s5, s14, s15
	s_mul_u64 s[10:11], s[2:3], s[10:11]
	s_clause 0x1
	s_load_b64 s[40:41], s[0:1], 0xa8
	s_load_b32 s36, s[0:1], 0x54
	s_mul_i32 s3, s11, s38
	v_mad_u32 v125, v2, s37, v111
	s_sub_co_i32 s2, s2, s3
	s_wait_kmcnt 0x0
	s_ashr_i32 s10, s26, 2
	s_ashr_i32 s14, s20, 2
	s_add_co_i32 s3, s11, 1
	s_sub_co_i32 s15, s2, s38
	s_cmp_ge_u32 s2, s38
	v_mul_lo_u32 v74, s14, v1
	s_cselect_b32 s3, s3, s11
	s_cselect_b32 s2, s15, s2
	s_add_co_i32 s11, s3, 1
	s_cmp_ge_u32 s2, s38
	v_mul_lo_u32 v84, s10, v1
	s_cselect_b32 s2, s11, s3
	v_lshl_add_u32 v123, v1, 6, 0x4a00
	s_xor_b32 s11, s2, s5
	v_lshlrev_b32_e32 v78, 2, v73
	s_sub_co_i32 s5, s11, s5
	s_and_b32 s11, s20, -4
	s_mul_u64 s[2:3], s[24:25], s[28:29]
	v_add_nc_u32_e32 v76, s11, v74
	s_add_nc_u64 s[2:3], s[6:7], s[2:3]
	s_mul_i32 s6, s5, s21
	v_ashrrev_i32_e32 v75, 31, v74
	s_ashr_i32 s7, s6, 31
	v_add_nc_u32_e32 v80, s11, v76
	s_add_nc_u64 s[6:7], s[2:3], s[6:7]
	s_mul_u64 s[2:3], s[40:41], s[28:29]
	s_mul_i32 s20, s5, s27
	s_add_nc_u64 s[2:3], s[8:9], s[2:3]
	v_dual_add_nc_u32 v82, s11, v80 :: v_dual_ashrrev_i32 v81, 31, v80
	s_ashr_i32 s21, s20, 31
	v_ashrrev_i32_e32 v77, 31, v76
	s_add_nc_u64 s[8:9], s[2:3], s[20:21]
	s_delay_alu instid0(VALU_DEP_2) | instskip(SKIP_1) | instid1(SALU_CYCLE_1)
	v_add_nc_u32_e32 v86, s11, v82
	s_and_b32 s2, s26, -4
	v_dual_ashrrev_i32 v83, 31, v82 :: v_dual_add_nc_u32 v90, s2, v84
	v_mad_u32_u24 v114, 0x210, v1, v78
	s_delay_alu instid0(VALU_DEP_3) | instskip(SKIP_1) | instid1(VALU_DEP_3)
	v_dual_add_nc_u32 v88, s11, v86 :: v_dual_ashrrev_i32 v87, 31, v86
	v_lshl_add_u32 v1, v1, 9, v78
	v_dual_mov_b32 v79, 0 :: v_dual_add_nc_u32 v118, 0x18c0, v114
	s_delay_alu instid0(VALU_DEP_3) | instskip(SKIP_2) | instid1(VALU_DEP_3)
	v_dual_add_nc_u32 v92, s11, v88 :: v_dual_ashrrev_i32 v89, 31, v88
	v_add_nc_u32_e32 v94, s2, v90
	v_dual_mov_b32 v116, 32 :: v_dual_add_nc_u32 v115, 0x840, v114
	v_dual_add_nc_u32 v96, s11, v92 :: v_dual_ashrrev_i32 v93, 31, v92
	s_delay_alu instid0(VALU_DEP_3) | instskip(SKIP_1) | instid1(VALU_DEP_3)
	v_add_nc_u32_e32 v98, s2, v94
	v_dual_mov_b32 v32, v79 :: v_dual_add_nc_u32 v117, 0x1080, v114
	v_dual_ashrrev_i32 v97, 31, v96 :: v_dual_ashrrev_i32 v91, 31, v90
	s_delay_alu instid0(VALU_DEP_3) | instskip(SKIP_2) | instid1(VALU_DEP_3)
	v_add_nc_u32_e32 v100, s2, v98
	v_dual_mov_b32 v44, v79 :: v_dual_add_nc_u32 v119, 0x2100, v114
	v_dual_mov_b32 v33, v79 :: v_dual_add_nc_u32 v120, 0x2940, v114
	v_add_nc_u32_e32 v102, s2, v100
	v_dual_mov_b32 v34, v79 :: v_dual_add_nc_u32 v121, 0x3180, v114
	v_dual_mov_b32 v45, v79 :: v_dual_add_nc_u32 v122, 0x39c0, v114
	s_delay_alu instid0(VALU_DEP_3) | instskip(SKIP_3) | instid1(VALU_DEP_4)
	v_dual_add_nc_u32 v104, s2, v102 :: v_dual_ashrrev_i32 v103, 31, v102
	v_ashrrev_i32_e32 v99, 31, v98
	v_mul_u32_u24_e32 v124, 0x210, v111
	v_lshl_add_u32 v126, v111, 1, v123
	v_dual_add_nc_u32 v106, s2, v104 :: v_dual_add_nc_u32 v127, v0, v78
	v_ashrrev_i32_e32 v85, 31, v84
	v_add_nc_u32_e32 v128, 0x800, v1
	v_add_nc_u32_e32 v129, 0x1000, v1
	v_dual_ashrrev_i32 v95, 31, v94 :: v_dual_ashrrev_i32 v101, 31, v100
	v_add_nc_u32_e32 v130, 0x1800, v1
	v_add_nc_u32_e32 v131, 0x2000, v1
	;; [unrolled: 1-line block ×4, first 2 shown]
	v_dual_ashrrev_i32 v105, 31, v104 :: v_dual_ashrrev_i32 v107, 31, v106
	v_add_nc_u32_e32 v134, 0x3800, v1
	v_mov_b32_e32 v35, 0xfeffffff
	s_ashr_i32 s15, s14, 31
	s_ashr_i32 s11, s10, 31
	s_add_nc_u64 s[20:21], s[0:1], 0xd0
	s_mov_b32 s24, 0xbbbac73d
.LBB68_9:                               ; =>This Inner Loop Header: Depth=1
	s_ashr_i32 s5, s4, 31
	v_mov_b32_e32 v38, 0
	s_mul_u64 s[2:3], s[4:5], s[14:15]
                                        ; implicit-def: $vgpr37
	s_delay_alu instid0(SALU_CYCLE_1) | instskip(NEXT) | instid1(SALU_CYCLE_1)
	s_lshl_b64 s[2:3], s[2:3], 2
	s_add_nc_u64 s[2:3], s[6:7], s[2:3]
	s_delay_alu instid0(SALU_CYCLE_1)
	v_lshl_add_u64 v[0:1], v[74:75], 2, s[2:3]
	v_lshl_add_u64 v[2:3], v[76:77], 2, s[2:3]
	;; [unrolled: 1-line block ×6, first 2 shown]
	v_add_nc_u64_e32 v[0:1], v[0:1], v[78:79]
	v_lshl_add_u64 v[12:13], v[92:93], 2, s[2:3]
	v_lshl_add_u64 v[14:15], v[96:97], 2, s[2:3]
	v_add_nc_u64_e32 v[16:17], v[2:3], v[78:79]
	v_add_nc_u64_e32 v[18:19], v[4:5], v[78:79]
	;; [unrolled: 1-line block ×7, first 2 shown]
	s_clause 0x7
	global_load_b128 v[0:3], v[0:1], off
	global_load_b128 v[4:7], v[16:17], off
	;; [unrolled: 1-line block ×8, first 2 shown]
	s_wait_loadcnt 0x7
	ds_store_b128 v114, v[0:3]
	s_wait_loadcnt 0x6
	ds_store_b128 v115, v[4:7]
	s_wait_loadcnt 0x5
	ds_store_b128 v117, v[8:11]
	s_wait_loadcnt 0x4
	ds_store_b128 v118, v[12:15]
	s_wait_loadcnt 0x3
	ds_store_b128 v119, v[16:19]
	s_wait_loadcnt 0x2
	ds_store_b128 v120, v[20:23]
	s_wait_loadcnt 0x1
	ds_store_b128 v121, v[24:27]
	s_wait_loadcnt 0x0
	ds_store_b128 v122, v[28:31]
	s_wait_dscnt 0x0
	s_barrier_signal -1
	s_barrier_wait -1
	ds_load_b128 v[0:3], v124
	ds_load_b128 v[4:7], v112
	v_add_nc_u32_e32 v8, s4, v125
	s_wait_dscnt 0x0
	;;#ASMSTART
	v_dot2_f32_f16 v38, v0, v4, v38
	;;#ASMEND
	;;#ASMSTART
	v_dot2_f32_f16 v38, v1, v5, v38
	;;#ASMEND
	;;#ASMSTART
	v_dot2_f32_f16 v38, v2, v6, v38
	;;#ASMEND
	;;#ASMSTART
	v_dot2_f32_f16 v38, v3, v7, v38
	;;#ASMEND
	ds_load_b128 v[0:3], v124 offset:16
	ds_load_b128 v[4:7], v112 offset:16
	s_wait_dscnt 0x0
	;;#ASMSTART
	v_dot2_f32_f16 v38, v0, v4, v38
	;;#ASMEND
	;;#ASMSTART
	v_dot2_f32_f16 v38, v1, v5, v38
	;;#ASMEND
	;;#ASMSTART
	v_dot2_f32_f16 v38, v2, v6, v38
	;;#ASMEND
	;;#ASMSTART
	v_dot2_f32_f16 v38, v3, v7, v38
	;;#ASMEND
	ds_load_b128 v[0:3], v124 offset:32
	ds_load_b128 v[4:7], v112 offset:32
	;; [unrolled: 15-line block ×31, first 2 shown]
	s_wait_dscnt 0x0
	;;#ASMSTART
	v_dot2_f32_f16 v38, v0, v4, v38
	;;#ASMEND
	;;#ASMSTART
	v_dot2_f32_f16 v38, v1, v5, v38
	;;#ASMEND
	;; [unrolled: 3-line block ×4, first 2 shown]
	global_load_u16 v36, v8, s[34:35] scale_offset
	v_cmp_ngt_f32_e64 s2, 0x3f200000, |v38|
	s_wait_xcnt 0x0
	s_and_saveexec_b32 s3, s2
	s_delay_alu instid0(SALU_CYCLE_1)
	s_xor_b32 s2, exec_lo, s3
	s_cbranch_execz .LBB68_11
; %bb.10:                               ;   in Loop: Header=BB68_9 Depth=1
	v_add_f32_e64 v0, |v38|, |v38|
	s_delay_alu instid0(VALU_DEP_1) | instskip(SKIP_1) | instid1(VALU_DEP_2)
	v_mul_f32_e32 v1, 0x3fb8aa3b, v0
	v_cmp_ngt_f32_e32 vcc_lo, 0xc2ce8ed0, v0
	v_rndne_f32_e32 v2, v1
	v_fma_f32 v3, 0x3fb8aa3b, v0, -v1
	s_delay_alu instid0(VALU_DEP_2) | instskip(NEXT) | instid1(VALU_DEP_2)
	v_sub_f32_e32 v1, v1, v2
	v_fmac_f32_e32 v3, 0x32a5705f, v0
	v_cvt_i32_f32_e32 v2, v2
	s_delay_alu instid0(VALU_DEP_2) | instskip(NEXT) | instid1(VALU_DEP_1)
	v_add_f32_e32 v1, v1, v3
	v_exp_f32_e32 v1, v1
	v_nop
	s_delay_alu instid0(TRANS32_DEP_1) | instskip(NEXT) | instid1(VALU_DEP_1)
	v_ldexp_f32 v1, v1, v2
	v_cndmask_b32_e32 v1, 0, v1, vcc_lo
	v_cmp_nlt_f32_e32 vcc_lo, 0x42b17218, v0
	s_delay_alu instid0(VALU_DEP_2) | instskip(NEXT) | instid1(VALU_DEP_1)
	v_cndmask_b32_e32 v0, 0x7f800000, v1, vcc_lo
	v_add_f32_e32 v0, 1.0, v0
	s_delay_alu instid0(VALU_DEP_1) | instskip(SKIP_1) | instid1(TRANS32_DEP_1)
	v_rcp_f32_e32 v0, v0
	v_nop
	v_fma_f32 v37, v0, -2.0, 1.0
.LBB68_11:                              ;   in Loop: Header=BB68_9 Depth=1
	s_and_not1_saveexec_b32 s2, s2
	s_cbranch_execz .LBB68_13
; %bb.12:                               ;   in Loop: Header=BB68_9 Depth=1
	v_mul_f32_e32 v0, v38, v38
	s_delay_alu instid0(VALU_DEP_1) | instskip(NEXT) | instid1(VALU_DEP_1)
	v_fmaak_f32 v1, s24, v0, 0x3ca908c9
	v_fmaak_f32 v1, v0, v1, 0xbd5c1c4e
	s_delay_alu instid0(VALU_DEP_1) | instskip(NEXT) | instid1(VALU_DEP_1)
	v_fmaak_f32 v1, v0, v1, 0x3e088382
	v_fmaak_f32 v1, v0, v1, 0xbeaaaa99
	s_delay_alu instid0(VALU_DEP_1) | instskip(NEXT) | instid1(VALU_DEP_1)
	v_mul_f32_e64 v1, |v38|, v1
	v_fma_f32 v37, v0, v1, |v38|
.LBB68_13:                              ;   in Loop: Header=BB68_9 Depth=1
	s_or_b32 exec_lo, exec_lo, s2
	s_mul_u64 s[2:3], s[4:5], s[10:11]
	s_wait_loadcnt 0x0
	s_lshl_b64 s[2:3], s[2:3], 2
	s_barrier_signal -1
	s_add_nc_u64 s[2:3], s[8:9], s[2:3]
	s_barrier_wait -1
	v_lshl_add_u64 v[2:3], v[90:91], 2, s[2:3]
	v_lshl_add_u64 v[4:5], v[94:95], 2, s[2:3]
	;; [unrolled: 1-line block ×5, first 2 shown]
	v_add_nc_u64_e32 v[6:7], v[2:3], v[78:79]
	v_lshl_add_u64 v[2:3], v[98:99], 2, s[2:3]
	v_add_nc_u64_e32 v[8:9], v[4:5], v[78:79]
	v_lshl_add_u64 v[4:5], v[100:101], 2, s[2:3]
	;; [unrolled: 2-line block ×3, first 2 shown]
	v_add_nc_u64_e32 v[16:17], v[2:3], v[78:79]
	v_add_nc_u64_e32 v[20:21], v[10:11], v[78:79]
	;; [unrolled: 1-line block ×5, first 2 shown]
	s_clause 0x7
	global_load_b128 v[0:3], v[0:1], off
	global_load_b128 v[4:7], v[6:7], off
	;; [unrolled: 1-line block ×8, first 2 shown]
	v_xor_b32_e32 v135, 16, v113
	v_bfi_b32 v37, 0x7fffffff, v37, v38
	v_add_nc_u32_e32 v65, 0x2800, v109
	v_add_nc_u32_e32 v64, 0x3000, v109
	;; [unrolled: 1-line block ×3, first 2 shown]
	v_xor_b32_e32 v137, 4, v113
	v_fma_mix_f32 v36, s36, v37, v36 op_sel_hi:[0,0,1]
	v_max_num_f32_e32 v37, v35, v35
	v_cmp_gt_i32_e32 vcc_lo, 32, v135
	v_xor_b32_e32 v139, 1, v113
	s_delay_alu instid0(VALU_DEP_4) | instskip(NEXT) | instid1(VALU_DEP_1)
	v_dual_add_f32 v39, 0x40051340, v36 :: v_dual_cndmask_b32 v38, v113, v135
	v_dual_max_num_f32 v37, v37, v39 :: v_dual_lshlrev_b32 v38, 2, v38
	ds_bpermute_b32 v38, v38, v37
	s_wait_dscnt 0x0
	v_dual_max_num_f32 v38, v38, v38 :: v_dual_bitop2_b32 v136, 8, v113 bitop3:0x14
	s_delay_alu instid0(VALU_DEP_1) | instskip(NEXT) | instid1(VALU_DEP_2)
	v_cmp_gt_i32_e32 vcc_lo, 32, v136
	v_max_num_f32_e32 v37, v37, v38
	v_cndmask_b32_e32 v39, v113, v136, vcc_lo
	v_cmp_gt_i32_e32 vcc_lo, 32, v137
	s_delay_alu instid0(VALU_DEP_2) | instskip(SKIP_3) | instid1(VALU_DEP_1)
	v_lshlrev_b32_e32 v39, 2, v39
	ds_bpermute_b32 v38, v39, v37
	s_wait_dscnt 0x0
	v_dual_cndmask_b32 v39, v113, v137 :: v_dual_max_num_f32 v38, v38, v38
	v_dual_lshlrev_b32 v39, 2, v39 :: v_dual_max_num_f32 v37, v37, v38
	ds_bpermute_b32 v38, v39, v37
	s_wait_dscnt 0x0
	v_dual_max_num_f32 v38, v38, v38 :: v_dual_bitop2_b32 v138, 2, v113 bitop3:0x14
	s_delay_alu instid0(VALU_DEP_1) | instskip(NEXT) | instid1(VALU_DEP_2)
	v_cmp_gt_i32_e32 vcc_lo, 32, v138
	v_max_num_f32_e32 v37, v37, v38
	v_cndmask_b32_e32 v39, v113, v138, vcc_lo
	v_cmp_gt_i32_e32 vcc_lo, 32, v139
	s_delay_alu instid0(VALU_DEP_2) | instskip(SKIP_3) | instid1(VALU_DEP_1)
	v_lshlrev_b32_e32 v39, 2, v39
	ds_bpermute_b32 v38, v39, v37
	s_wait_dscnt 0x0
	v_dual_cndmask_b32 v39, v113, v139 :: v_dual_max_num_f32 v38, v38, v38
	v_dual_lshlrev_b32 v39, 2, v39 :: v_dual_max_num_f32 v37, v37, v38
	ds_bpermute_b32 v38, v39, v37
	s_wait_dscnt 0x0
	v_max_num_f32_e32 v38, v38, v38
	s_delay_alu instid0(VALU_DEP_1) | instskip(NEXT) | instid1(VALU_DEP_1)
	v_max_num_f32_e32 v108, v37, v38
	v_sub_f32_e32 v36, v36, v108
	s_delay_alu instid0(VALU_DEP_1) | instskip(SKIP_3) | instid1(VALU_DEP_4)
	v_mul_f32_e32 v37, 0x3fb8aa3b, v36
	v_sub_f32_e32 v35, v35, v108
	v_cmp_ngt_f32_e32 vcc_lo, 0xc2ce8ed0, v36
	v_cmp_nlt_f32_e64 s3, 0x42b17218, v36
	v_rndne_f32_e32 v40, v37
	s_delay_alu instid0(VALU_DEP_4) | instskip(SKIP_1) | instid1(VALU_DEP_3)
	v_mul_f32_e32 v38, 0x3fb8aa3b, v35
	v_fma_f32 v39, 0x3fb8aa3b, v36, -v37
	v_sub_f32_e32 v37, v37, v40
	s_delay_alu instid0(VALU_DEP_3) | instskip(SKIP_1) | instid1(VALU_DEP_1)
	v_fma_f32 v41, 0x3fb8aa3b, v35, -v38
	v_rndne_f32_e32 v42, v38
	v_dual_sub_f32 v38, v38, v42 :: v_dual_fmac_f32 v41, 0x32a5705f, v35
	v_fmac_f32_e32 v39, 0x32a5705f, v36
	v_cmp_ngt_f32_e64 s2, 0xc2ce8ed0, v35
	s_delay_alu instid0(VALU_DEP_2) | instskip(SKIP_2) | instid1(VALU_DEP_3)
	v_dual_add_f32 v38, v38, v41 :: v_dual_add_f32 v37, v37, v39
	v_cvt_i32_f32_e32 v39, v40
	v_cvt_i32_f32_e32 v40, v42
	v_exp_f32_e32 v38, v38
	s_delay_alu instid0(VALU_DEP_3) | instskip(NEXT) | instid1(TRANS32_DEP_2)
	v_exp_f32_e32 v37, v37
	v_ldexp_f32 v36, v38, v40
	s_delay_alu instid0(TRANS32_DEP_1) | instskip(SKIP_1) | instid1(VALU_DEP_2)
	v_ldexp_f32 v37, v37, v39
	v_add_nc_u32_e32 v40, 0x800, v109
	v_cndmask_b32_e32 v37, 0, v37, vcc_lo
	v_cmp_nlt_f32_e32 vcc_lo, 0x42b17218, v35
	v_cndmask_b32_e64 v35, 0, v36, s2
	s_delay_alu instid0(VALU_DEP_3) | instskip(NEXT) | instid1(VALU_DEP_2)
	v_cndmask_b32_e64 v140, 0x7f800000, v37, s3
	v_cndmask_b32_e32 v35, 0x7f800000, v35, vcc_lo
	s_delay_alu instid0(VALU_DEP_2)
	v_cvt_f16_f32_e64 v36, v140
	ds_store_b16 v126, v36
	s_wait_loadcnt 0x7
	ds_store_b128 v127, v[0:3]
	s_wait_loadcnt 0x6
	ds_store_b128 v128, v[4:7]
	;; [unrolled: 2-line block ×8, first 2 shown]
	s_wait_dscnt 0x0
	s_barrier_signal -1
	s_barrier_wait -1
	ds_load_b128 v[6:9], v123
	v_cvt_f16_f32_e32 v37, v35
	ds_load_2addr_b64 v[10:13], v109 offset1:32
	v_fmac_f32_e32 v140, v34, v35
	v_add_nc_u32_e32 v4, 0x1000, v109
	v_add_nc_u32_e32 v5, 0x1800, v109
	v_and_b32_e32 v0, 0xffff, v37
	v_add_nc_u32_e32 v18, 0x2000, v109
	s_delay_alu instid0(VALU_DEP_2) | instskip(NEXT) | instid1(VALU_DEP_1)
	v_mul_u32_u24_e32 v19, 0x10001, v0
	v_pk_mul_f16 v50, v33, v19
	v_pk_mul_f16 v51, v32, v19
	ds_load_b128 v[36:39], v123 offset:16
	ds_load_b128 v[32:35], v123 offset:32
	;; [unrolled: 1-line block ×3, first 2 shown]
	ds_load_2addr_b64 v[14:17], v109 offset0:64 offset1:96
	ds_load_2addr_b64 v[46:49], v109 offset0:128 offset1:160
	;; [unrolled: 1-line block ×3, first 2 shown]
	ds_load_2addr_b64 v[146:149], v40 offset1:32
	ds_load_2addr_b64 v[150:153], v40 offset0:64 offset1:96
	ds_load_2addr_b64 v[154:157], v40 offset0:128 offset1:160
	;; [unrolled: 1-line block ×3, first 2 shown]
	ds_load_2addr_b64 v[24:27], v4 offset1:32
	s_wait_dscnt 0xc
	v_and_b32_e32 v28, 0xffff, v6
	s_delay_alu instid0(VALU_DEP_1)
	v_mul_u32_u24_e32 v56, 0x10001, v28
	ds_load_2addr_b64 v[28:31], v4 offset0:64 offset1:96
	ds_load_2addr_b64 v[40:43], v4 offset0:128 offset1:160
	;; [unrolled: 1-line block ×3, first 2 shown]
	v_lshrrev_b32_e32 v4, 16, v6
	ds_load_2addr_b64 v[60:63], v5 offset1:32
	ds_load_2addr_b64 v[68:71], v5 offset0:64 offset1:96
	s_wait_dscnt 0x10
	v_pk_mul_f16 v6, v10, v56
	v_pk_mul_f16 v11, v11, v56
	v_pk_fma_f16 v10, v12, v56, v50
	v_pk_fma_f16 v12, v13, v56, v51
	v_and_b32_e32 v13, 0xffff, v7
	v_mul_u32_u24_e32 v4, 0x10001, v4
	v_pk_fma_f16 v6, v45, v19, v6
	v_pk_fma_f16 v11, v44, v19, v11
	v_lshrrev_b32_e32 v7, 16, v7
	v_mul_u32_u24_e32 v13, 0x10001, v13
	s_wait_dscnt 0xc
	v_pk_fma_f16 v10, v16, v4, v10
	v_pk_fma_f16 v12, v17, v4, v12
	;; [unrolled: 1-line block ×4, first 2 shown]
	v_and_b32_e32 v11, 0xffff, v8
	s_wait_dscnt 0xb
	v_pk_fma_f16 v10, v48, v13, v10
	v_pk_fma_f16 v12, v49, v13, v12
	;; [unrolled: 1-line block ×4, first 2 shown]
	ds_load_2addr_b64 v[56:59], v5 offset0:128 offset1:160
	ds_load_2addr_b64 v[48:51], v5 offset0:192 offset1:224
	v_lshrrev_b32_e32 v5, 16, v8
	v_mul_u32_u24_e32 v7, 0x10001, v7
	v_mul_u32_u24_e32 v8, 0x10001, v11
	v_lshrrev_b32_e32 v19, 16, v9
	ds_load_2addr_b64 v[44:47], v18 offset1:32
	v_mul_u32_u24_e32 v13, 0x10001, v5
	s_wait_dscnt 0xd
	v_pk_fma_f16 v10, v144, v7, v10
	v_pk_fma_f16 v11, v145, v7, v12
	;; [unrolled: 1-line block ×4, first 2 shown]
	v_and_b32_e32 v12, 0xffff, v9
	s_wait_dscnt 0xc
	v_pk_fma_f16 v14, v148, v8, v10
	v_pk_fma_f16 v15, v149, v8, v11
	;; [unrolled: 1-line block ×4, first 2 shown]
	v_mul_u32_u24_e32 v66, 0x10001, v12
	s_wait_dscnt 0xb
	v_pk_fma_f16 v67, v152, v13, v14
	v_pk_fma_f16 v142, v153, v13, v15
	;; [unrolled: 1-line block ×4, first 2 shown]
	v_and_b32_e32 v143, 0xffff, v36
	v_mul_u32_u24_e32 v144, 0x10001, v19
	s_wait_dscnt 0xa
	v_pk_fma_f16 v67, v156, v66, v67
	v_pk_fma_f16 v142, v157, v66, v142
	;; [unrolled: 1-line block ×4, first 2 shown]
	v_lshrrev_b32_e32 v36, 16, v36
	v_mul_u32_u24_e32 v143, 0x10001, v143
	s_wait_dscnt 0x9
	v_pk_fma_f16 v67, v22, v144, v67
	v_pk_fma_f16 v142, v23, v144, v142
	;; [unrolled: 1-line block ×4, first 2 shown]
	v_and_b32_e32 v144, 0xffff, v37
	v_mul_u32_u24_e32 v36, 0x10001, v36
	s_wait_dscnt 0x8
	v_pk_fma_f16 v67, v26, v143, v67
	v_pk_fma_f16 v142, v27, v143, v142
	;; [unrolled: 1-line block ×4, first 2 shown]
	v_lshrrev_b32_e32 v37, 16, v37
	v_mul_u32_u24_e32 v143, 0x10001, v144
	s_wait_dscnt 0x7
	v_pk_fma_f16 v67, v30, v36, v67
	v_pk_fma_f16 v142, v31, v36, v142
	;; [unrolled: 1-line block ×4, first 2 shown]
	ds_load_2addr_b64 v[4:7], v18 offset0:64 offset1:96
	ds_load_2addr_b64 v[8:11], v18 offset0:128 offset1:160
	;; [unrolled: 1-line block ×3, first 2 shown]
	ds_load_2addr_b64 v[16:19], v65 offset1:32
	ds_load_2addr_b64 v[20:23], v65 offset0:64 offset1:96
	ds_load_2addr_b64 v[24:27], v65 offset0:128 offset1:160
	;; [unrolled: 1-line block ×3, first 2 shown]
	v_and_b32_e32 v65, 0xffff, v38
	s_wait_dscnt 0xd
	v_pk_fma_f16 v66, v42, v143, v67
	v_pk_fma_f16 v67, v43, v143, v142
	;; [unrolled: 1-line block ×4, first 2 shown]
	v_lshrrev_b32_e32 v144, 16, v39
	v_mul_u32_u24_e32 v37, 0x10001, v37
	v_mul_u32_u24_e32 v65, 0x10001, v65
	v_and_b32_e32 v39, 0xffff, v39
	v_and_b32_e32 v145, 0xffff, v32
	v_mul_u32_u24_e32 v144, 0x10001, v144
	s_wait_dscnt 0xc
	v_pk_fma_f16 v66, v54, v37, v66
	v_pk_fma_f16 v67, v55, v37, v67
	;; [unrolled: 1-line block ×4, first 2 shown]
	v_lshrrev_b32_e32 v37, 16, v38
	s_wait_dscnt 0xb
	v_pk_fma_f16 v38, v62, v65, v66
	v_pk_fma_f16 v143, v63, v65, v67
	;; [unrolled: 1-line block ×4, first 2 shown]
	v_mul_u32_u24_e32 v37, 0x10001, v37
	v_lshrrev_b32_e32 v146, 16, v32
	ds_load_2addr_b64 v[40:43], v64 offset1:32
	ds_load_2addr_b64 v[52:55], v64 offset0:64 offset1:96
	ds_load_2addr_b64 v[60:63], v64 offset0:128 offset1:160
	;; [unrolled: 1-line block ×3, first 2 shown]
	s_wait_dscnt 0xe
	v_pk_fma_f16 v38, v70, v37, v38
	v_pk_fma_f16 v70, v71, v37, v143
	;; [unrolled: 1-line block ×4, first 2 shown]
	v_mul_u32_u24_e32 v37, 0x10001, v39
	v_and_b32_e32 v147, 0xffff, v33
	v_dual_lshrrev_b32 v69, 16, v33 :: v_dual_lshrrev_b32 v71, 16, v34
	v_lshrrev_b32_e32 v142, 16, v35
	s_wait_dscnt 0xd
	v_pk_fma_f16 v58, v58, v37, v38
	v_pk_fma_f16 v59, v59, v37, v70
	;; [unrolled: 1-line block ×4, first 2 shown]
	v_mul_u32_u24_e32 v68, 0x10001, v145
	s_wait_dscnt 0xc
	v_pk_fma_f16 v58, v50, v144, v58
	v_pk_fma_f16 v59, v51, v144, v59
	;; [unrolled: 1-line block ×4, first 2 shown]
	v_and_b32_e32 v143, 0xffff, v34
	v_and_b32_e32 v148, 0xffff, v35
	ds_load_2addr_b64 v[32:35], v141 offset1:32
	ds_load_2addr_b64 v[36:39], v141 offset0:64 offset1:96
	ds_load_2addr_b64 v[48:51], v141 offset0:128 offset1:160
	v_dual_lshrrev_b32 v70, 16, v0 :: v_dual_lshrrev_b32 v144, 16, v1
	s_wait_dscnt 0xe
	v_pk_fma_f16 v46, v46, v68, v58
	v_pk_fma_f16 v47, v47, v68, v59
	;; [unrolled: 1-line block ×4, first 2 shown]
	v_dual_lshrrev_b32 v56, 16, v2 :: v_dual_lshrrev_b32 v57, 16, v3
	v_and_b32_e32 v58, 0xffff, v0
	v_and_b32_e32 v59, 0xffff, v1
	;; [unrolled: 1-line block ×4, first 2 shown]
	ds_load_2addr_b64 v[0:3], v141 offset0:192 offset1:224
	v_mul_u32_u24_e32 v141, 0x10001, v146
	v_mul_u32_u24_e32 v146, 0x10001, v147
	s_wait_dscnt 0x0
	s_barrier_signal -1
	s_barrier_wait -1
	v_pk_fma_f16 v6, v6, v141, v46
	v_pk_fma_f16 v7, v7, v141, v47
	v_pk_fma_f16 v4, v4, v141, v44
	v_pk_fma_f16 v5, v5, v141, v45
	v_mul_u32_u24_e32 v44, 0x10001, v69
	v_pk_fma_f16 v6, v10, v146, v6
	v_pk_fma_f16 v7, v11, v146, v7
	v_pk_fma_f16 v4, v8, v146, v4
	v_pk_fma_f16 v5, v9, v146, v5
	v_mul_u32_u24_e32 v8, 0x10001, v143
	;; [unrolled: 5-line block ×9, first 2 shown]
	v_pk_fma_f16 v6, v62, v8, v6
	v_pk_fma_f16 v7, v63, v8, v7
	;; [unrolled: 1-line block ×4, first 2 shown]
	s_load_b32 s2, s[20:21], 0x4
	v_mul_u32_u24_e32 v8, 0x10001, v68
	v_pk_fma_f16 v6, v66, v9, v6
	v_pk_fma_f16 v7, v67, v9, v7
	v_pk_fma_f16 v4, v64, v9, v4
	v_pk_fma_f16 v5, v65, v9, v5
	v_mul_u32_u24_e32 v9, 0x10001, v56
	v_pk_fma_f16 v6, v34, v8, v6
	v_pk_fma_f16 v7, v35, v8, v7
	v_pk_fma_f16 v4, v32, v8, v4
	v_pk_fma_f16 v5, v33, v8, v5
	;; [unrolled: 5-line block ×4, first 2 shown]
	s_wait_kmcnt 0x0
	s_lshl_b32 s2, s2, 5
	v_pk_fma_f16 v33, v2, v9, v6
	v_pk_fma_f16 v32, v3, v9, v7
	;; [unrolled: 1-line block ×4, first 2 shown]
	s_add_co_i32 s4, s2, s4
	s_delay_alu instid0(SALU_CYCLE_1)
	s_cmp_ge_i32 s4, s30
	s_cbranch_scc1 .LBB68_15
; %bb.14:                               ;   in Loop: Header=BB68_9 Depth=1
	v_dual_mov_b32 v35, v108 :: v_dual_mov_b32 v34, v140
	s_branch .LBB68_9
.LBB68_15:
	v_mov_b32_e32 v3, v113
.LBB68_16:
	v_cmp_lt_i32_e32 vcc_lo, v135, v116
	s_cmp_lg_u64 s[12:13], 0
	s_cselect_b32 s2, -1, 0
	s_cmp_eq_u32 s31, 0
	v_cndmask_b32_e32 v0, v3, v135, vcc_lo
	v_cmp_lt_i32_e32 vcc_lo, v136, v116
	s_cselect_b32 s3, -1, 0
	s_delay_alu instid0(SALU_CYCLE_1) | instskip(SKIP_3) | instid1(VALU_DEP_3)
	s_and_b32 s2, s3, s2
	v_cndmask_b32_e32 v1, v3, v136, vcc_lo
	v_lshlrev_b32_e32 v0, 2, v0
	v_cmp_lt_i32_e32 vcc_lo, v137, v116
	v_lshlrev_b32_e32 v1, 2, v1
	ds_bpermute_b32 v0, v0, v140
	v_cndmask_b32_e32 v2, v3, v137, vcc_lo
	v_cmp_lt_i32_e32 vcc_lo, v138, v116
	s_wait_dscnt 0x0
	v_add_f32_e32 v0, v140, v0
	ds_bpermute_b32 v1, v1, v0
	s_wait_dscnt 0x0
	v_dual_lshlrev_b32 v2, 2, v2 :: v_dual_add_f32 v0, v0, v1
	ds_bpermute_b32 v1, v2, v0
	v_cndmask_b32_e32 v2, v3, v138, vcc_lo
	v_cmp_lt_i32_e32 vcc_lo, v139, v116
	s_wait_dscnt 0x0
	s_delay_alu instid0(VALU_DEP_2) | instskip(SKIP_4) | instid1(VALU_DEP_1)
	v_dual_add_f32 v0, v0, v1 :: v_dual_lshlrev_b32 v2, 2, v2
	ds_bpermute_b32 v1, v2, v0
	s_wait_dscnt 0x0
	v_dual_add_f32 v0, v0, v1 :: v_dual_cndmask_b32 v2, v3, v139, vcc_lo
	s_and_b32 vcc_lo, exec_lo, s2
	v_lshlrev_b32_e32 v2, 2, v2
	ds_bpermute_b32 v1, v2, v0
	s_wait_dscnt 0x0
	v_dual_add_f32 v109, v0, v1 :: v_dual_add_nc_u32 v2, s33, v72
	s_cbranch_vccz .LBB68_19
; %bb.17:
	global_load_b32 v1, v2, s[12:13] scale_offset
	s_wait_loadcnt 0x0
	v_dual_max_num_f32 v0, v108, v108 :: v_dual_max_num_f32 v3, v1, v1
	s_delay_alu instid0(VALU_DEP_1) | instskip(NEXT) | instid1(VALU_DEP_1)
	v_max_num_f32_e32 v0, v0, v3
	v_sub_f32_e32 v3, v108, v0
	s_delay_alu instid0(VALU_DEP_1) | instskip(NEXT) | instid1(VALU_DEP_1)
	v_mul_f32_e32 v4, 0x3fb8aa3b, v3
	v_fma_f32 v5, 0x3fb8aa3b, v3, -v4
	s_delay_alu instid0(VALU_DEP_1) | instskip(SKIP_2) | instid1(VALU_DEP_2)
	v_fmac_f32_e32 v5, 0x32a5705f, v3
	v_sub_f32_e32 v1, v1, v0
	v_cmp_ngt_f32_e32 vcc_lo, 0xc2ce8ed0, v3
	v_mul_f32_e32 v7, 0x3fb8aa3b, v1
	v_rndne_f32_e32 v6, v4
	s_delay_alu instid0(VALU_DEP_2) | instskip(NEXT) | instid1(VALU_DEP_2)
	v_rndne_f32_e32 v8, v7
	v_sub_f32_e32 v4, v4, v6
	v_cvt_i32_f32_e32 v6, v6
	s_delay_alu instid0(VALU_DEP_2) | instskip(SKIP_2) | instid1(VALU_DEP_3)
	v_add_f32_e32 v4, v4, v5
	v_fma_f32 v5, 0x3fb8aa3b, v1, -v7
	v_sub_f32_e32 v7, v7, v8
	v_exp_f32_e32 v4, v4
	s_delay_alu instid0(VALU_DEP_2) | instskip(NEXT) | instid1(TRANS32_DEP_1)
	v_fmac_f32_e32 v5, 0x32a5705f, v1
	v_ldexp_f32 v4, v4, v6
	s_delay_alu instid0(VALU_DEP_2) | instskip(SKIP_1) | instid1(VALU_DEP_3)
	v_add_f32_e32 v5, v7, v5
	v_cvt_i32_f32_e32 v6, v8
	v_cndmask_b32_e32 v4, 0, v4, vcc_lo
	s_delay_alu instid0(VALU_DEP_3) | instskip(SKIP_1) | instid1(VALU_DEP_2)
	v_exp_f32_e32 v5, v5
	v_cmp_nlt_f32_e32 vcc_lo, 0x42b17218, v3
	v_cndmask_b32_e32 v3, 0x7f800000, v4, vcc_lo
	s_delay_alu instid0(TRANS32_DEP_1) | instskip(SKIP_1) | instid1(VALU_DEP_3)
	v_ldexp_f32 v4, v5, v6
	v_cmp_ngt_f32_e32 vcc_lo, 0xc2ce8ed0, v1
	v_cvt_f16_f32_e32 v5, v3
	s_delay_alu instid0(VALU_DEP_3) | instskip(SKIP_1) | instid1(VALU_DEP_3)
	v_cndmask_b32_e32 v4, 0, v4, vcc_lo
	v_cmp_nlt_f32_e32 vcc_lo, 0x42b17218, v1
	v_and_b32_e32 v5, 0xffff, v5
	s_delay_alu instid0(VALU_DEP_3) | instskip(NEXT) | instid1(VALU_DEP_2)
	v_cndmask_b32_e32 v1, 0x7f800000, v4, vcc_lo
	v_mul_u32_u24_e32 v4, 0x10001, v5
	s_delay_alu instid0(VALU_DEP_2) | instskip(NEXT) | instid1(VALU_DEP_2)
	v_fmac_f32_e32 v1, v109, v3
	v_pk_mul_f16 v45, v45, v4
	v_pk_mul_f16 v44, v44, v4
	;; [unrolled: 1-line block ×3, first 2 shown]
	s_delay_alu instid0(VALU_DEP_4)
	v_mov_b64_e32 v[108:109], v[0:1]
	v_pk_mul_f16 v32, v32, v4
	s_mov_b32 s2, exec_lo
	v_cmpx_gt_i32_e64 s22, v110
	s_cbranch_execnz .LBB68_20
.LBB68_18:
	s_sendmsg sendmsg(MSG_DEALLOC_VGPRS)
	s_endpgm
.LBB68_19:
	s_delay_alu instid0(VALU_DEP_1)
	v_mov_b32_e32 v1, v109
	s_mov_b32 s2, exec_lo
	v_cmpx_gt_i32_e64 s22, v110
	s_cbranch_execz .LBB68_18
.LBB68_20:
	s_delay_alu instid0(VALU_DEP_2) | instskip(SKIP_3) | instid1(VALU_DEP_3)
	v_div_scale_f32 v5, null, v1, v1, 1.0
	v_mad_u32 v0, s28, s22, v110
	s_load_b32 s1, s[0:1], 0xd4
	v_div_scale_f32 v8, vcc_lo, 1.0, v1, 1.0
	v_rcp_f32_e32 v7, v5
	v_dual_lshrrev_b32 v16, 16, v33 :: v_dual_lshrrev_b32 v17, 16, v32
	v_cvt_f32_f16_e32 v4, v45
	v_cvt_f32_f16_e32 v6, v44
	;; [unrolled: 1-line block ×3, first 2 shown]
	s_wait_xcnt 0x0
	v_cmp_eq_u32_e64 s0, 0, v111
	v_fma_f32 v3, -v5, v7, 1.0
	v_mad_u32 v0, v0, s23, v2
	s_delay_alu instid0(VALU_DEP_2) | instskip(NEXT) | instid1(VALU_DEP_1)
	v_dual_fmac_f32 v7, v3, v7 :: v_dual_mov_b32 v3, 0
	v_mul_f32_e32 v9, v8, v7
	s_wait_kmcnt 0x0
	s_cmp_lg_u32 s1, 1
	s_delay_alu instid0(VALU_DEP_3) | instskip(SKIP_4) | instid1(VALU_DEP_2)
	v_mad_u32 v0, s1, v0, s31
	s_cselect_b32 s1, -1, 0
	v_fma_f32 v2, -v5, v9, v8
	v_lshrrev_b32_e32 v11, 16, v45
	s_and_b32 s0, s0, s1
	v_dual_fmac_f32 v9, v2, v7 :: v_dual_lshrrev_b32 v15, 16, v44
	s_delay_alu instid0(VALU_DEP_1) | instskip(NEXT) | instid1(VALU_DEP_3)
	v_fma_f32 v2, -v5, v9, v8
	v_cvt_f32_f16_e32 v5, v11
	v_cvt_f32_f16_e32 v8, v33
	;; [unrolled: 1-line block ×3, first 2 shown]
	s_delay_alu instid0(VALU_DEP_4) | instskip(SKIP_2) | instid1(VALU_DEP_3)
	v_div_fmas_f32 v7, v2, v7, v9
	v_lshl_add_u32 v2, v0, 8, v73
	v_cvt_f32_f16_e32 v9, v16
	v_div_fixup_f32 v1, v7, v1, 1.0
	s_delay_alu instid0(VALU_DEP_3) | instskip(SKIP_2) | instid1(VALU_DEP_4)
	v_lshl_add_u64 v[12:13], v[2:3], 2, s[16:17]
	v_add_nc_u32_e32 v2, 0x80, v2
	v_cvt_f32_f16_e32 v7, v15
	v_cndmask_b32_e64 v14, v1, 1.0, s1
	s_delay_alu instid0(VALU_DEP_3) | instskip(NEXT) | instid1(VALU_DEP_2)
	v_lshl_add_u64 v[16:17], v[2:3], 2, s[16:17]
	v_pk_mul_f32 v[2:3], v[14:15], v[4:5] op_sel_hi:[0,1]
	s_delay_alu instid0(VALU_DEP_4)
	v_pk_mul_f32 v[4:5], v[14:15], v[6:7] op_sel_hi:[0,1]
	v_pk_mul_f32 v[6:7], v[14:15], v[8:9] op_sel_hi:[0,1]
	;; [unrolled: 1-line block ×3, first 2 shown]
	s_clause 0x1
	global_store_b128 v[12:13], v[2:5], off
	global_store_b128 v[16:17], v[6:9], off
	s_wait_xcnt 0x0
	s_and_b32 exec_lo, exec_lo, s0
	s_cbranch_execz .LBB68_18
; %bb.21:
	global_store_b64 v0, v[108:109], s[18:19] scale_offset
	s_sendmsg sendmsg(MSG_DEALLOC_VGPRS)
	s_endpgm
	.section	.rodata,"a",@progbits
	.p2align	6, 0x0
	.amdhsa_kernel _ZL15flash_attn_tileILi256ELi256ELi2ELi2ELb1EEvPKcS1_S1_S1_S1_PKiPfP15HIP_vector_typeIfLj2EEffffjfiS5_IjLj3EEiiiiiiiiiiiliiliiiiil
		.amdhsa_group_segment_fixed_size 19200
		.amdhsa_private_segment_fixed_size 0
		.amdhsa_kernarg_size 464
		.amdhsa_user_sgpr_count 2
		.amdhsa_user_sgpr_dispatch_ptr 0
		.amdhsa_user_sgpr_queue_ptr 0
		.amdhsa_user_sgpr_kernarg_segment_ptr 1
		.amdhsa_user_sgpr_dispatch_id 0
		.amdhsa_user_sgpr_kernarg_preload_length 0
		.amdhsa_user_sgpr_kernarg_preload_offset 0
		.amdhsa_user_sgpr_private_segment_size 0
		.amdhsa_wavefront_size32 1
		.amdhsa_uses_dynamic_stack 0
		.amdhsa_enable_private_segment 0
		.amdhsa_system_sgpr_workgroup_id_x 1
		.amdhsa_system_sgpr_workgroup_id_y 1
		.amdhsa_system_sgpr_workgroup_id_z 1
		.amdhsa_system_sgpr_workgroup_info 0
		.amdhsa_system_vgpr_workitem_id 1
		.amdhsa_next_free_vgpr 158
		.amdhsa_next_free_sgpr 43
		.amdhsa_named_barrier_count 0
		.amdhsa_reserve_vcc 1
		.amdhsa_float_round_mode_32 0
		.amdhsa_float_round_mode_16_64 0
		.amdhsa_float_denorm_mode_32 3
		.amdhsa_float_denorm_mode_16_64 3
		.amdhsa_fp16_overflow 0
		.amdhsa_memory_ordered 1
		.amdhsa_forward_progress 1
		.amdhsa_inst_pref_size 54
		.amdhsa_round_robin_scheduling 0
		.amdhsa_exception_fp_ieee_invalid_op 0
		.amdhsa_exception_fp_denorm_src 0
		.amdhsa_exception_fp_ieee_div_zero 0
		.amdhsa_exception_fp_ieee_overflow 0
		.amdhsa_exception_fp_ieee_underflow 0
		.amdhsa_exception_fp_ieee_inexact 0
		.amdhsa_exception_int_div_zero 0
	.end_amdhsa_kernel
	.section	.text._ZL15flash_attn_tileILi256ELi256ELi2ELi2ELb1EEvPKcS1_S1_S1_S1_PKiPfP15HIP_vector_typeIfLj2EEffffjfiS5_IjLj3EEiiiiiiiiiiiliiliiiiil,"axG",@progbits,_ZL15flash_attn_tileILi256ELi256ELi2ELi2ELb1EEvPKcS1_S1_S1_S1_PKiPfP15HIP_vector_typeIfLj2EEffffjfiS5_IjLj3EEiiiiiiiiiiiliiliiiiil,comdat
.Lfunc_end68:
	.size	_ZL15flash_attn_tileILi256ELi256ELi2ELi2ELb1EEvPKcS1_S1_S1_S1_PKiPfP15HIP_vector_typeIfLj2EEffffjfiS5_IjLj3EEiiiiiiiiiiiliiliiiiil, .Lfunc_end68-_ZL15flash_attn_tileILi256ELi256ELi2ELi2ELb1EEvPKcS1_S1_S1_S1_PKiPfP15HIP_vector_typeIfLj2EEffffjfiS5_IjLj3EEiiiiiiiiiiiliiliiiiil
                                        ; -- End function
	.set _ZL15flash_attn_tileILi256ELi256ELi2ELi2ELb1EEvPKcS1_S1_S1_S1_PKiPfP15HIP_vector_typeIfLj2EEffffjfiS5_IjLj3EEiiiiiiiiiiiliiliiiiil.num_vgpr, 158
	.set _ZL15flash_attn_tileILi256ELi256ELi2ELi2ELb1EEvPKcS1_S1_S1_S1_PKiPfP15HIP_vector_typeIfLj2EEffffjfiS5_IjLj3EEiiiiiiiiiiiliiliiiiil.num_agpr, 0
	.set _ZL15flash_attn_tileILi256ELi256ELi2ELi2ELb1EEvPKcS1_S1_S1_S1_PKiPfP15HIP_vector_typeIfLj2EEffffjfiS5_IjLj3EEiiiiiiiiiiiliiliiiiil.numbered_sgpr, 43
	.set _ZL15flash_attn_tileILi256ELi256ELi2ELi2ELb1EEvPKcS1_S1_S1_S1_PKiPfP15HIP_vector_typeIfLj2EEffffjfiS5_IjLj3EEiiiiiiiiiiiliiliiiiil.num_named_barrier, 0
	.set _ZL15flash_attn_tileILi256ELi256ELi2ELi2ELb1EEvPKcS1_S1_S1_S1_PKiPfP15HIP_vector_typeIfLj2EEffffjfiS5_IjLj3EEiiiiiiiiiiiliiliiiiil.private_seg_size, 0
	.set _ZL15flash_attn_tileILi256ELi256ELi2ELi2ELb1EEvPKcS1_S1_S1_S1_PKiPfP15HIP_vector_typeIfLj2EEffffjfiS5_IjLj3EEiiiiiiiiiiiliiliiiiil.uses_vcc, 1
	.set _ZL15flash_attn_tileILi256ELi256ELi2ELi2ELb1EEvPKcS1_S1_S1_S1_PKiPfP15HIP_vector_typeIfLj2EEffffjfiS5_IjLj3EEiiiiiiiiiiiliiliiiiil.uses_flat_scratch, 0
	.set _ZL15flash_attn_tileILi256ELi256ELi2ELi2ELb1EEvPKcS1_S1_S1_S1_PKiPfP15HIP_vector_typeIfLj2EEffffjfiS5_IjLj3EEiiiiiiiiiiiliiliiiiil.has_dyn_sized_stack, 0
	.set _ZL15flash_attn_tileILi256ELi256ELi2ELi2ELb1EEvPKcS1_S1_S1_S1_PKiPfP15HIP_vector_typeIfLj2EEffffjfiS5_IjLj3EEiiiiiiiiiiiliiliiiiil.has_recursion, 0
	.set _ZL15flash_attn_tileILi256ELi256ELi2ELi2ELb1EEvPKcS1_S1_S1_S1_PKiPfP15HIP_vector_typeIfLj2EEffffjfiS5_IjLj3EEiiiiiiiiiiiliiliiiiil.has_indirect_call, 0
	.section	.AMDGPU.csdata,"",@progbits
; Kernel info:
; codeLenInByte = 6896
; TotalNumSgprs: 45
; NumVgprs: 158
; ScratchSize: 0
; MemoryBound: 0
; FloatMode: 240
; IeeeMode: 1
; LDSByteSize: 19200 bytes/workgroup (compile time only)
; SGPRBlocks: 0
; VGPRBlocks: 9
; NumSGPRsForWavesPerEU: 45
; NumVGPRsForWavesPerEU: 158
; NamedBarCnt: 0
; Occupancy: 6
; WaveLimiterHint : 1
; COMPUTE_PGM_RSRC2:SCRATCH_EN: 0
; COMPUTE_PGM_RSRC2:USER_SGPR: 2
; COMPUTE_PGM_RSRC2:TRAP_HANDLER: 0
; COMPUTE_PGM_RSRC2:TGID_X_EN: 1
; COMPUTE_PGM_RSRC2:TGID_Y_EN: 1
; COMPUTE_PGM_RSRC2:TGID_Z_EN: 1
; COMPUTE_PGM_RSRC2:TIDIG_COMP_CNT: 1
	.section	.text._ZL15flash_attn_tileILi256ELi256ELi1ELi2ELb1EEvPKcS1_S1_S1_S1_PKiPfP15HIP_vector_typeIfLj2EEffffjfiS5_IjLj3EEiiiiiiiiiiiliiliiiiil,"axG",@progbits,_ZL15flash_attn_tileILi256ELi256ELi1ELi2ELb1EEvPKcS1_S1_S1_S1_PKiPfP15HIP_vector_typeIfLj2EEffffjfiS5_IjLj3EEiiiiiiiiiiiliiliiiiil,comdat
	.globl	_ZL15flash_attn_tileILi256ELi256ELi1ELi2ELb1EEvPKcS1_S1_S1_S1_PKiPfP15HIP_vector_typeIfLj2EEffffjfiS5_IjLj3EEiiiiiiiiiiiliiliiiiil ; -- Begin function _ZL15flash_attn_tileILi256ELi256ELi1ELi2ELb1EEvPKcS1_S1_S1_S1_PKiPfP15HIP_vector_typeIfLj2EEffffjfiS5_IjLj3EEiiiiiiiiiiiliiliiiiil
	.p2align	8
	.type	_ZL15flash_attn_tileILi256ELi256ELi1ELi2ELb1EEvPKcS1_S1_S1_S1_PKiPfP15HIP_vector_typeIfLj2EEffffjfiS5_IjLj3EEiiiiiiiiiiiliiliiiiil,@function
_ZL15flash_attn_tileILi256ELi256ELi1ELi2ELb1EEvPKcS1_S1_S1_S1_PKiPfP15HIP_vector_typeIfLj2EEffffjfiS5_IjLj3EEiiiiiiiiiiiliiliiiiil: ; @_ZL15flash_attn_tileILi256ELi256ELi1ELi2ELb1EEvPKcS1_S1_S1_S1_PKiPfP15HIP_vector_typeIfLj2EEffffjfiS5_IjLj3EEiiiiiiiiiiiliiliiiiil
; %bb.0:
	s_clause 0x1
	s_load_b128 s[20:23], s[0:1], 0x5c
	s_load_b64 s[30:31], s[0:1], 0x80
	s_bfe_u32 s5, ttmp6, 0x40014
	s_lshr_b32 s4, ttmp7, 16
	s_add_co_i32 s5, s5, 1
	s_bfe_u32 s6, ttmp6, 0x40008
	s_mul_i32 s5, s4, s5
	s_load_b64 s[36:37], s[0:1], 0xb8
	s_add_co_i32 s6, s6, s5
	s_mov_b64 s[34:35], 0
	s_wait_kmcnt 0x0
	s_lshr_b32 s2, s23, 31
	s_delay_alu instid0(SALU_CYCLE_1) | instskip(NEXT) | instid1(SALU_CYCLE_1)
	s_add_co_i32 s2, s23, s2
	s_ashr_i32 s3, s2, 1
	s_delay_alu instid0(SALU_CYCLE_1) | instskip(SKIP_1) | instid1(SALU_CYCLE_2)
	s_cvt_f32_u32 s2, s3
	s_sub_co_i32 s8, 0, s3
	v_rcp_iflag_f32_e32 v1, s2
	v_nop
	s_delay_alu instid0(TRANS32_DEP_1) | instskip(SKIP_1) | instid1(SALU_CYCLE_3)
	v_readfirstlane_b32 s2, v1
	s_mul_f32 s2, s2, 0x4f7ffffe
	s_cvt_u32_f32 s7, s2
	s_getreg_b32 s2, hwreg(HW_REG_IB_STS2, 6, 4)
	s_delay_alu instid0(SALU_CYCLE_2) | instskip(NEXT) | instid1(SALU_CYCLE_1)
	s_mul_i32 s8, s8, s7
	s_mul_hi_u32 s8, s7, s8
	s_delay_alu instid0(SALU_CYCLE_1) | instskip(SKIP_2) | instid1(SALU_CYCLE_1)
	s_add_co_i32 s7, s7, s8
	s_cmp_eq_u32 s2, 0
	s_cselect_b32 s4, s4, s6
	s_mul_hi_u32 s5, s4, s7
	s_delay_alu instid0(SALU_CYCLE_1) | instskip(SKIP_2) | instid1(SALU_CYCLE_1)
	s_mul_i32 s6, s5, s3
	s_add_co_i32 s7, s5, 1
	s_sub_co_i32 s6, s4, s6
	s_sub_co_i32 s8, s6, s3
	s_cmp_ge_u32 s6, s3
	s_cselect_b32 s5, s7, s5
	s_cselect_b32 s6, s8, s6
	s_add_co_i32 s7, s5, 1
	s_cmp_ge_u32 s6, s3
	s_cselect_b32 s28, s7, s5
	s_abs_i32 s3, s31
	s_lshl_b32 s4, s4, 1
	s_cvt_f32_u32 s5, s3
	s_sub_co_i32 s6, 0, s3
	s_mul_i32 s7, s28, s23
	s_abs_i32 s8, s23
	v_rcp_iflag_f32_e32 v1, s5
	s_sub_co_i32 s33, s4, s7
	v_nop
	s_delay_alu instid0(TRANS32_DEP_1) | instskip(SKIP_1) | instid1(SALU_CYCLE_3)
	v_readfirstlane_b32 s5, v1
	s_mul_f32 s5, s5, 0x4f7ffffe
	s_cvt_u32_f32 s5, s5
	s_delay_alu instid0(SALU_CYCLE_3) | instskip(NEXT) | instid1(SALU_CYCLE_1)
	s_mul_i32 s6, s6, s5
	s_mul_hi_u32 s6, s5, s6
	s_delay_alu instid0(SALU_CYCLE_1) | instskip(NEXT) | instid1(SALU_CYCLE_1)
	s_add_co_i32 s5, s5, s6
	s_mul_hi_u32 s4, s8, s5
	s_xor_b32 s5, s23, s31
	s_mul_i32 s6, s4, s3
	s_ashr_i32 s24, s5, 31
	s_sub_co_i32 s5, s8, s6
	s_add_co_i32 s6, s4, 1
	s_sub_co_i32 s7, s5, s3
	s_cmp_ge_u32 s5, s3
	s_cselect_b32 s4, s6, s4
	s_cselect_b32 s5, s7, s5
	s_add_co_i32 s6, s4, 1
	s_cmp_ge_u32 s5, s3
	s_cselect_b32 s3, s6, s4
	s_load_b512 s[4:19], s[0:1], 0x0
	s_xor_b32 s3, s3, s24
	s_delay_alu instid0(SALU_CYCLE_1) | instskip(NEXT) | instid1(SALU_CYCLE_1)
	s_sub_co_i32 s29, s3, s24
	s_abs_i32 s38, s29
	s_delay_alu instid0(SALU_CYCLE_1) | instskip(NEXT) | instid1(SALU_CYCLE_3)
	s_cvt_f32_u32 s3, s38
	v_rcp_iflag_f32_e32 v1, s3
	s_mov_b32 s3, 0
	v_nop
	s_delay_alu instid0(TRANS32_DEP_1)
	v_readfirstlane_b32 s24, v1
	s_wait_kmcnt 0x0
	s_cmp_eq_u64 s[10:11], 0
	s_cbranch_scc1 .LBB69_2
; %bb.1:
	s_abs_i32 s25, s36
	s_abs_i32 s31, s28
	s_cvt_f32_u32 s26, s25
	s_sub_co_i32 s27, 0, s25
	s_delay_alu instid0(SALU_CYCLE_2) | instskip(SKIP_1) | instid1(TRANS32_DEP_1)
	v_rcp_iflag_f32_e32 v1, s26
	v_nop
	v_readfirstlane_b32 s26, v1
	s_mul_f32 s26, s26, 0x4f7ffffe
	s_delay_alu instid0(SALU_CYCLE_3) | instskip(NEXT) | instid1(SALU_CYCLE_3)
	s_cvt_u32_f32 s26, s26
	s_mul_i32 s27, s27, s26
	s_delay_alu instid0(SALU_CYCLE_1) | instskip(NEXT) | instid1(SALU_CYCLE_1)
	s_mul_hi_u32 s27, s26, s27
	s_add_co_i32 s26, s26, s27
	s_delay_alu instid0(SALU_CYCLE_1) | instskip(SKIP_2) | instid1(SALU_CYCLE_1)
	s_mul_hi_u32 s34, s31, s26
	s_load_b64 s[26:27], s[0:1], 0xc8
	s_mul_i32 s34, s34, s25
	s_sub_co_i32 s31, s31, s34
	s_ashr_i32 s34, s28, 31
	s_sub_co_i32 s35, s31, s25
	s_cmp_ge_u32 s31, s25
	s_cselect_b32 s31, s35, s31
	s_delay_alu instid0(SALU_CYCLE_1) | instskip(SKIP_2) | instid1(SALU_CYCLE_1)
	s_sub_co_i32 s35, s31, s25
	s_cmp_ge_u32 s31, s25
	s_cselect_b32 s25, s35, s31
	s_xor_b32 s25, s25, s34
	s_delay_alu instid0(SALU_CYCLE_1) | instskip(NEXT) | instid1(SALU_CYCLE_1)
	s_sub_co_i32 s34, s25, s34
	s_ashr_i32 s35, s34, 31
	s_wait_kmcnt 0x0
	s_mul_u64 s[26:27], s[26:27], s[34:35]
	s_delay_alu instid0(SALU_CYCLE_1)
	s_add_nc_u64 s[34:35], s[10:11], s[26:27]
.LBB69_2:
	s_bfe_u32 s10, ttmp6, 0x4000c
	v_dual_lshrrev_b32 v1, 10, v0 :: v_dual_mov_b32 v49, 0
	s_add_co_i32 s10, s10, 1
	s_and_b32 s11, ttmp6, 15
	s_mul_i32 s10, ttmp9, s10
	s_delay_alu instid0(VALU_DEP_1)
	v_bfe_u32 v1, v1, 1, 9
	s_add_co_i32 s11, s11, s10
	s_cmp_eq_u32 s2, 0
	s_load_b96 s[40:42], s[0:1], 0x70
	s_cselect_b32 s10, ttmp9, s11
	v_bfe_u32 v48, v0, 10, 1
	v_add_nc_u32_e32 v78, s10, v1
	v_and_b32_e32 v79, 0x3ff, v0
	v_mov_b32_e32 v3, v49
	s_delay_alu instid0(VALU_DEP_3) | instskip(NEXT) | instid1(VALU_DEP_1)
	v_mul_hi_u32 v1, s20, v78
	v_dual_lshlrev_b32 v8, 4, v79 :: v_dual_add_nc_u32 v1, v78, v1
	s_wait_kmcnt 0x0
	s_mov_b32 s20, s41
	s_mul_i32 s26, s33, s41
	s_delay_alu instid0(SALU_CYCLE_1) | instskip(SKIP_4) | instid1(VALU_DEP_1)
	s_ashr_i32 s27, s26, 31
	v_lshrrev_b32_e32 v1, s21, v1
	s_ashr_i32 s21, s41, 31
	s_ashr_i32 s41, s40, 31
	s_lshr_b64 s[20:21], s[20:21], 2
	v_mul_lo_u32 v1, v1, s22
	v_mul_u64_e32 v[4:5], s[20:21], v[48:49]
	s_lshr_b64 s[20:21], s[40:41], 2
	s_delay_alu instid0(VALU_DEP_2) | instskip(SKIP_2) | instid1(VALU_DEP_3)
	v_sub_nc_u32_e32 v2, v78, v1
	v_bfe_u32 v1, v0, 10, 10
	v_mov_b32_e32 v9, v49
	v_mul_u64_e32 v[6:7], s[20:21], v[2:3]
	s_mul_i32 s20, s28, s42
	s_delay_alu instid0(VALU_DEP_3) | instskip(SKIP_3) | instid1(SALU_CYCLE_1)
	v_lshlrev_b32_e32 v0, 9, v1
	s_ashr_i32 s21, s20, 31
	s_cmp_eq_u64 s[14:15], 0
	s_add_nc_u64 s[4:5], s[4:5], s[20:21]
	s_add_nc_u64 s[4:5], s[4:5], s[26:27]
	v_add_nc_u32_e32 v80, 0x1200, v0
	v_lshl_add_u64 v[4:5], v[4:5], 2, s[4:5]
	s_load_b32 s4, s[0:1], 0x40
	s_delay_alu instid0(VALU_DEP_1) | instskip(NEXT) | instid1(VALU_DEP_1)
	v_lshl_add_u64 v[4:5], v[6:7], 2, v[4:5]
	v_add_nc_u64_e32 v[12:13], v[4:5], v[8:9]
	s_clause 0x1
	global_load_b128 v[4:7], v[12:13], off
	global_load_b128 v[8:11], v[12:13], off offset:512
	s_wait_loadcnt 0x1
	s_wait_kmcnt 0x0
	v_fma_mixlo_f16 v3, s4, v4, 0
	v_fma_mixlo_f16 v4, s4, v5, 0
	;; [unrolled: 1-line block ×4, first 2 shown]
	s_wait_loadcnt 0x0
	v_fma_mixlo_f16 v7, s4, v8, 0
	v_fma_mixlo_f16 v8, s4, v9, 0
	v_dual_lshlrev_b32 v71, 3, v79 :: v_dual_lshlrev_b32 v4, 16, v4
	v_fma_mixlo_f16 v9, s4, v10, 0
	v_fma_mixlo_f16 v10, s4, v11, 0
	v_and_b32_e32 v3, 0xffff, v3
	v_dual_lshlrev_b32 v6, 16, v6 :: v_dual_lshlrev_b32 v8, 16, v8
	v_and_b32_e32 v7, 0xffff, v7
	v_and_b32_e32 v5, 0xffff, v5
	s_delay_alu instid0(VALU_DEP_4) | instskip(SKIP_1) | instid1(VALU_DEP_4)
	v_dual_lshlrev_b32 v10, 16, v10 :: v_dual_bitop2_b32 v3, v4, v3 bitop3:0x54
	v_and_b32_e32 v9, 0xffff, v9
	v_or_b32_e32 v8, v8, v7
	v_add_nc_u32_e32 v11, v80, v71
	v_or3_b32 v5, v6, v5, 0
	v_or3_b32 v4, 0, 0, v3
	;; [unrolled: 1-line block ×4, first 2 shown]
	ds_store_2addr_b64 v11, v[4:5], v[6:7] offset1:32
	s_wait_dscnt 0x0
	s_barrier_signal -1
	s_barrier_wait -1
	s_cbranch_scc1 .LBB69_4
; %bb.3:
	s_load_b32 s4, s[0:1], 0xd0
	s_wait_kmcnt 0x0
	s_mul_i32 s4, s4, s28
	s_delay_alu instid0(SALU_CYCLE_1)
	s_add_co_i32 s4, s4, s10
	s_load_b32 s30, s[14:15], s4 offset:0x0 scale_offset
.LBB69_4:
	s_wait_xcnt 0x0
	s_bfe_u32 s4, ttmp6, 0x40010
	s_and_b32 s5, ttmp7, 0xffff
	s_add_co_i32 s4, s4, 1
	s_bfe_u32 s10, ttmp6, 0x40004
	s_mul_i32 s4, s5, s4
	v_lshlrev_b32_e32 v49, 2, v79
	s_add_co_i32 s10, s10, s4
	s_cmp_eq_u32 s2, 0
	v_mbcnt_lo_u32_b32 v81, -1, 0
	s_cselect_b32 s31, s5, s10
	s_mov_b32 s2, 0
	s_lshl_b32 s4, s31, 5
	s_wait_kmcnt 0x0
	s_cmp_lt_i32 s4, s30
	s_cbranch_scc1 .LBB69_7
; %bb.5:
	v_mbcnt_lo_u32_b32 v3, -1, 0
	s_delay_alu instid0(VALU_DEP_1)
	v_dual_mov_b32 v82, 32 :: v_dual_bitop2_b32 v96, 16, v3 bitop3:0x14
	v_xor_b32_e32 v97, 8, v3
	v_xor_b32_e32 v98, 4, v3
	;; [unrolled: 1-line block ×4, first 2 shown]
	s_and_not1_b32 vcc_lo, exec_lo, s2
	s_cbranch_vccz .LBB69_8
; %bb.6:
	v_dual_mov_b32 v73, 0 :: v_dual_mov_b32 v101, 0
	v_dual_mov_b32 v70, 0xfeffffff :: v_dual_mov_b32 v17, 0
	v_dual_mov_b32 v72, 0 :: v_dual_mov_b32 v16, 0
	s_branch .LBB69_16
.LBB69_7:
                                        ; implicit-def: $vgpr3
                                        ; implicit-def: $vgpr82
                                        ; implicit-def: $vgpr96
                                        ; implicit-def: $vgpr97
                                        ; implicit-def: $vgpr98
                                        ; implicit-def: $vgpr99
                                        ; implicit-def: $vgpr100
.LBB69_8:
	s_mul_f32 s2, s24, 0x4f7ffffe
	s_clause 0x1
	s_load_b128 s[24:27], s[0:1], 0x98
	s_load_b64 s[14:15], s[0:1], 0x8c
	s_sub_co_i32 s5, 0, s38
	s_mov_b32 s11, s3
	s_cvt_u32_f32 s10, s2
	s_abs_i32 s2, s33
	s_load_b64 s[20:21], s[0:1], 0xa8
	v_dual_lshrrev_b32 v3, 3, v79 :: v_dual_bitop2_b32 v4, 28, v49 bitop3:0x40
	s_mul_i32 s5, s5, s10
	s_ashr_i32 s36, s33, 31
	s_mul_hi_u32 s5, s10, s5
	s_ashr_i32 s39, s29, 31
	s_add_co_i32 s10, s10, s5
	s_ashr_i32 s37, s37, 1
	s_mul_u64 s[10:11], s[2:3], s[10:11]
	s_ashr_i32 s29, s28, 31
	s_mul_i32 s3, s11, s38
	s_xor_b32 s5, s36, s39
	s_sub_co_i32 s2, s2, s3
	s_wait_kmcnt 0x0
	s_ashr_i32 s10, s26, 2
	s_ashr_i32 s14, s14, 2
	s_add_co_i32 s3, s11, 1
	s_sub_co_i32 s26, s2, s38
	v_lshl_add_u32 v3, v1, 2, v3
	s_cmp_ge_u32 s2, s38
	v_mul_lo_u32 v6, s10, v1
	s_cselect_b32 s3, s3, s11
	s_cselect_b32 s2, s26, s2
	s_add_co_i32 s11, s3, 1
	v_mul_lo_u32 v50, s14, v3
	s_cmp_ge_u32 s2, s38
	s_load_b32 s26, s[0:1], 0x54
	s_cselect_b32 s2, s11, s3
	v_mad_u32 v89, v2, s37, v79
	s_xor_b32 s11, s2, s5
	s_mul_u64 s[2:3], s[24:25], s[28:29]
	s_sub_co_i32 s5, s11, s5
	s_add_nc_u64 s[2:3], s[6:7], s[2:3]
	s_mul_i32 s24, s5, s15
	s_mul_u64 s[6:7], s[20:21], s[28:29]
	s_mul_i32 s20, s5, s27
	s_lshl_b32 s5, s14, 3
	s_delay_alu instid0(SALU_CYCLE_1)
	v_dual_lshlrev_b32 v5, 2, v4 :: v_dual_add_nc_u32 v52, s5, v50
	v_mov_b32_e32 v57, 0
	s_ashr_i32 s25, s24, 31
	s_add_nc_u64 s[8:9], s[8:9], s[6:7]
	s_add_nc_u64 s[6:7], s[2:3], s[24:25]
	v_add_nc_u32_e32 v54, s5, v52
	s_lshl_b32 s2, s10, 1
	s_delay_alu instid0(SALU_CYCLE_1) | instskip(SKIP_1) | instid1(VALU_DEP_3)
	v_dual_lshlrev_b32 v56, 2, v49 :: v_dual_add_nc_u32 v8, s2, v6
	v_lshl_add_u32 v87, v1, 6, 0x1600
	v_dual_add_nc_u32 v58, s5, v54 :: v_dual_ashrrev_i32 v55, 31, v54
	s_delay_alu instid0(VALU_DEP_3) | instskip(NEXT) | instid1(VALU_DEP_4)
	v_add_nc_u32_e32 v91, v0, v56
	v_dual_add_nc_u32 v2, s2, v8 :: v_dual_ashrrev_i32 v7, 31, v6
	s_delay_alu instid0(VALU_DEP_3) | instskip(SKIP_2) | instid1(VALU_DEP_4)
	v_ashrrev_i32_e32 v59, 31, v58
	v_lshl_add_u32 v1, v1, 9, v56
	v_mad_u32_u24 v83, 0x90, v3, v5
	v_dual_add_nc_u32 v0, s2, v2 :: v_dual_ashrrev_i32 v9, 31, v8
	v_ashrrev_i32_e32 v3, 31, v2
	s_delay_alu instid0(VALU_DEP_4)
	v_dual_mov_b32 v73, v57 :: v_dual_add_nc_u32 v92, 0x400, v1
	v_dual_mov_b32 v16, v57 :: v_dual_add_nc_u32 v93, 0x800, v1
	;; [unrolled: 1-line block ×3, first 2 shown]
	v_ashrrev_i32_e32 v1, 31, v0
	v_lshlrev_b64_e32 v[62:63], 2, v[6:7]
	v_lshlrev_b64_e32 v[64:65], 2, v[8:9]
	;; [unrolled: 1-line block ×3, first 2 shown]
	v_dual_ashrrev_i32 v51, 31, v50 :: v_dual_ashrrev_i32 v53, 31, v52
	v_lshlrev_b64_e32 v[68:69], 2, v[0:1]
	v_dual_mov_b32 v61, v57 :: v_dual_add_nc_u32 v84, 0x480, v83
	v_dual_mov_b32 v82, 32 :: v_dual_add_nc_u32 v85, 0x900, v83
	;; [unrolled: 1-line block ×3, first 2 shown]
	v_mul_u32_u24_e32 v88, 0x90, v79
	v_lshl_add_u32 v90, v79, 1, v87
	v_mov_b32_e32 v18, 0xfeffffff
	v_dual_lshlrev_b32 v60, 2, v4 :: v_dual_mov_b32 v72, v57
	s_ashr_i32 s21, s20, 31
	s_ashr_i32 s15, s14, 31
	s_add_nc_u64 s[8:9], s[8:9], s[20:21]
	s_ashr_i32 s11, s10, 31
	s_add_nc_u64 s[20:21], s[0:1], 0xd0
	s_mov_b32 s24, 0xbbbac73d
.LBB69_9:                               ; =>This Inner Loop Header: Depth=1
	s_ashr_i32 s5, s4, 31
	s_delay_alu instid0(SALU_CYCLE_1) | instskip(NEXT) | instid1(SALU_CYCLE_1)
	s_mul_u64 s[2:3], s[4:5], s[14:15]
	s_lshl_b64 s[2:3], s[2:3], 2
	s_delay_alu instid0(SALU_CYCLE_1) | instskip(NEXT) | instid1(SALU_CYCLE_1)
	s_add_nc_u64 s[2:3], s[6:7], s[2:3]
	v_lshl_add_u64 v[0:1], v[50:51], 2, s[2:3]
	v_lshl_add_u64 v[2:3], v[52:53], 2, s[2:3]
	;; [unrolled: 1-line block ×4, first 2 shown]
	s_delay_alu instid0(VALU_DEP_4) | instskip(NEXT) | instid1(VALU_DEP_4)
	v_add_nc_u64_e32 v[6:7], v[0:1], v[60:61]
	v_add_nc_u64_e32 v[4:5], v[2:3], v[60:61]
	s_delay_alu instid0(VALU_DEP_4) | instskip(NEXT) | instid1(VALU_DEP_4)
	v_add_nc_u64_e32 v[2:3], v[8:9], v[60:61]
	v_add_nc_u64_e32 v[0:1], v[10:11], v[60:61]
	s_clause 0x3
	global_load_b128 v[8:11], v[6:7], off
	global_load_b128 v[12:15], v[4:5], off
	;; [unrolled: 1-line block ×4, first 2 shown]
	s_wait_loadcnt 0x3
	ds_store_b128 v83, v[8:11]
	s_wait_loadcnt 0x2
	ds_store_b128 v84, v[12:15]
	;; [unrolled: 2-line block ×4, first 2 shown]
	s_wait_dscnt 0x0
	s_barrier_signal -1
	s_barrier_wait -1
	ds_load_b128 v[8:11], v88
	ds_load_b128 v[12:15], v80
	v_mov_b32_e32 v21, 0
                                        ; implicit-def: $vgpr20
	s_wait_dscnt 0x0
	;;#ASMSTART
	v_dot2_f32_f16 v21, v8, v12, v21
	;;#ASMEND
	;;#ASMSTART
	v_dot2_f32_f16 v21, v9, v13, v21
	;;#ASMEND
	;;#ASMSTART
	v_dot2_f32_f16 v21, v10, v14, v21
	;;#ASMEND
	;;#ASMSTART
	v_dot2_f32_f16 v21, v11, v15, v21
	;;#ASMEND
	ds_load_b128 v[8:11], v88 offset:16
	ds_load_b128 v[12:15], v80 offset:16
	s_wait_dscnt 0x0
	;;#ASMSTART
	v_dot2_f32_f16 v21, v8, v12, v21
	;;#ASMEND
	;;#ASMSTART
	v_dot2_f32_f16 v21, v9, v13, v21
	;;#ASMEND
	;;#ASMSTART
	v_dot2_f32_f16 v21, v10, v14, v21
	;;#ASMEND
	;;#ASMSTART
	v_dot2_f32_f16 v21, v11, v15, v21
	;;#ASMEND
	ds_load_b128 v[8:11], v88 offset:32
	ds_load_b128 v[12:15], v80 offset:32
	;; [unrolled: 15-line block ×7, first 2 shown]
	s_wait_dscnt 0x0
	;;#ASMSTART
	v_dot2_f32_f16 v21, v8, v12, v21
	;;#ASMEND
	;;#ASMSTART
	v_dot2_f32_f16 v21, v9, v13, v21
	;;#ASMEND
	;; [unrolled: 3-line block ×4, first 2 shown]
	s_barrier_signal -1
	s_barrier_wait -1
	s_clause 0x3
	global_load_b128 v[8:11], v[6:7], off offset:128
	global_load_b128 v[12:15], v[4:5], off offset:128
	;; [unrolled: 1-line block ×4, first 2 shown]
	s_wait_loadcnt 0x3
	ds_store_b128 v83, v[8:11]
	s_wait_loadcnt 0x2
	ds_store_b128 v84, v[12:15]
	;; [unrolled: 2-line block ×4, first 2 shown]
	s_wait_dscnt 0x0
	s_barrier_signal -1
	s_barrier_wait -1
	ds_load_b128 v[8:11], v88
	ds_load_b128 v[12:15], v80 offset:128
	s_wait_dscnt 0x0
	;;#ASMSTART
	v_dot2_f32_f16 v21, v8, v12, v21
	;;#ASMEND
	;;#ASMSTART
	v_dot2_f32_f16 v21, v9, v13, v21
	;;#ASMEND
	;;#ASMSTART
	v_dot2_f32_f16 v21, v10, v14, v21
	;;#ASMEND
	;;#ASMSTART
	v_dot2_f32_f16 v21, v11, v15, v21
	;;#ASMEND
	ds_load_b128 v[8:11], v88 offset:16
	ds_load_b128 v[12:15], v80 offset:144
	s_wait_dscnt 0x0
	;;#ASMSTART
	v_dot2_f32_f16 v21, v8, v12, v21
	;;#ASMEND
	;;#ASMSTART
	v_dot2_f32_f16 v21, v9, v13, v21
	;;#ASMEND
	;;#ASMSTART
	v_dot2_f32_f16 v21, v10, v14, v21
	;;#ASMEND
	;;#ASMSTART
	v_dot2_f32_f16 v21, v11, v15, v21
	;;#ASMEND
	ds_load_b128 v[8:11], v88 offset:32
	;; [unrolled: 15-line block ×7, first 2 shown]
	ds_load_b128 v[12:15], v80 offset:240
	s_wait_dscnt 0x0
	;;#ASMSTART
	v_dot2_f32_f16 v21, v8, v12, v21
	;;#ASMEND
	;;#ASMSTART
	v_dot2_f32_f16 v21, v9, v13, v21
	;;#ASMEND
	;; [unrolled: 3-line block ×4, first 2 shown]
	s_barrier_signal -1
	s_barrier_wait -1
	s_clause 0x3
	global_load_b128 v[8:11], v[6:7], off offset:256
	global_load_b128 v[12:15], v[4:5], off offset:256
	;; [unrolled: 1-line block ×4, first 2 shown]
	s_wait_loadcnt 0x3
	ds_store_b128 v83, v[8:11]
	s_wait_loadcnt 0x2
	ds_store_b128 v84, v[12:15]
	;; [unrolled: 2-line block ×4, first 2 shown]
	s_wait_dscnt 0x0
	s_barrier_signal -1
	s_barrier_wait -1
	ds_load_b128 v[8:11], v88
	ds_load_b128 v[12:15], v80 offset:256
	s_wait_dscnt 0x0
	;;#ASMSTART
	v_dot2_f32_f16 v21, v8, v12, v21
	;;#ASMEND
	;;#ASMSTART
	v_dot2_f32_f16 v21, v9, v13, v21
	;;#ASMEND
	;;#ASMSTART
	v_dot2_f32_f16 v21, v10, v14, v21
	;;#ASMEND
	;;#ASMSTART
	v_dot2_f32_f16 v21, v11, v15, v21
	;;#ASMEND
	ds_load_b128 v[8:11], v88 offset:16
	ds_load_b128 v[12:15], v80 offset:272
	s_wait_dscnt 0x0
	;;#ASMSTART
	v_dot2_f32_f16 v21, v8, v12, v21
	;;#ASMEND
	;;#ASMSTART
	v_dot2_f32_f16 v21, v9, v13, v21
	;;#ASMEND
	;;#ASMSTART
	v_dot2_f32_f16 v21, v10, v14, v21
	;;#ASMEND
	;;#ASMSTART
	v_dot2_f32_f16 v21, v11, v15, v21
	;;#ASMEND
	ds_load_b128 v[8:11], v88 offset:32
	;; [unrolled: 15-line block ×7, first 2 shown]
	ds_load_b128 v[12:15], v80 offset:368
	s_wait_dscnt 0x0
	;;#ASMSTART
	v_dot2_f32_f16 v21, v8, v12, v21
	;;#ASMEND
	;;#ASMSTART
	v_dot2_f32_f16 v21, v9, v13, v21
	;;#ASMEND
	;; [unrolled: 3-line block ×4, first 2 shown]
	s_barrier_signal -1
	s_barrier_wait -1
	s_clause 0x3
	global_load_b128 v[6:9], v[6:7], off offset:384
	global_load_b128 v[10:13], v[4:5], off offset:384
	;; [unrolled: 1-line block ×4, first 2 shown]
	s_wait_loadcnt 0x3
	ds_store_b128 v83, v[6:9]
	s_wait_loadcnt 0x2
	ds_store_b128 v84, v[10:13]
	s_wait_loadcnt 0x1
	ds_store_b128 v85, v[2:5]
	s_wait_loadcnt 0x0
	ds_store_b128 v86, v[22:25]
	s_wait_dscnt 0x0
	s_barrier_signal -1
	s_barrier_wait -1
	ds_load_b128 v[0:3], v88
	ds_load_b128 v[4:7], v80 offset:384
	s_wait_dscnt 0x0
	;;#ASMSTART
	v_dot2_f32_f16 v21, v0, v4, v21
	;;#ASMEND
	;;#ASMSTART
	v_dot2_f32_f16 v21, v1, v5, v21
	;;#ASMEND
	;;#ASMSTART
	v_dot2_f32_f16 v21, v2, v6, v21
	;;#ASMEND
	;;#ASMSTART
	v_dot2_f32_f16 v21, v3, v7, v21
	;;#ASMEND
	ds_load_b128 v[0:3], v88 offset:16
	ds_load_b128 v[4:7], v80 offset:400
	s_wait_dscnt 0x0
	;;#ASMSTART
	v_dot2_f32_f16 v21, v0, v4, v21
	;;#ASMEND
	;;#ASMSTART
	v_dot2_f32_f16 v21, v1, v5, v21
	;;#ASMEND
	;;#ASMSTART
	v_dot2_f32_f16 v21, v2, v6, v21
	;;#ASMEND
	;;#ASMSTART
	v_dot2_f32_f16 v21, v3, v7, v21
	;;#ASMEND
	ds_load_b128 v[0:3], v88 offset:32
	;; [unrolled: 15-line block ×7, first 2 shown]
	ds_load_b128 v[4:7], v80 offset:496
	v_add_nc_u32_e32 v8, s4, v89
	s_wait_dscnt 0x0
	;;#ASMSTART
	v_dot2_f32_f16 v21, v0, v4, v21
	;;#ASMEND
	;;#ASMSTART
	v_dot2_f32_f16 v21, v1, v5, v21
	;;#ASMEND
	;; [unrolled: 3-line block ×4, first 2 shown]
	global_load_u16 v19, v8, s[34:35] scale_offset
	v_cmp_ngt_f32_e64 s2, 0x3f200000, |v21|
	s_wait_xcnt 0x0
	s_and_saveexec_b32 s3, s2
	s_delay_alu instid0(SALU_CYCLE_1)
	s_xor_b32 s2, exec_lo, s3
	s_cbranch_execz .LBB69_11
; %bb.10:                               ;   in Loop: Header=BB69_9 Depth=1
	v_add_f32_e64 v0, |v21|, |v21|
	s_delay_alu instid0(VALU_DEP_1) | instskip(SKIP_1) | instid1(VALU_DEP_2)
	v_mul_f32_e32 v1, 0x3fb8aa3b, v0
	v_cmp_ngt_f32_e32 vcc_lo, 0xc2ce8ed0, v0
	v_rndne_f32_e32 v2, v1
	v_fma_f32 v3, 0x3fb8aa3b, v0, -v1
	s_delay_alu instid0(VALU_DEP_2) | instskip(NEXT) | instid1(VALU_DEP_2)
	v_sub_f32_e32 v1, v1, v2
	v_fmac_f32_e32 v3, 0x32a5705f, v0
	v_cvt_i32_f32_e32 v2, v2
	s_delay_alu instid0(VALU_DEP_2) | instskip(NEXT) | instid1(VALU_DEP_1)
	v_add_f32_e32 v1, v1, v3
	v_exp_f32_e32 v1, v1
	v_nop
	s_delay_alu instid0(TRANS32_DEP_1) | instskip(NEXT) | instid1(VALU_DEP_1)
	v_ldexp_f32 v1, v1, v2
	v_cndmask_b32_e32 v1, 0, v1, vcc_lo
	v_cmp_nlt_f32_e32 vcc_lo, 0x42b17218, v0
	s_delay_alu instid0(VALU_DEP_2) | instskip(NEXT) | instid1(VALU_DEP_1)
	v_cndmask_b32_e32 v0, 0x7f800000, v1, vcc_lo
	v_add_f32_e32 v0, 1.0, v0
	s_delay_alu instid0(VALU_DEP_1) | instskip(SKIP_1) | instid1(TRANS32_DEP_1)
	v_rcp_f32_e32 v0, v0
	v_nop
	v_fma_f32 v20, v0, -2.0, 1.0
.LBB69_11:                              ;   in Loop: Header=BB69_9 Depth=1
	s_and_not1_saveexec_b32 s2, s2
	s_cbranch_execz .LBB69_13
; %bb.12:                               ;   in Loop: Header=BB69_9 Depth=1
	v_mul_f32_e32 v0, v21, v21
	s_delay_alu instid0(VALU_DEP_1) | instskip(NEXT) | instid1(VALU_DEP_1)
	v_fmaak_f32 v1, s24, v0, 0x3ca908c9
	v_fmaak_f32 v1, v0, v1, 0xbd5c1c4e
	s_delay_alu instid0(VALU_DEP_1) | instskip(NEXT) | instid1(VALU_DEP_1)
	v_fmaak_f32 v1, v0, v1, 0x3e088382
	v_fmaak_f32 v1, v0, v1, 0xbeaaaa99
	s_delay_alu instid0(VALU_DEP_1) | instskip(NEXT) | instid1(VALU_DEP_1)
	v_mul_f32_e64 v1, |v21|, v1
	v_fma_f32 v20, v0, v1, |v21|
.LBB69_13:                              ;   in Loop: Header=BB69_9 Depth=1
	s_or_b32 exec_lo, exec_lo, s2
	s_mul_u64 s[2:3], s[4:5], s[10:11]
	s_wait_loadcnt 0x0
	s_lshl_b64 s[2:3], s[2:3], 2
	s_barrier_signal -1
	s_add_nc_u64 s[2:3], s[8:9], s[2:3]
	s_barrier_wait -1
	v_add_nc_u64_e32 v[0:1], s[2:3], v[62:63]
	v_add_nc_u64_e32 v[2:3], s[2:3], v[64:65]
	;; [unrolled: 1-line block ×4, first 2 shown]
	v_xor_b32_e32 v96, 16, v81
	v_bfi_b32 v20, 0x7fffffff, v20, v21
	v_add_nc_u64_e32 v[0:1], v[0:1], v[56:57]
	v_add_nc_u64_e32 v[8:9], v[2:3], v[56:57]
	;; [unrolled: 1-line block ×4, first 2 shown]
	s_wait_kmcnt 0x0
	v_fma_mix_f32 v19, s26, v20, v19 op_sel_hi:[0,0,1]
	v_max_num_f32_e32 v20, v18, v18
	v_cmp_gt_i32_e32 vcc_lo, 32, v96
	s_clause 0x3
	global_load_b128 v[0:3], v[0:1], off
	global_load_b128 v[4:7], v[8:9], off
	global_load_b128 v[8:11], v[10:11], off
	global_load_b128 v[12:15], v[12:13], off
	v_xor_b32_e32 v97, 8, v81
	v_add_f32_e32 v22, 0x40051340, v19
	v_dual_cndmask_b32 v21, v81, v96, vcc_lo :: v_dual_bitop2_b32 v100, 1, v81 bitop3:0x14
	v_xor_b32_e32 v99, 2, v81
	s_delay_alu instid0(VALU_DEP_4) | instskip(NEXT) | instid1(VALU_DEP_4)
	v_cmp_gt_i32_e32 vcc_lo, 32, v97
	v_dual_max_num_f32 v20, v20, v22 :: v_dual_bitop2_b32 v98, 4, v81 bitop3:0x14
	s_delay_alu instid0(VALU_DEP_4)
	v_lshlrev_b32_e32 v21, 2, v21
	s_or_b32 s36, s4, 8
	v_cndmask_b32_e32 v22, v81, v97, vcc_lo
	s_ashr_i32 s37, s36, 31
	v_cmp_gt_i32_e32 vcc_lo, 32, v98
	ds_bpermute_b32 v21, v21, v20
	v_add_nc_u32_e32 v102, 0x800, v71
	s_wait_dscnt 0x0
	v_dual_max_num_f32 v21, v21, v21 :: v_dual_lshlrev_b32 v22, 2, v22
	s_delay_alu instid0(VALU_DEP_1) | instskip(SKIP_4) | instid1(VALU_DEP_2)
	v_max_num_f32_e32 v20, v20, v21
	ds_bpermute_b32 v21, v22, v20
	v_cndmask_b32_e32 v22, v81, v98, vcc_lo
	v_cmp_gt_i32_e32 vcc_lo, 32, v99
	s_wait_dscnt 0x0
	v_dual_max_num_f32 v21, v21, v21 :: v_dual_lshlrev_b32 v22, 2, v22
	s_delay_alu instid0(VALU_DEP_1) | instskip(SKIP_4) | instid1(VALU_DEP_2)
	v_max_num_f32_e32 v20, v20, v21
	ds_bpermute_b32 v21, v22, v20
	v_cndmask_b32_e32 v22, v81, v99, vcc_lo
	v_cmp_gt_i32_e32 vcc_lo, 32, v100
	s_wait_dscnt 0x0
	v_dual_max_num_f32 v21, v21, v21 :: v_dual_lshlrev_b32 v22, 2, v22
	s_delay_alu instid0(VALU_DEP_1) | instskip(SKIP_3) | instid1(VALU_DEP_1)
	v_max_num_f32_e32 v20, v20, v21
	ds_bpermute_b32 v21, v22, v20
	v_cndmask_b32_e32 v22, v81, v100, vcc_lo
	s_wait_dscnt 0x0
	v_dual_max_num_f32 v21, v21, v21 :: v_dual_lshlrev_b32 v22, 2, v22
	s_delay_alu instid0(VALU_DEP_1) | instskip(SKIP_3) | instid1(VALU_DEP_1)
	v_max_num_f32_e32 v20, v20, v21
	ds_bpermute_b32 v21, v22, v20
	s_wait_dscnt 0x0
	v_max_num_f32_e32 v21, v21, v21
	v_max_num_f32_e32 v70, v20, v21
	s_delay_alu instid0(VALU_DEP_1) | instskip(NEXT) | instid1(VALU_DEP_1)
	v_sub_f32_e32 v18, v18, v70
	v_mul_f32_e32 v21, 0x3fb8aa3b, v18
	v_sub_f32_e32 v19, v19, v70
	s_delay_alu instid0(VALU_DEP_2) | instskip(NEXT) | instid1(VALU_DEP_2)
	v_rndne_f32_e32 v25, v21
	v_mul_f32_e32 v20, 0x3fb8aa3b, v19
	v_cmp_ngt_f32_e32 vcc_lo, 0xc2ce8ed0, v19
	v_cmp_nlt_f32_e64 s2, 0x42b17218, v19
	s_delay_alu instid0(VALU_DEP_3) | instskip(SKIP_1) | instid1(VALU_DEP_2)
	v_rndne_f32_e32 v23, v20
	v_fma_f32 v22, 0x3fb8aa3b, v19, -v20
	v_sub_f32_e32 v20, v20, v23
	v_fma_f32 v24, 0x3fb8aa3b, v18, -v21
	v_sub_f32_e32 v21, v21, v25
	v_cmp_ngt_f32_e64 s3, 0xc2ce8ed0, v18
	s_delay_alu instid0(VALU_DEP_3) | instskip(NEXT) | instid1(VALU_DEP_1)
	v_fmac_f32_e32 v24, 0x32a5705f, v18
	v_dual_fmac_f32 v22, 0x32a5705f, v19 :: v_dual_add_f32 v21, v21, v24
	s_delay_alu instid0(VALU_DEP_1) | instskip(SKIP_2) | instid1(VALU_DEP_4)
	v_add_f32_e32 v20, v20, v22
	v_cvt_i32_f32_e32 v22, v23
	v_cvt_i32_f32_e32 v23, v25
	v_exp_f32_e32 v21, v21
	s_delay_alu instid0(VALU_DEP_3) | instskip(NEXT) | instid1(TRANS32_DEP_2)
	v_exp_f32_e32 v20, v20
	v_ldexp_f32 v19, v21, v23
	s_delay_alu instid0(TRANS32_DEP_1) | instskip(NEXT) | instid1(VALU_DEP_1)
	v_ldexp_f32 v20, v20, v22
	v_cndmask_b32_e32 v20, 0, v20, vcc_lo
	v_cmp_nlt_f32_e32 vcc_lo, 0x42b17218, v18
	s_delay_alu instid0(VALU_DEP_4) | instskip(NEXT) | instid1(VALU_DEP_3)
	v_cndmask_b32_e64 v18, 0, v19, s3
	v_cndmask_b32_e64 v101, 0x7f800000, v20, s2
	s_mul_u64 s[2:3], s[36:37], s[10:11]
	s_delay_alu instid0(SALU_CYCLE_1) | instskip(NEXT) | instid1(VALU_DEP_1)
	s_lshl_b64 s[2:3], s[2:3], 2
	v_cvt_f16_f32_e32 v20, v101
	s_add_nc_u64 s[2:3], s[8:9], s[2:3]
	ds_store_b16 v90, v20
	s_wait_loadcnt 0x3
	ds_store_b128 v91, v[0:3]
	s_wait_loadcnt 0x2
	ds_store_b128 v92, v[4:7]
	;; [unrolled: 2-line block ×4, first 2 shown]
	s_wait_dscnt 0x0
	s_barrier_signal -1
	s_barrier_wait -1
	ds_load_b128 v[0:3], v87
	v_cndmask_b32_e32 v103, 0x7f800000, v18, vcc_lo
	ds_load_2addr_b64 v[32:35], v71 offset1:32
	v_add_nc_u64_e32 v[18:19], s[2:3], v[62:63]
	v_add_nc_u64_e32 v[6:7], s[2:3], v[66:67]
	;; [unrolled: 1-line block ×4, first 2 shown]
	s_or_b32 s2, s4, 16
	s_delay_alu instid0(SALU_CYCLE_1) | instskip(NEXT) | instid1(VALU_DEP_4)
	s_ashr_i32 s3, s2, 31
	v_add_nc_u64_e32 v[24:25], v[18:19], v[56:57]
	s_delay_alu instid0(VALU_DEP_4) | instskip(NEXT) | instid1(VALU_DEP_4)
	v_add_nc_u64_e32 v[36:37], v[6:7], v[56:57]
	v_add_nc_u64_e32 v[28:29], v[4:5], v[56:57]
	s_delay_alu instid0(VALU_DEP_4) | instskip(SKIP_1) | instid1(SALU_CYCLE_1)
	v_add_nc_u64_e32 v[38:39], v[8:9], v[56:57]
	s_mul_u64 s[2:3], s[2:3], s[10:11]
	s_lshl_b64 s[2:3], s[2:3], 2
	s_delay_alu instid0(SALU_CYCLE_1)
	s_add_nc_u64 s[2:3], s[8:9], s[2:3]
	s_wait_dscnt 0x1
	v_and_b32_e32 v26, 0xffff, v0
	v_lshrrev_b32_e32 v0, 16, v0
	v_cvt_f16_f32_e32 v21, v103
	v_and_b32_e32 v105, 0xffff, v1
	v_lshrrev_b32_e32 v1, 16, v1
	v_mul_u32_u24_e32 v77, 0x10001, v26
	v_mul_u32_u24_e32 v0, 0x10001, v0
	v_and_b32_e32 v10, 0xffff, v21
	s_delay_alu instid0(VALU_DEP_4) | instskip(SKIP_2) | instid1(VALU_DEP_3)
	v_mul_u32_u24_e32 v1, 0x10001, v1
	s_wait_dscnt 0x0
	v_pk_mul_f16 v104, v32, v77
	v_mul_u32_u24_e32 v74, 0x10001, v10
	s_delay_alu instid0(VALU_DEP_1)
	v_pk_mul_f16 v75, v17, v74
	v_pk_mul_f16 v76, v16, v74
	ds_load_2addr_b64 v[44:47], v71 offset0:64 offset1:96
	ds_load_2addr_b64 v[40:43], v71 offset0:128 offset1:160
	;; [unrolled: 1-line block ×3, first 2 shown]
	ds_load_2addr_b64 v[16:19], v102 offset1:32
	ds_load_2addr_b64 v[12:15], v102 offset0:64 offset1:96
	ds_load_2addr_b64 v[8:11], v102 offset0:128 offset1:160
	;; [unrolled: 1-line block ×3, first 2 shown]
	s_wait_dscnt 0x0
	s_barrier_signal -1
	s_barrier_wait -1
	s_clause 0x1
	global_load_b128 v[24:27], v[24:25], off
	global_load_b128 v[28:31], v[28:29], off
	v_pk_fma_f16 v75, v34, v77, v75
	v_pk_fma_f16 v76, v35, v77, v76
	v_pk_mul_f16 v77, v33, v77
	s_clause 0x1
	global_load_b128 v[32:35], v[36:37], off
	global_load_b128 v[36:39], v[38:39], off
	v_pk_fma_f16 v104, v73, v74, v104
	s_wait_loadcnt 0x3
	ds_store_b128 v91, v[24:27]
	s_wait_loadcnt 0x2
	ds_store_b128 v92, v[28:31]
	;; [unrolled: 2-line block ×4, first 2 shown]
	v_pk_fma_f16 v74, v72, v74, v77
	v_pk_fma_f16 v75, v46, v0, v75
	;; [unrolled: 1-line block ×4, first 2 shown]
	v_mul_u32_u24_e32 v77, 0x10001, v105
	v_pk_fma_f16 v0, v45, v0, v74
	v_add_nc_u64_e32 v[44:45], s[2:3], v[64:65]
	s_wait_dscnt 0x0
	s_barrier_signal -1
	v_pk_fma_f16 v42, v42, v77, v75
	v_pk_fma_f16 v43, v43, v77, v76
	;; [unrolled: 1-line block ×4, first 2 shown]
	v_add_nc_u64_e32 v[76:77], v[44:45], v[56:57]
	v_and_b32_e32 v44, 0xffff, v2
	v_pk_fma_f16 v22, v22, v1, v42
	v_pk_fma_f16 v23, v23, v1, v43
	;; [unrolled: 1-line block ×4, first 2 shown]
	v_mul_u32_u24_e32 v44, 0x10001, v44
	s_barrier_wait -1
	v_lshrrev_b32_e32 v2, 16, v2
	v_and_b32_e32 v45, 0xffff, v3
	s_delay_alu instid0(VALU_DEP_3)
	v_pk_fma_f16 v1, v18, v44, v22
	v_pk_fma_f16 v21, v19, v44, v23
	;; [unrolled: 1-line block ×4, first 2 shown]
	ds_load_b128 v[16:19], v87 offset:16
	v_mul_u32_u24_e32 v2, 0x10001, v2
	ds_load_2addr_b64 v[36:39], v71 offset1:32
	v_add_nc_u64_e32 v[72:73], s[2:3], v[62:63]
	v_add_nc_u64_e32 v[46:47], s[2:3], v[66:67]
	v_lshrrev_b32_e32 v3, 16, v3
	v_mul_u32_u24_e32 v42, 0x10001, v45
	v_pk_fma_f16 v1, v14, v2, v1
	v_pk_fma_f16 v14, v15, v2, v21
	;; [unrolled: 1-line block ×4, first 2 shown]
	v_add_nc_u64_e32 v[40:41], s[2:3], v[68:69]
	v_add_nc_u64_e32 v[72:73], v[72:73], v[56:57]
	v_pk_fma_f16 v1, v10, v42, v1
	v_pk_fma_f16 v2, v11, v42, v14
	;; [unrolled: 1-line block ×4, first 2 shown]
	v_add_nc_u64_e32 v[74:75], v[46:47], v[56:57]
	v_add_nc_u64_e32 v[104:105], v[40:41], v[56:57]
	s_or_b32 s2, s4, 24
	s_wait_dscnt 0x1
	v_and_b32_e32 v24, 0xffff, v16
	v_lshrrev_b32_e32 v16, 16, v16
	v_mul_u32_u24_e32 v3, 0x10001, v3
	s_ashr_i32 s3, s2, 31
	s_delay_alu instid0(VALU_DEP_3) | instskip(SKIP_1) | instid1(VALU_DEP_2)
	v_mul_u32_u24_e32 v110, 0x10001, v24
	s_mul_u64 s[2:3], s[2:3], s[10:11]
	v_pk_fma_f16 v106, v6, v3, v1
	v_pk_fma_f16 v107, v7, v3, v2
	;; [unrolled: 1-line block ×4, first 2 shown]
	ds_load_2addr_b64 v[44:47], v71 offset0:64 offset1:96
	ds_load_2addr_b64 v[40:43], v71 offset0:128 offset1:160
	;; [unrolled: 1-line block ×3, first 2 shown]
	ds_load_2addr_b64 v[12:15], v102 offset1:32
	ds_load_2addr_b64 v[8:11], v102 offset0:64 offset1:96
	ds_load_2addr_b64 v[4:7], v102 offset0:128 offset1:160
	;; [unrolled: 1-line block ×3, first 2 shown]
	s_wait_dscnt 0x0
	s_barrier_signal -1
	s_barrier_wait -1
	s_clause 0x2
	global_load_b128 v[24:27], v[72:73], off
	global_load_b128 v[28:31], v[76:77], off
	;; [unrolled: 1-line block ×3, first 2 shown]
	s_wait_xcnt 0x0
	v_pk_fma_f16 v74, v36, v110, v108
	v_pk_fma_f16 v75, v37, v110, v109
	;; [unrolled: 1-line block ×4, first 2 shown]
	global_load_b128 v[36:39], v[104:105], off
	s_lshl_b64 s[2:3], s[2:3], 2
	s_wait_xcnt 0x0
	v_and_b32_e32 v104, 0xffff, v17
	v_mul_u32_u24_e32 v16, 0x10001, v16
	s_add_nc_u64 s[2:3], s[8:9], s[2:3]
	s_wait_loadcnt 0x3
	ds_store_b128 v91, v[24:27]
	s_wait_loadcnt 0x2
	ds_store_b128 v92, v[28:31]
	;; [unrolled: 2-line block ×4, first 2 shown]
	v_add_nc_u64_e32 v[72:73], s[2:3], v[62:63]
	v_mul_u32_u24_e32 v104, 0x10001, v104
	v_pk_fma_f16 v74, v44, v16, v74
	v_pk_fma_f16 v75, v45, v16, v75
	v_add_nc_u64_e32 v[44:45], s[2:3], v[64:65]
	v_pk_fma_f16 v76, v46, v16, v76
	v_pk_fma_f16 v16, v47, v16, v77
	;; [unrolled: 1-line block ×4, first 2 shown]
	v_add_nc_u64_e32 v[40:41], v[72:73], v[56:57]
	v_lshrrev_b32_e32 v72, 16, v17
	v_pk_fma_f16 v76, v42, v104, v76
	v_pk_fma_f16 v104, v43, v104, v16
	v_add_nc_u64_e32 v[42:43], v[44:45], v[56:57]
	v_and_b32_e32 v44, 0xffff, v18
	v_lshrrev_b32_e32 v18, 16, v18
	v_mul_u32_u24_e32 v45, 0x10001, v72
	v_add_nc_u64_e32 v[46:47], s[2:3], v[66:67]
	s_wait_dscnt 0x0
	v_mul_u32_u24_e32 v44, 0x10001, v44
	v_mul_u32_u24_e32 v18, 0x10001, v18
	v_pk_fma_f16 v20, v20, v45, v77
	v_pk_fma_f16 v21, v21, v45, v105
	;; [unrolled: 1-line block ×4, first 2 shown]
	v_add_nc_u64_e32 v[16:17], v[46:47], v[56:57]
	v_pk_fma_f16 v12, v12, v44, v20
	v_pk_fma_f16 v13, v13, v44, v21
	v_and_b32_e32 v46, 0xffff, v19
	v_pk_fma_f16 v20, v14, v44, v22
	v_pk_fma_f16 v21, v15, v44, v23
	;; [unrolled: 1-line block ×4, first 2 shown]
	s_barrier_signal -1
	s_barrier_wait -1
	ds_load_b128 v[12:15], v87 offset:32
	v_mul_u32_u24_e32 v72, 0x10001, v46
	v_pk_fma_f16 v10, v10, v18, v20
	v_pk_fma_f16 v11, v11, v18, v21
	v_lshrrev_b32_e32 v19, 16, v19
	v_add_nc_u64_e32 v[74:75], s[2:3], v[68:69]
	v_pk_fma_f16 v4, v4, v72, v8
	v_pk_fma_f16 v5, v5, v72, v9
	v_pk_fma_f16 v6, v6, v72, v10
	v_pk_fma_f16 v7, v7, v72, v11
	ds_load_2addr_b64 v[8:11], v71 offset1:32
	v_add_nc_u64_e32 v[46:47], v[74:75], v[56:57]
	s_wait_dscnt 0x1
	v_and_b32_e32 v38, 0xffff, v12
	v_lshrrev_b32_e32 v12, 16, v12
	v_mul_u32_u24_e32 v19, 0x10001, v19
	s_delay_alu instid0(VALU_DEP_3) | instskip(NEXT) | instid1(VALU_DEP_3)
	v_mul_u32_u24_e32 v106, 0x10001, v38
	v_mul_u32_u24_e32 v12, 0x10001, v12
	s_delay_alu instid0(VALU_DEP_3)
	v_pk_fma_f16 v76, v0, v19, v4
	v_pk_fma_f16 v77, v1, v19, v5
	;; [unrolled: 1-line block ×4, first 2 shown]
	ds_load_2addr_b64 v[18:21], v71 offset0:64 offset1:96
	ds_load_2addr_b64 v[22:25], v71 offset0:128 offset1:160
	;; [unrolled: 1-line block ×3, first 2 shown]
	ds_load_2addr_b64 v[30:33], v102 offset1:32
	ds_load_2addr_b64 v[34:37], v102 offset0:64 offset1:96
	ds_load_2addr_b64 v[0:3], v102 offset0:128 offset1:160
	;; [unrolled: 1-line block ×3, first 2 shown]
	s_wait_dscnt 0x0
	s_barrier_signal -1
	s_barrier_wait -1
	s_clause 0x2
	global_load_b128 v[38:41], v[40:41], off
	global_load_b128 v[42:45], v[42:43], off
	;; [unrolled: 1-line block ×3, first 2 shown]
	s_wait_xcnt 0x0
	v_pk_fma_f16 v16, v8, v106, v76
	v_pk_fma_f16 v17, v9, v106, v77
	;; [unrolled: 1-line block ×4, first 2 shown]
	global_load_b128 v[8:11], v[46:47], off
	v_dual_lshrrev_b32 v104, 16, v13 :: v_dual_lshrrev_b32 v105, 16, v14
	v_and_b32_e32 v13, 0xffff, v13
	v_pk_fma_f16 v16, v18, v12, v16
	v_pk_fma_f16 v17, v19, v12, v17
	;; [unrolled: 1-line block ×4, first 2 shown]
	v_mul_u32_u24_e32 v13, 0x10001, v13
	v_and_b32_e32 v14, 0xffff, v14
	v_mul_u32_u24_e32 v19, 0x10001, v104
	s_wait_loadcnt 0x3
	ds_store_b128 v91, v[38:41]
	s_wait_loadcnt 0x2
	ds_store_b128 v92, v[42:45]
	;; [unrolled: 2-line block ×4, first 2 shown]
	v_pk_fma_f16 v16, v22, v13, v16
	v_pk_fma_f16 v17, v23, v13, v17
	;; [unrolled: 1-line block ×4, first 2 shown]
	s_wait_dscnt 0x0
	s_barrier_signal -1
	s_barrier_wait -1
	ds_load_b128 v[8:11], v87 offset:48
	v_mul_u32_u24_e32 v14, 0x10001, v14
	v_pk_fma_f16 v13, v26, v19, v16
	v_pk_fma_f16 v16, v27, v19, v17
	;; [unrolled: 1-line block ×4, first 2 shown]
	v_lshrrev_b32_e32 v106, 16, v15
	v_and_b32_e32 v15, 0xffff, v15
	v_mul_u32_u24_e32 v18, 0x10001, v105
	v_pk_fma_f16 v13, v30, v14, v13
	v_pk_fma_f16 v16, v31, v14, v16
	v_pk_fma_f16 v17, v32, v14, v17
	v_pk_fma_f16 v12, v33, v14, v12
	v_mul_u32_u24_e32 v15, 0x10001, v15
	v_pk_fma_f16 v13, v34, v18, v13
	v_pk_fma_f16 v14, v35, v18, v16
	;; [unrolled: 1-line block ×4, first 2 shown]
	v_fmac_f32_e32 v101, v95, v103
	v_pk_fma_f16 v0, v0, v15, v13
	v_pk_fma_f16 v1, v1, v15, v14
	;; [unrolled: 1-line block ×4, first 2 shown]
	s_wait_dscnt 0x0
	v_and_b32_e32 v40, 0xffff, v8
	v_lshrrev_b32_e32 v8, 16, v8
	v_mul_u32_u24_e32 v17, 0x10001, v106
	v_lshrrev_b32_e32 v41, 16, v9
	v_and_b32_e32 v9, 0xffff, v9
	v_mul_u32_u24_e32 v40, 0x10001, v40
	v_mul_u32_u24_e32 v8, 0x10001, v8
	v_pk_fma_f16 v36, v4, v17, v0
	v_pk_fma_f16 v37, v5, v17, v1
	;; [unrolled: 1-line block ×4, first 2 shown]
	ds_load_2addr_b64 v[0:3], v71 offset1:32
	ds_load_2addr_b64 v[4:7], v71 offset0:64 offset1:96
	ds_load_2addr_b64 v[12:15], v71 offset0:128 offset1:160
	;; [unrolled: 1-line block ×3, first 2 shown]
	ds_load_2addr_b64 v[20:23], v102 offset1:32
	ds_load_2addr_b64 v[24:27], v102 offset0:64 offset1:96
	ds_load_2addr_b64 v[28:31], v102 offset0:128 offset1:160
	;; [unrolled: 1-line block ×3, first 2 shown]
	v_mul_u32_u24_e32 v9, 0x10001, v9
	v_dual_lshrrev_b32 v42, 16, v10 :: v_dual_lshrrev_b32 v43, 16, v11
	v_and_b32_e32 v10, 0xffff, v10
	s_wait_dscnt 0x0
	s_barrier_signal -1
	s_barrier_wait -1
	s_load_b32 s2, s[20:21], 0x4
	v_and_b32_e32 v11, 0xffff, v11
	v_pk_fma_f16 v0, v0, v40, v36
	v_pk_fma_f16 v1, v1, v40, v37
	;; [unrolled: 1-line block ×4, first 2 shown]
	s_delay_alu instid0(VALU_DEP_4) | instskip(NEXT) | instid1(VALU_DEP_4)
	v_pk_fma_f16 v0, v4, v8, v0
	v_pk_fma_f16 v1, v5, v8, v1
	s_delay_alu instid0(VALU_DEP_4) | instskip(NEXT) | instid1(VALU_DEP_4)
	v_pk_fma_f16 v2, v6, v8, v2
	v_pk_fma_f16 v3, v7, v8, v3
	v_mul_u32_u24_e32 v4, 0x10001, v41
	v_pk_fma_f16 v0, v12, v9, v0
	v_pk_fma_f16 v1, v13, v9, v1
	v_pk_fma_f16 v2, v14, v9, v2
	v_pk_fma_f16 v3, v15, v9, v3
	v_mul_u32_u24_e32 v5, 0x10001, v10
	v_pk_fma_f16 v0, v16, v4, v0
	v_pk_fma_f16 v1, v17, v4, v1
	;; [unrolled: 5-line block ×5, first 2 shown]
	v_pk_fma_f16 v2, v30, v5, v2
	v_pk_fma_f16 v3, v31, v5, v3
	s_wait_kmcnt 0x0
	s_lshl_b32 s2, s2, 5
	v_pk_fma_f16 v73, v32, v4, v0
	v_pk_fma_f16 v72, v33, v4, v1
	;; [unrolled: 1-line block ×4, first 2 shown]
	s_add_co_i32 s4, s2, s4
	s_delay_alu instid0(SALU_CYCLE_1)
	s_cmp_ge_i32 s4, s30
	s_cbranch_scc1 .LBB69_15
; %bb.14:                               ;   in Loop: Header=BB69_9 Depth=1
	v_dual_mov_b32 v18, v70 :: v_dual_mov_b32 v95, v101
	s_branch .LBB69_9
.LBB69_15:
	v_mov_b32_e32 v3, v81
.LBB69_16:
	v_cmp_lt_i32_e32 vcc_lo, v96, v82
	s_cmp_lg_u64 s[12:13], 0
	s_cselect_b32 s2, -1, 0
	s_cmp_eq_u32 s31, 0
	v_cndmask_b32_e32 v0, v3, v96, vcc_lo
	v_cmp_lt_i32_e32 vcc_lo, v97, v82
	s_cselect_b32 s3, -1, 0
	s_delay_alu instid0(SALU_CYCLE_1) | instskip(NEXT) | instid1(VALU_DEP_2)
	s_and_b32 s2, s3, s2
	v_dual_cndmask_b32 v1, v3, v97 :: v_dual_lshlrev_b32 v0, 2, v0
	v_cmp_lt_i32_e32 vcc_lo, v98, v82
	s_delay_alu instid0(VALU_DEP_2)
	v_lshlrev_b32_e32 v1, 2, v1
	ds_bpermute_b32 v0, v0, v101
	v_cndmask_b32_e32 v2, v3, v98, vcc_lo
	v_cmp_lt_i32_e32 vcc_lo, v99, v82
	s_wait_dscnt 0x0
	v_add_f32_e32 v0, v101, v0
	ds_bpermute_b32 v1, v1, v0
	s_wait_dscnt 0x0
	v_dual_lshlrev_b32 v2, 2, v2 :: v_dual_add_f32 v0, v0, v1
	ds_bpermute_b32 v1, v2, v0
	v_cndmask_b32_e32 v2, v3, v99, vcc_lo
	v_cmp_lt_i32_e32 vcc_lo, v100, v82
	s_wait_dscnt 0x0
	s_delay_alu instid0(VALU_DEP_2) | instskip(SKIP_4) | instid1(VALU_DEP_1)
	v_dual_add_f32 v0, v0, v1 :: v_dual_lshlrev_b32 v2, 2, v2
	ds_bpermute_b32 v1, v2, v0
	s_wait_dscnt 0x0
	v_dual_add_f32 v0, v0, v1 :: v_dual_cndmask_b32 v2, v3, v100, vcc_lo
	s_and_b32 vcc_lo, exec_lo, s2
	v_lshlrev_b32_e32 v2, 2, v2
	ds_bpermute_b32 v1, v2, v0
	s_wait_dscnt 0x0
	v_dual_add_f32 v71, v0, v1 :: v_dual_add_nc_u32 v2, s33, v48
	s_cbranch_vccz .LBB69_18
; %bb.17:
	global_load_b32 v1, v2, s[12:13] scale_offset
	s_wait_loadcnt 0x0
	v_dual_max_num_f32 v0, v70, v70 :: v_dual_max_num_f32 v3, v1, v1
	s_delay_alu instid0(VALU_DEP_1) | instskip(NEXT) | instid1(VALU_DEP_1)
	v_max_num_f32_e32 v0, v0, v3
	v_sub_f32_e32 v3, v70, v0
	s_delay_alu instid0(VALU_DEP_1) | instskip(NEXT) | instid1(VALU_DEP_1)
	v_mul_f32_e32 v4, 0x3fb8aa3b, v3
	v_fma_f32 v5, 0x3fb8aa3b, v3, -v4
	s_delay_alu instid0(VALU_DEP_1) | instskip(SKIP_2) | instid1(VALU_DEP_2)
	v_fmac_f32_e32 v5, 0x32a5705f, v3
	v_sub_f32_e32 v1, v1, v0
	v_cmp_ngt_f32_e32 vcc_lo, 0xc2ce8ed0, v3
	v_mul_f32_e32 v7, 0x3fb8aa3b, v1
	v_rndne_f32_e32 v6, v4
	s_delay_alu instid0(VALU_DEP_2) | instskip(NEXT) | instid1(VALU_DEP_2)
	v_rndne_f32_e32 v8, v7
	v_sub_f32_e32 v4, v4, v6
	v_cvt_i32_f32_e32 v6, v6
	s_delay_alu instid0(VALU_DEP_2) | instskip(SKIP_2) | instid1(VALU_DEP_3)
	v_add_f32_e32 v4, v4, v5
	v_fma_f32 v5, 0x3fb8aa3b, v1, -v7
	v_sub_f32_e32 v7, v7, v8
	v_exp_f32_e32 v4, v4
	s_delay_alu instid0(VALU_DEP_2) | instskip(NEXT) | instid1(TRANS32_DEP_1)
	v_fmac_f32_e32 v5, 0x32a5705f, v1
	v_ldexp_f32 v4, v4, v6
	s_delay_alu instid0(VALU_DEP_2) | instskip(SKIP_1) | instid1(VALU_DEP_3)
	v_add_f32_e32 v5, v7, v5
	v_cvt_i32_f32_e32 v6, v8
	v_cndmask_b32_e32 v4, 0, v4, vcc_lo
	s_delay_alu instid0(VALU_DEP_3) | instskip(SKIP_1) | instid1(VALU_DEP_2)
	v_exp_f32_e32 v5, v5
	v_cmp_nlt_f32_e32 vcc_lo, 0x42b17218, v3
	v_cndmask_b32_e32 v3, 0x7f800000, v4, vcc_lo
	s_delay_alu instid0(TRANS32_DEP_1) | instskip(SKIP_1) | instid1(VALU_DEP_3)
	v_ldexp_f32 v4, v5, v6
	v_cmp_ngt_f32_e32 vcc_lo, 0xc2ce8ed0, v1
	v_cvt_f16_f32_e32 v5, v3
	s_delay_alu instid0(VALU_DEP_3) | instskip(SKIP_1) | instid1(VALU_DEP_3)
	v_cndmask_b32_e32 v4, 0, v4, vcc_lo
	v_cmp_nlt_f32_e32 vcc_lo, 0x42b17218, v1
	v_and_b32_e32 v5, 0xffff, v5
	s_delay_alu instid0(VALU_DEP_3) | instskip(NEXT) | instid1(VALU_DEP_2)
	v_cndmask_b32_e32 v1, 0x7f800000, v4, vcc_lo
	v_mul_u32_u24_e32 v4, 0x10001, v5
	s_delay_alu instid0(VALU_DEP_2) | instskip(NEXT) | instid1(VALU_DEP_2)
	v_fmac_f32_e32 v1, v71, v3
	v_pk_mul_f16 v73, v73, v4
	v_pk_mul_f16 v72, v72, v4
	;; [unrolled: 1-line block ×3, first 2 shown]
	s_delay_alu instid0(VALU_DEP_4)
	v_mov_b64_e32 v[70:71], v[0:1]
	v_pk_mul_f16 v16, v16, v4
	s_branch .LBB69_19
.LBB69_18:
	s_delay_alu instid0(VALU_DEP_1)
	v_mov_b32_e32 v1, v71
.LBB69_19:
	s_delay_alu instid0(VALU_DEP_1) | instskip(SKIP_3) | instid1(VALU_DEP_3)
	v_div_scale_f32 v5, null, v1, v1, 1.0
	v_mad_u32 v0, s28, s22, v78
	s_load_b32 s1, s[0:1], 0xd4
	v_div_scale_f32 v8, vcc_lo, 1.0, v1, 1.0
	v_rcp_f32_e32 v7, v5
	v_lshrrev_b32_e32 v18, 16, v17
	v_cvt_f32_f16_e32 v4, v73
	v_cvt_f32_f16_e32 v6, v72
	;; [unrolled: 1-line block ×3, first 2 shown]
	s_wait_xcnt 0x0
	v_cmp_eq_u32_e64 s0, 0, v79
	v_fma_f32 v3, -v5, v7, 1.0
	v_mad_u32 v0, v0, s23, v2
	s_delay_alu instid0(VALU_DEP_2) | instskip(NEXT) | instid1(VALU_DEP_1)
	v_dual_fmac_f32 v7, v3, v7 :: v_dual_mov_b32 v3, 0
	v_mul_f32_e32 v9, v8, v7
	s_wait_kmcnt 0x0
	s_cmp_lg_u32 s1, 1
	s_delay_alu instid0(VALU_DEP_3) | instskip(SKIP_4) | instid1(VALU_DEP_2)
	v_mad_u32 v0, s1, v0, s31
	s_cselect_b32 s1, -1, 0
	v_fma_f32 v2, -v5, v9, v8
	v_lshrrev_b32_e32 v11, 16, v73
	s_and_b32 s0, s0, s1
	v_dual_fmac_f32 v9, v2, v7 :: v_dual_lshrrev_b32 v15, 16, v72
	s_delay_alu instid0(VALU_DEP_1) | instskip(SKIP_3) | instid1(VALU_DEP_4)
	v_fma_f32 v2, -v5, v9, v8
	v_cvt_f32_f16_e32 v8, v17
	v_lshrrev_b32_e32 v17, 16, v16
	v_cvt_f32_f16_e32 v5, v11
	v_div_fmas_f32 v7, v2, v7, v9
	v_lshl_add_u32 v2, v0, 8, v49
	v_cvt_f32_f16_e32 v9, v18
	v_cvt_f32_f16_e32 v11, v17
	s_delay_alu instid0(VALU_DEP_4) | instskip(NEXT) | instid1(VALU_DEP_4)
	v_div_fixup_f32 v1, v7, v1, 1.0
	v_lshl_add_u64 v[12:13], v[2:3], 2, s[16:17]
	v_add_nc_u32_e32 v2, 0x80, v2
	v_cvt_f32_f16_e32 v7, v15
	s_delay_alu instid0(VALU_DEP_4) | instskip(NEXT) | instid1(VALU_DEP_3)
	v_cndmask_b32_e64 v14, v1, 1.0, s1
	v_lshl_add_u64 v[16:17], v[2:3], 2, s[16:17]
	s_delay_alu instid0(VALU_DEP_2) | instskip(NEXT) | instid1(VALU_DEP_4)
	v_pk_mul_f32 v[2:3], v[14:15], v[4:5] op_sel_hi:[0,1]
	v_pk_mul_f32 v[4:5], v[14:15], v[6:7] op_sel_hi:[0,1]
	;; [unrolled: 1-line block ×4, first 2 shown]
	s_clause 0x1
	global_store_b128 v[12:13], v[2:5], off
	global_store_b128 v[16:17], v[6:9], off
	s_wait_xcnt 0x0
	s_and_saveexec_b32 s1, s0
	s_cbranch_execz .LBB69_21
; %bb.20:
	global_store_b64 v0, v[70:71], s[18:19] scale_offset
.LBB69_21:
	s_sendmsg sendmsg(MSG_DEALLOC_VGPRS)
	s_endpgm
	.section	.rodata,"a",@progbits
	.p2align	6, 0x0
	.amdhsa_kernel _ZL15flash_attn_tileILi256ELi256ELi1ELi2ELb1EEvPKcS1_S1_S1_S1_PKiPfP15HIP_vector_typeIfLj2EEffffjfiS5_IjLj3EEiiiiiiiiiiiliiliiiiil
		.amdhsa_group_segment_fixed_size 5760
		.amdhsa_private_segment_fixed_size 0
		.amdhsa_kernarg_size 464
		.amdhsa_user_sgpr_count 2
		.amdhsa_user_sgpr_dispatch_ptr 0
		.amdhsa_user_sgpr_queue_ptr 0
		.amdhsa_user_sgpr_kernarg_segment_ptr 1
		.amdhsa_user_sgpr_dispatch_id 0
		.amdhsa_user_sgpr_kernarg_preload_length 0
		.amdhsa_user_sgpr_kernarg_preload_offset 0
		.amdhsa_user_sgpr_private_segment_size 0
		.amdhsa_wavefront_size32 1
		.amdhsa_uses_dynamic_stack 0
		.amdhsa_enable_private_segment 0
		.amdhsa_system_sgpr_workgroup_id_x 1
		.amdhsa_system_sgpr_workgroup_id_y 1
		.amdhsa_system_sgpr_workgroup_id_z 1
		.amdhsa_system_sgpr_workgroup_info 0
		.amdhsa_system_vgpr_workitem_id 1
		.amdhsa_next_free_vgpr 111
		.amdhsa_next_free_sgpr 43
		.amdhsa_named_barrier_count 0
		.amdhsa_reserve_vcc 1
		.amdhsa_float_round_mode_32 0
		.amdhsa_float_round_mode_16_64 0
		.amdhsa_float_denorm_mode_32 3
		.amdhsa_float_denorm_mode_16_64 3
		.amdhsa_fp16_overflow 0
		.amdhsa_memory_ordered 1
		.amdhsa_forward_progress 1
		.amdhsa_inst_pref_size 57
		.amdhsa_round_robin_scheduling 0
		.amdhsa_exception_fp_ieee_invalid_op 0
		.amdhsa_exception_fp_denorm_src 0
		.amdhsa_exception_fp_ieee_div_zero 0
		.amdhsa_exception_fp_ieee_overflow 0
		.amdhsa_exception_fp_ieee_underflow 0
		.amdhsa_exception_fp_ieee_inexact 0
		.amdhsa_exception_int_div_zero 0
	.end_amdhsa_kernel
	.section	.text._ZL15flash_attn_tileILi256ELi256ELi1ELi2ELb1EEvPKcS1_S1_S1_S1_PKiPfP15HIP_vector_typeIfLj2EEffffjfiS5_IjLj3EEiiiiiiiiiiiliiliiiiil,"axG",@progbits,_ZL15flash_attn_tileILi256ELi256ELi1ELi2ELb1EEvPKcS1_S1_S1_S1_PKiPfP15HIP_vector_typeIfLj2EEffffjfiS5_IjLj3EEiiiiiiiiiiiliiliiiiil,comdat
.Lfunc_end69:
	.size	_ZL15flash_attn_tileILi256ELi256ELi1ELi2ELb1EEvPKcS1_S1_S1_S1_PKiPfP15HIP_vector_typeIfLj2EEffffjfiS5_IjLj3EEiiiiiiiiiiiliiliiiiil, .Lfunc_end69-_ZL15flash_attn_tileILi256ELi256ELi1ELi2ELb1EEvPKcS1_S1_S1_S1_PKiPfP15HIP_vector_typeIfLj2EEffffjfiS5_IjLj3EEiiiiiiiiiiiliiliiiiil
                                        ; -- End function
	.set _ZL15flash_attn_tileILi256ELi256ELi1ELi2ELb1EEvPKcS1_S1_S1_S1_PKiPfP15HIP_vector_typeIfLj2EEffffjfiS5_IjLj3EEiiiiiiiiiiiliiliiiiil.num_vgpr, 111
	.set _ZL15flash_attn_tileILi256ELi256ELi1ELi2ELb1EEvPKcS1_S1_S1_S1_PKiPfP15HIP_vector_typeIfLj2EEffffjfiS5_IjLj3EEiiiiiiiiiiiliiliiiiil.num_agpr, 0
	.set _ZL15flash_attn_tileILi256ELi256ELi1ELi2ELb1EEvPKcS1_S1_S1_S1_PKiPfP15HIP_vector_typeIfLj2EEffffjfiS5_IjLj3EEiiiiiiiiiiiliiliiiiil.numbered_sgpr, 43
	.set _ZL15flash_attn_tileILi256ELi256ELi1ELi2ELb1EEvPKcS1_S1_S1_S1_PKiPfP15HIP_vector_typeIfLj2EEffffjfiS5_IjLj3EEiiiiiiiiiiiliiliiiiil.num_named_barrier, 0
	.set _ZL15flash_attn_tileILi256ELi256ELi1ELi2ELb1EEvPKcS1_S1_S1_S1_PKiPfP15HIP_vector_typeIfLj2EEffffjfiS5_IjLj3EEiiiiiiiiiiiliiliiiiil.private_seg_size, 0
	.set _ZL15flash_attn_tileILi256ELi256ELi1ELi2ELb1EEvPKcS1_S1_S1_S1_PKiPfP15HIP_vector_typeIfLj2EEffffjfiS5_IjLj3EEiiiiiiiiiiiliiliiiiil.uses_vcc, 1
	.set _ZL15flash_attn_tileILi256ELi256ELi1ELi2ELb1EEvPKcS1_S1_S1_S1_PKiPfP15HIP_vector_typeIfLj2EEffffjfiS5_IjLj3EEiiiiiiiiiiiliiliiiiil.uses_flat_scratch, 0
	.set _ZL15flash_attn_tileILi256ELi256ELi1ELi2ELb1EEvPKcS1_S1_S1_S1_PKiPfP15HIP_vector_typeIfLj2EEffffjfiS5_IjLj3EEiiiiiiiiiiiliiliiiiil.has_dyn_sized_stack, 0
	.set _ZL15flash_attn_tileILi256ELi256ELi1ELi2ELb1EEvPKcS1_S1_S1_S1_PKiPfP15HIP_vector_typeIfLj2EEffffjfiS5_IjLj3EEiiiiiiiiiiiliiliiiiil.has_recursion, 0
	.set _ZL15flash_attn_tileILi256ELi256ELi1ELi2ELb1EEvPKcS1_S1_S1_S1_PKiPfP15HIP_vector_typeIfLj2EEffffjfiS5_IjLj3EEiiiiiiiiiiiliiliiiiil.has_indirect_call, 0
	.section	.AMDGPU.csdata,"",@progbits
; Kernel info:
; codeLenInByte = 7288
; TotalNumSgprs: 45
; NumVgprs: 111
; ScratchSize: 0
; MemoryBound: 0
; FloatMode: 240
; IeeeMode: 1
; LDSByteSize: 5760 bytes/workgroup (compile time only)
; SGPRBlocks: 0
; VGPRBlocks: 6
; NumSGPRsForWavesPerEU: 45
; NumVGPRsForWavesPerEU: 111
; NamedBarCnt: 0
; Occupancy: 9
; WaveLimiterHint : 1
; COMPUTE_PGM_RSRC2:SCRATCH_EN: 0
; COMPUTE_PGM_RSRC2:USER_SGPR: 2
; COMPUTE_PGM_RSRC2:TRAP_HANDLER: 0
; COMPUTE_PGM_RSRC2:TGID_X_EN: 1
; COMPUTE_PGM_RSRC2:TGID_Y_EN: 1
; COMPUTE_PGM_RSRC2:TGID_Z_EN: 1
; COMPUTE_PGM_RSRC2:TIDIG_COMP_CNT: 1
	.section	.text._ZL15flash_attn_tileILi256ELi256ELi32ELi1ELb1EEvPKcS1_S1_S1_S1_PKiPfP15HIP_vector_typeIfLj2EEffffjfiS5_IjLj3EEiiiiiiiiiiiliiliiiiil,"axG",@progbits,_ZL15flash_attn_tileILi256ELi256ELi32ELi1ELb1EEvPKcS1_S1_S1_S1_PKiPfP15HIP_vector_typeIfLj2EEffffjfiS5_IjLj3EEiiiiiiiiiiiliiliiiiil,comdat
	.globl	_ZL15flash_attn_tileILi256ELi256ELi32ELi1ELb1EEvPKcS1_S1_S1_S1_PKiPfP15HIP_vector_typeIfLj2EEffffjfiS5_IjLj3EEiiiiiiiiiiiliiliiiiil ; -- Begin function _ZL15flash_attn_tileILi256ELi256ELi32ELi1ELb1EEvPKcS1_S1_S1_S1_PKiPfP15HIP_vector_typeIfLj2EEffffjfiS5_IjLj3EEiiiiiiiiiiiliiliiiiil
	.p2align	8
	.type	_ZL15flash_attn_tileILi256ELi256ELi32ELi1ELb1EEvPKcS1_S1_S1_S1_PKiPfP15HIP_vector_typeIfLj2EEffffjfiS5_IjLj3EEiiiiiiiiiiiliiliiiiil,@function
_ZL15flash_attn_tileILi256ELi256ELi32ELi1ELb1EEvPKcS1_S1_S1_S1_PKiPfP15HIP_vector_typeIfLj2EEffffjfiS5_IjLj3EEiiiiiiiiiiiliiliiiiil: ; @_ZL15flash_attn_tileILi256ELi256ELi32ELi1ELb1EEvPKcS1_S1_S1_S1_PKiPfP15HIP_vector_typeIfLj2EEffffjfiS5_IjLj3EEiiiiiiiiiiiliiliiiiil
; %bb.0:
	s_clause 0x1
	s_load_b128 s[24:27], s[0:1], 0x5c
	s_load_b64 s[2:3], s[0:1], 0x80
	s_bfe_u32 s6, ttmp6, 0x40014
	s_lshr_b32 s5, ttmp7, 16
	s_add_co_i32 s6, s6, 1
	s_bfe_u32 s7, ttmp6, 0x40008
	s_mul_i32 s6, s5, s6
	s_getreg_b32 s43, hwreg(HW_REG_IB_STS2, 6, 4)
	s_add_co_i32 s7, s7, s6
	s_load_b64 s[30:31], s[0:1], 0xb8
	s_mov_b32 s39, 0
	s_mov_b64 s[36:37], 0
	s_wait_kmcnt 0x0
	s_cvt_f32_u32 s4, s27
	s_sub_co_i32 s8, 0, s27
	s_delay_alu instid0(SALU_CYCLE_2) | instskip(SKIP_1) | instid1(TRANS32_DEP_1)
	v_rcp_iflag_f32_e32 v1, s4
	v_nop
	v_readfirstlane_b32 s4, v1
	s_mul_f32 s4, s4, 0x4f7ffffe
	s_delay_alu instid0(SALU_CYCLE_3) | instskip(NEXT) | instid1(SALU_CYCLE_3)
	s_cvt_u32_f32 s4, s4
	s_mul_i32 s8, s8, s4
	s_delay_alu instid0(SALU_CYCLE_1) | instskip(NEXT) | instid1(SALU_CYCLE_1)
	s_mul_hi_u32 s8, s4, s8
	s_add_co_i32 s4, s4, s8
	s_cmp_eq_u32 s43, 0
	s_cselect_b32 s5, s5, s7
	s_delay_alu instid0(SALU_CYCLE_1) | instskip(NEXT) | instid1(SALU_CYCLE_1)
	s_mul_hi_u32 s4, s5, s4
	s_mul_i32 s6, s4, s27
	s_add_co_i32 s7, s4, 1
	s_sub_co_i32 s6, s5, s6
	s_delay_alu instid0(SALU_CYCLE_1)
	s_sub_co_i32 s8, s6, s27
	s_cmp_ge_u32 s6, s27
	s_cselect_b32 s4, s7, s4
	s_cselect_b32 s6, s8, s6
	s_add_co_i32 s7, s4, 1
	s_cmp_ge_u32 s6, s27
	s_cselect_b32 s34, s7, s4
	s_abs_i32 s4, s3
	s_mul_i32 s8, s34, s27
	s_cvt_f32_u32 s6, s4
	s_sub_co_i32 s7, 0, s4
	s_abs_i32 s9, s27
	s_sub_co_i32 s33, s5, s8
	v_rcp_iflag_f32_e32 v1, s6
	s_xor_b32 s3, s27, s3
	s_delay_alu instid0(SALU_CYCLE_1) | instskip(SKIP_1) | instid1(TRANS32_DEP_1)
	s_ashr_i32 s3, s3, 31
	v_nop
	v_readfirstlane_b32 s6, v1
	s_mul_f32 s6, s6, 0x4f7ffffe
	s_delay_alu instid0(SALU_CYCLE_3) | instskip(NEXT) | instid1(SALU_CYCLE_3)
	s_cvt_u32_f32 s6, s6
	s_mul_i32 s7, s7, s6
	s_delay_alu instid0(SALU_CYCLE_1) | instskip(NEXT) | instid1(SALU_CYCLE_1)
	s_mul_hi_u32 s7, s6, s7
	s_add_co_i32 s6, s6, s7
	s_delay_alu instid0(SALU_CYCLE_1) | instskip(NEXT) | instid1(SALU_CYCLE_1)
	s_mul_hi_u32 s5, s9, s6
	s_mul_i32 s6, s5, s4
	s_add_co_i32 s7, s5, 1
	s_sub_co_i32 s6, s9, s6
	s_delay_alu instid0(SALU_CYCLE_1)
	s_sub_co_i32 s8, s6, s4
	s_cmp_ge_u32 s6, s4
	s_cselect_b32 s5, s7, s5
	s_cselect_b32 s6, s8, s6
	s_add_co_i32 s7, s5, 1
	s_cmp_ge_u32 s6, s4
	s_load_b512 s[8:23], s[0:1], 0x0
	s_cselect_b32 s4, s7, s5
	s_abs_i32 s38, s33
	s_xor_b32 s4, s4, s3
	s_delay_alu instid0(SALU_CYCLE_1) | instskip(NEXT) | instid1(SALU_CYCLE_1)
	s_sub_co_i32 s28, s4, s3
	s_abs_i32 s3, s28
	s_delay_alu instid0(SALU_CYCLE_1) | instskip(SKIP_1) | instid1(SALU_CYCLE_2)
	s_cvt_f32_u32 s4, s3
	s_sub_co_i32 s5, 0, s3
	v_rcp_iflag_f32_e32 v1, s4
	v_nop
	s_delay_alu instid0(TRANS32_DEP_1) | instskip(SKIP_1) | instid1(SALU_CYCLE_3)
	v_readfirstlane_b32 s4, v1
	s_mul_f32 s4, s4, 0x4f7ffffe
	s_cvt_u32_f32 s4, s4
	s_delay_alu instid0(SALU_CYCLE_3) | instskip(NEXT) | instid1(SALU_CYCLE_1)
	s_mul_i32 s5, s5, s4
	s_mul_hi_u32 s5, s4, s5
	s_delay_alu instid0(SALU_CYCLE_1)
	s_add_co_i32 s40, s4, s5
	s_wait_kmcnt 0x0
	s_cmp_eq_u64 s[14:15], 0
	s_cbranch_scc1 .LBB70_2
; %bb.1:
	s_abs_i32 s6, s30
	s_abs_i32 s7, s34
	s_cvt_f32_u32 s4, s6
	s_sub_co_i32 s5, 0, s6
	s_delay_alu instid0(SALU_CYCLE_2) | instskip(SKIP_1) | instid1(TRANS32_DEP_1)
	v_rcp_iflag_f32_e32 v1, s4
	v_nop
	v_readfirstlane_b32 s4, v1
	s_mul_f32 s4, s4, 0x4f7ffffe
	s_delay_alu instid0(SALU_CYCLE_3) | instskip(NEXT) | instid1(SALU_CYCLE_3)
	s_cvt_u32_f32 s4, s4
	s_mul_i32 s5, s5, s4
	s_delay_alu instid0(SALU_CYCLE_1) | instskip(NEXT) | instid1(SALU_CYCLE_1)
	s_mul_hi_u32 s5, s4, s5
	s_add_co_i32 s4, s4, s5
	s_delay_alu instid0(SALU_CYCLE_1) | instskip(SKIP_2) | instid1(SALU_CYCLE_1)
	s_mul_hi_u32 s29, s7, s4
	s_load_b64 s[4:5], s[0:1], 0xc8
	s_mul_i32 s29, s29, s6
	s_sub_co_i32 s7, s7, s29
	s_ashr_i32 s29, s34, 31
	s_sub_co_i32 s30, s7, s6
	s_cmp_ge_u32 s7, s6
	s_cselect_b32 s7, s30, s7
	s_delay_alu instid0(SALU_CYCLE_1) | instskip(SKIP_2) | instid1(SALU_CYCLE_1)
	s_sub_co_i32 s30, s7, s6
	s_cmp_ge_u32 s7, s6
	s_cselect_b32 s6, s30, s7
	s_xor_b32 s6, s6, s29
	s_delay_alu instid0(SALU_CYCLE_1) | instskip(NEXT) | instid1(SALU_CYCLE_1)
	s_sub_co_i32 s6, s6, s29
	s_ashr_i32 s7, s6, 31
	s_wait_kmcnt 0x0
	s_mul_u64 s[4:5], s[4:5], s[6:7]
	s_delay_alu instid0(SALU_CYCLE_1)
	s_add_nc_u64 s[36:37], s[14:15], s[4:5]
.LBB70_2:
	s_clause 0x1
	s_load_b128 s[4:7], s[0:1], 0x40
	s_load_b64 s[14:15], s[0:1], 0x50
	v_mov_b32_e32 v104, 1.0
	s_mov_b32 s41, s39
	s_wait_kmcnt 0x0
	s_cmp_le_f32 s5, 0
	s_cbranch_scc1 .LBB70_4
; %bb.3:
	v_sub_co_u32 v1, s5, s33, s14
	s_and_b32 s29, s5, exec_lo
	s_cselect_b32 s7, s6, s7
	v_readfirstlane_b32 s14, v1
	s_lshl_b32 s6, s14, 1
	s_add_co_i32 s14, s33, 1
	s_or_b32 s6, s6, 1
	s_and_b32 s5, s5, exec_lo
	s_cselect_b32 s5, s14, s6
	s_cmp_neq_f32 s7, 1.0
	s_cvt_f32_i32 s5, s5
	s_delay_alu instid0(SALU_CYCLE_3) | instskip(NEXT) | instid1(SALU_CYCLE_1)
	s_cselect_b32 s6, s5, 1.0
	s_cmp_neq_f32 s6, 0
	s_cselect_b32 s5, s7, 1.0
	s_delay_alu instid0(SALU_CYCLE_1) | instskip(NEXT) | instid1(VALU_DEP_1)
	v_cvt_f64_f32_e64 v[2:3], |s5|
	v_frexp_exp_i32_f64_e32 v1, v[2:3]
	v_frexp_mant_f32_e64 v2, |s5|
	s_delay_alu instid0(VALU_DEP_1) | instskip(SKIP_2) | instid1(SALU_CYCLE_1)
	v_readfirstlane_b32 s7, v2
	s_cmp_lt_f32 s7, 0x3f2aaaab
	s_cselect_b32 vcc_lo, -1, 0
	s_and_b32 s14, vcc_lo, exec_lo
	s_cselect_b32 s14, 2.0, 1.0
	s_delay_alu instid0(SALU_CYCLE_1) | instskip(NEXT) | instid1(SALU_CYCLE_3)
	s_mul_f32 s7, s7, s14
	s_add_f32 s14, s7, 1.0
	s_add_f32 s30, s7, -1.0
	s_delay_alu instid0(SALU_CYCLE_2) | instskip(SKIP_2) | instid1(SALU_CYCLE_2)
	v_s_rcp_f32 s29, s14
	s_add_f32 s44, s14, -1.0
	v_subrev_co_ci_u32_e64 v1, null, 0, v1, vcc_lo
	s_sub_f32 s7, s7, s44
	s_delay_alu instid0(TRANS32_DEP_1) | instskip(SKIP_1) | instid1(SALU_CYCLE_2)
	s_mul_f32 s35, s30, s29
	v_cvt_f32_i32_e32 v1, v1
	s_mul_f32 s42, s14, s35
	s_delay_alu instid0(SALU_CYCLE_3) | instskip(SKIP_1) | instid1(SALU_CYCLE_1)
	v_dual_mov_b32 v3, s30 :: v_dual_mov_b32 v4, s42
	s_xor_b32 s45, s42, 0x80000000
	s_fmac_f32 s45, s35, s14
	s_delay_alu instid0(SALU_CYCLE_3) | instskip(NEXT) | instid1(SALU_CYCLE_3)
	s_fmac_f32 s45, s35, s7
	s_add_f32 s7, s42, s45
	s_delay_alu instid0(SALU_CYCLE_3) | instskip(SKIP_1) | instid1(SALU_CYCLE_3)
	v_dual_mov_b32 v6, s45 :: v_dual_mov_b32 v7, s7
	s_sub_f32 s14, s30, s7
	v_dual_mov_b32 v2, s7 :: v_dual_mov_b32 v5, s14
	s_delay_alu instid0(VALU_DEP_1) | instskip(NEXT) | instid1(VALU_DEP_1)
	v_pk_add_f32 v[2:3], v[2:3], v[4:5] neg_lo:[0,1] neg_hi:[0,1]
	v_pk_add_f32 v[2:3], v[2:3], v[6:7] neg_lo:[0,1] neg_hi:[0,1]
	s_delay_alu instid0(VALU_DEP_1) | instskip(NEXT) | instid1(VALU_DEP_2)
	v_readfirstlane_b32 s7, v3
	v_readfirstlane_b32 s30, v2
	s_add_f32 s7, s30, s7
	s_delay_alu instid0(SALU_CYCLE_3) | instskip(NEXT) | instid1(SALU_CYCLE_3)
	s_add_f32 s7, s14, s7
	s_mul_f32 s7, s29, s7
	s_delay_alu instid0(SALU_CYCLE_3) | instskip(NEXT) | instid1(SALU_CYCLE_3)
	s_add_f32 s44, s35, s7
	s_sub_f32 s14, s44, s35
	s_mul_f32 s29, s44, s44
	s_delay_alu instid0(SALU_CYCLE_2) | instskip(NEXT) | instid1(SALU_CYCLE_2)
	s_sub_f32 s7, s7, s14
	s_xor_b32 s14, s29, 0x80000000
	s_delay_alu instid0(SALU_CYCLE_1) | instskip(NEXT) | instid1(SALU_CYCLE_1)
	s_fmac_f32 s14, s44, s44
	s_add_f32 s30, s7, s7
	s_delay_alu instid0(SALU_CYCLE_3) | instskip(SKIP_1) | instid1(SALU_CYCLE_2)
	s_fmac_f32 s14, s44, s30
	s_mov_b32 s30, 0x3e76c4e1
	s_add_f32 s46, s29, s14
	s_delay_alu instid0(SALU_CYCLE_3) | instskip(SKIP_1) | instid1(SALU_CYCLE_2)
	s_fmaak_f32 s30, s46, s30, 0x3e91f4c4
	s_sub_f32 s29, s46, s29
	s_fmaak_f32 s30, s46, s30, 0x3ecccdef
	s_delay_alu instid0(SALU_CYCLE_2) | instskip(NEXT) | instid1(SALU_CYCLE_2)
	s_sub_f32 s14, s14, s29
	s_mul_f32 s35, s46, s30
	s_delay_alu instid0(SALU_CYCLE_3) | instskip(NEXT) | instid1(SALU_CYCLE_1)
	s_xor_b32 s42, s35, 0x80000000
	s_fmac_f32 s42, s46, s30
	s_delay_alu instid0(SALU_CYCLE_3) | instskip(NEXT) | instid1(SALU_CYCLE_3)
	s_fmac_f32 s42, s14, s30
	s_add_f32 s29, s35, s42
	s_delay_alu instid0(SALU_CYCLE_3) | instskip(SKIP_1) | instid1(SALU_CYCLE_2)
	s_sub_f32 s30, s29, s35
	s_add_f32 s35, s29, 0x3f2aaaaa
	s_sub_f32 s30, s42, s30
	s_delay_alu instid0(SALU_CYCLE_2) | instskip(NEXT) | instid1(SALU_CYCLE_2)
	s_add_f32 s42, s35, 0xbf2aaaaa
	s_add_f32 s45, s30, 0x31739010
	s_delay_alu instid0(SALU_CYCLE_2) | instskip(NEXT) | instid1(SALU_CYCLE_2)
	s_sub_f32 s47, s29, s42
	v_mov_b64_e32 v[2:3], s[44:45]
	s_delay_alu instid0(SALU_CYCLE_2) | instskip(NEXT) | instid1(VALU_DEP_1)
	v_mov_b64_e32 v[4:5], s[46:47]
	v_pk_mul_f32 v[6:7], v[2:3], v[4:5]
	v_pk_add_f32 v[2:3], v[2:3], v[4:5]
	v_mov_b32_e32 v9, s35
	s_delay_alu instid0(VALU_DEP_3) | instskip(NEXT) | instid1(VALU_DEP_3)
	v_xor_b32_e32 v8, 0x80000000, v6
	v_mov_b32_e32 v7, v3
	s_delay_alu instid0(VALU_DEP_2) | instskip(NEXT) | instid1(VALU_DEP_1)
	v_fmac_f32_e64 v8, s46, s44
	v_fmac_f32_e64 v8, s46, s7
	s_delay_alu instid0(VALU_DEP_1) | instskip(NEXT) | instid1(VALU_DEP_1)
	v_fmac_f32_e64 v8, s14, s44
	v_pk_add_f32 v[4:5], v[6:7], v[8:9]
	s_delay_alu instid0(VALU_DEP_1) | instskip(SKIP_1) | instid1(VALU_DEP_2)
	v_dual_mov_b32 v2, v5 :: v_dual_sub_f32 v7, s35, v5
	v_mul_f32_e32 v12, 0x3f317218, v1
	v_pk_mul_f32 v[10:11], v[4:5], v[2:3]
	s_delay_alu instid0(VALU_DEP_3) | instskip(NEXT) | instid1(VALU_DEP_3)
	v_add_f32_e32 v3, v3, v7
	v_xor_b32_e32 v7, 0x80000000, v12
	s_delay_alu instid0(VALU_DEP_3) | instskip(NEXT) | instid1(VALU_DEP_2)
	v_xor_b32_e32 v2, 0x80000000, v10
	v_dual_sub_f32 v6, v4, v6 :: v_dual_fmac_f32 v7, 0x3f317218, v1
	s_delay_alu instid0(VALU_DEP_2) | instskip(NEXT) | instid1(VALU_DEP_2)
	v_fmac_f32_e32 v2, v4, v5
	v_sub_f32_e32 v6, v8, v6
	s_delay_alu instid0(VALU_DEP_2) | instskip(NEXT) | instid1(VALU_DEP_1)
	v_fmac_f32_e32 v2, v4, v3
	v_fmac_f32_e32 v2, v6, v5
	v_fmamk_f32 v4, v1, 0xb102e308, v7
	v_ldexp_f32 v5, s44, 1
	v_ldexp_f32 v1, s7, 1
	s_delay_alu instid0(VALU_DEP_2) | instskip(NEXT) | instid1(VALU_DEP_1)
	v_dual_add_f32 v13, v10, v2 :: v_dual_mov_b32 v11, v5
	v_pk_add_f32 v[6:7], v[12:13], v[4:5]
	v_dual_mov_b32 v8, v13 :: v_dual_mov_b32 v3, v13
	s_delay_alu instid0(VALU_DEP_2) | instskip(SKIP_1) | instid1(VALU_DEP_2)
	v_dual_mov_b32 v9, v7 :: v_dual_mov_b32 v5, v6
	v_mov_b32_e32 v14, v7
	v_pk_add_f32 v[8:9], v[8:9], v[10:11] neg_lo:[0,1] neg_hi:[0,1]
	s_delay_alu instid0(VALU_DEP_1) | instskip(NEXT) | instid1(VALU_DEP_1)
	v_pk_add_f32 v[2:3], v[2:3], v[8:9] neg_lo:[0,1] neg_hi:[0,1]
	v_add_f32_e32 v1, v1, v2
	s_delay_alu instid0(VALU_DEP_1) | instskip(NEXT) | instid1(VALU_DEP_1)
	v_add_f32_e32 v13, v1, v3
	v_pk_add_f32 v[2:3], v[6:7], v[12:13]
	v_pk_add_f32 v[8:9], v[6:7], v[12:13] neg_lo:[0,1] neg_hi:[0,1]
	s_delay_alu instid0(VALU_DEP_2) | instskip(NEXT) | instid1(VALU_DEP_1)
	v_mov_b32_e32 v9, v3
	v_pk_add_f32 v[10:11], v[4:5], v[8:9]
	v_pk_add_f32 v[4:5], v[4:5], v[8:9] neg_lo:[0,1] neg_hi:[0,1]
	v_dual_mov_b32 v16, v3 :: v_dual_mov_b32 v5, v6
	s_delay_alu instid0(VALU_DEP_3) | instskip(NEXT) | instid1(VALU_DEP_3)
	v_dual_mov_b32 v12, v11 :: v_dual_mov_b32 v17, v11
	v_readfirstlane_b32 s7, v4
	s_delay_alu instid0(VALU_DEP_2) | instskip(NEXT) | instid1(VALU_DEP_2)
	v_pk_add_f32 v[8:9], v[12:13], v[6:7] neg_lo:[0,1] neg_hi:[0,1]
	v_dual_mov_b32 v4, v13 :: v_dual_mov_b32 v10, s7
	s_delay_alu instid0(VALU_DEP_2) | instskip(NEXT) | instid1(VALU_DEP_1)
	v_dual_mov_b32 v15, v8 :: v_dual_mov_b32 v1, v8
	v_pk_add_f32 v[6:7], v[16:17], v[14:15] neg_lo:[0,1] neg_hi:[0,1]
	s_delay_alu instid0(VALU_DEP_2) | instskip(SKIP_1) | instid1(VALU_DEP_3)
	v_pk_add_f32 v[2:3], v[2:3], v[0:1] neg_lo:[0,1] neg_hi:[0,1]
	v_mov_b32_e32 v2, s7
	v_pk_add_f32 v[4:5], v[4:5], v[6:7] neg_lo:[0,1] neg_hi:[0,1]
	s_delay_alu instid0(VALU_DEP_1) | instskip(NEXT) | instid1(VALU_DEP_1)
	v_pk_add_f32 v[2:3], v[2:3], v[4:5]
	v_readfirstlane_b32 s14, v2
	s_delay_alu instid0(VALU_DEP_2) | instskip(NEXT) | instid1(VALU_DEP_1)
	v_mov_b32_e32 v6, v3
	v_pk_add_f32 v[6:7], v[2:3], v[6:7]
	s_delay_alu instid0(VALU_DEP_3) | instskip(NEXT) | instid1(VALU_DEP_2)
	v_mov_b32_e32 v2, s14
	v_pk_add_f32 v[8:9], v[12:13], v[6:7]
	v_mov_b32_e32 v5, v6
	s_delay_alu instid0(VALU_DEP_2) | instskip(NEXT) | instid1(VALU_DEP_1)
	v_readfirstlane_b32 s29, v8
	v_mov_b32_e32 v3, s29
	s_delay_alu instid0(VALU_DEP_1) | instskip(NEXT) | instid1(VALU_DEP_1)
	v_pk_add_f32 v[2:3], v[2:3], v[10:11] neg_lo:[0,1] neg_hi:[0,1]
	v_readfirstlane_b32 s30, v2
	s_delay_alu instid0(VALU_DEP_2) | instskip(SKIP_1) | instid1(VALU_DEP_1)
	v_pk_add_f32 v[2:3], v[4:5], v[2:3] neg_lo:[0,1] neg_hi:[0,1]
	s_sub_f32 s14, s14, s30
	v_readfirstlane_b32 s30, v2
	s_delay_alu instid0(SALU_CYCLE_2) | instskip(SKIP_1) | instid1(SALU_CYCLE_2)
	s_sub_f32 s7, s7, s14
	v_readfirstlane_b32 s14, v3
	s_add_f32 s7, s30, s7
	s_delay_alu instid0(SALU_CYCLE_3) | instskip(NEXT) | instid1(SALU_CYCLE_3)
	s_add_f32 s7, s7, s14
	s_add_f32 s14, s29, s7
	s_delay_alu instid0(SALU_CYCLE_3) | instskip(SKIP_1) | instid1(SALU_CYCLE_2)
	s_mul_f32 s30, s6, s14
	s_sub_f32 s29, s14, s29
	s_xor_b32 s35, s30, 0x80000000
	s_delay_alu instid0(SALU_CYCLE_2) | instskip(SKIP_1) | instid1(SALU_CYCLE_3)
	s_sub_f32 s7, s7, s29
	s_fmac_f32 s35, s6, s14
	s_fmac_f32 s35, s6, s7
	v_cmp_class_f32_e64 s7, s30, 0x204
	s_delay_alu instid0(SALU_CYCLE_2) | instskip(SKIP_1) | instid1(SALU_CYCLE_2)
	s_add_f32 s14, s30, s35
	s_and_b32 s7, s7, exec_lo
	s_sub_f32 s7, s14, s30
	s_cselect_b32 s14, s30, s14
	s_delay_alu instid0(SALU_CYCLE_1) | instskip(NEXT) | instid1(SALU_CYCLE_1)
	s_and_b32 s29, s14, 0x7fffffff
	s_sub_f32 s7, s35, s7
	s_cmp_neq_f32 s29, 0x7f800000
	s_delay_alu instid0(SALU_CYCLE_2) | instskip(SKIP_2) | instid1(SALU_CYCLE_1)
	s_cselect_b32 s7, s7, 0
	s_cmp_eq_f32 s14, 0x42b17218
	s_cselect_b32 s29, 0x37000000, 0
	s_sub_f32 s14, s14, s29
	s_add_f32 s7, s29, s7
	s_delay_alu instid0(SALU_CYCLE_2) | instskip(NEXT) | instid1(SALU_CYCLE_3)
	s_mul_f32 s30, s14, 0x3fb8aa3b
	s_xor_b32 s35, s30, 0x80000000
	s_rndne_f32 s42, s30
	s_fmamk_f32 s35, s14, 0x3fb8aa3b, s35
	s_cmp_nlt_f32 s14, 0xc2ce8ed0
	s_delay_alu instid0(SALU_CYCLE_1) | instskip(NEXT) | instid1(SALU_CYCLE_1)
	s_sub_f32 s30, s30, s42
	s_fmamk_f32 s35, s14, 0x32a5705f, s35
	s_cselect_b32 vcc_lo, -1, 0
	s_cmp_ngt_f32 s14, 0x42b17218
	s_trunc_f32 s14, s6
	s_add_f32 s30, s30, s35
	s_cvt_i32_f32 s35, s42
	s_delay_alu instid0(SALU_CYCLE_2)
	v_s_exp_f32 s30, s30
	v_nop
	s_delay_alu instid0(TRANS32_DEP_1) | instid1(SALU_CYCLE_1)
	v_ldexp_f32 v1, s30, s35
	s_mul_f32 s30, s6, 0.5
	s_delay_alu instid0(VALU_DEP_1) | instskip(SKIP_3) | instid1(VALU_DEP_1)
	v_cndmask_b32_e32 v1, 0, v1, vcc_lo
	s_cselect_b32 vcc_lo, -1, 0
	s_cmp_eq_f32 s14, s6
	s_trunc_f32 s35, s30
	v_cndmask_b32_e32 v1, 0x7f800000, v1, vcc_lo
	s_cselect_b32 s42, -1, 0
	s_delay_alu instid0(SALU_CYCLE_1) | instskip(NEXT) | instid1(VALU_DEP_1)
	s_cmp_neq_f32 s35, s30
	v_fma_f32 v2, s7, v1, v1
	v_cmp_class_f32_e64 vcc_lo, v1, 0x204
	s_cselect_b32 s29, -1, 0
	s_delay_alu instid0(SALU_CYCLE_1)
	s_and_b32 s7, s42, s29
	v_cndmask_b32_e32 v1, v2, v1, vcc_lo
	s_and_b32 s29, s7, exec_lo
	s_cselect_b32 s29, s5, 1.0
	s_cmp_eq_f32 s14, s6
	v_cmp_class_f32_e64 s14, s5, 0x204
	v_bfi_b32 v1, 0x7fffffff, v1, s29
	s_cselect_b32 vcc_lo, -1, 0
	s_cmp_lt_f32 s5, 0
	s_delay_alu instid0(VALU_DEP_1) | instskip(SKIP_2) | instid1(VALU_DEP_1)
	v_cndmask_b32_e32 v2, 0x7fc00000, v1, vcc_lo
	s_cselect_b32 vcc_lo, -1, 0
	s_cmp_eq_f32 s5, 0
	v_cndmask_b32_e32 v1, v1, v2, vcc_lo
	s_cselect_b32 s29, -1, 0
	s_delay_alu instid0(SALU_CYCLE_1) | instskip(SKIP_2) | instid1(SALU_CYCLE_1)
	s_or_b32 vcc_lo, s29, s14
	s_cmp_lt_f32 s6, 0
	s_cselect_b32 s6, -1, 0
	s_xor_b32 s6, s6, s29
	s_delay_alu instid0(SALU_CYCLE_1)
	s_and_b32 s6, s6, exec_lo
	s_cselect_b32 s6, 0, 0x7f800000
	s_and_b32 s7, s7, exec_lo
	s_cselect_b32 s7, s5, 0
	s_cmp_o_f32 s5, s5
	v_mov_b32_e32 v2, s7
	s_delay_alu instid0(VALU_DEP_1) | instskip(NEXT) | instid1(VALU_DEP_1)
	v_bfi_b32 v2, 0x7fffffff, s6, v2
	v_cndmask_b32_e32 v1, v1, v2, vcc_lo
	s_cselect_b32 vcc_lo, -1, 0
	s_delay_alu instid0(VALU_DEP_1)
	v_cndmask_b32_e32 v104, 0x7fc00000, v1, vcc_lo
.LBB70_4:
	s_bfe_u32 s5, ttmp6, 0x4000c
	s_and_b32 s6, ttmp6, 15
	s_add_co_i32 s5, s5, 1
	s_ashr_i32 s44, s33, 31
	s_mul_i32 s5, ttmp9, s5
	v_bfe_u32 v79, v0, 10, 10
	s_ashr_i32 s45, s28, 31
	s_add_co_i32 s6, s6, s5
	s_cmp_eq_u32 s43, 0
	s_load_b96 s[28:30], s[0:1], 0x70
	s_cselect_b32 s5, ttmp9, s6
	v_and_b32_e32 v136, 0x3ff, v0
	s_lshl_b32 s42, s5, 5
	s_delay_alu instid0(VALU_DEP_1) | instskip(NEXT) | instid1(VALU_DEP_1)
	v_dual_lshlrev_b32 v154, 2, v79 :: v_dual_lshlrev_b32 v10, 4, v136
	v_dual_lshlrev_b32 v148, 2, v136 :: v_dual_bitop2_b32 v152, 1, v154 bitop3:0x54
	v_lshlrev_b32_e32 v158, 3, v136
	s_delay_alu instid0(VALU_DEP_2) | instskip(SKIP_2) | instid1(VALU_DEP_3)
	v_dual_add_nc_u32 v153, s42, v152 :: v_dual_add_nc_u32 v155, s42, v154
	v_or_b32_e32 v150, 2, v154
	v_or_b32_e32 v135, 3, v154
	v_mul_hi_u32 v2, v153, s24
	s_delay_alu instid0(VALU_DEP_4)
	v_mul_hi_u32 v1, v155, s24
	v_mov_b32_e32 v11, 0
	s_wait_kmcnt 0x0
	s_mul_i32 s6, s34, s30
	s_mul_i32 s46, s33, s29
	s_ashr_i32 s7, s6, 31
	s_ashr_i32 s47, s46, 31
	s_add_nc_u64 s[6:7], s[8:9], s[6:7]
	v_add_nc_u32_e32 v149, s42, v135
	s_add_nc_u64 s[6:7], s[6:7], s[46:47]
	s_ashr_i32 s29, s28, 31
	v_dual_add_nc_u32 v0, v153, v2 :: v_dual_add_nc_u32 v1, v155, v1
	v_mov_b32_e32 v75, v11
	v_add_nc_u64_e32 v[8:9], s[6:7], v[10:11]
	s_lshr_b64 s[8:9], s[28:29], 2
	s_delay_alu instid0(VALU_DEP_3) | instskip(SKIP_2) | instid1(VALU_DEP_1)
	v_dual_lshrrev_b32 v0, s25, v0 :: v_dual_lshrrev_b32 v1, s25, v1
	s_mul_u64 s[28:29], s[38:39], s[40:41]
	s_cmp_eq_u64 s[18:19], 0
	v_mul_lo_u32 v2, v0, s26
	s_delay_alu instid0(VALU_DEP_2) | instskip(NEXT) | instid1(VALU_DEP_1)
	v_mul_lo_u32 v1, v1, s26
	v_dual_add_nc_u32 v151, s42, v150 :: v_dual_sub_nc_u32 v74, v155, v1
	s_delay_alu instid0(VALU_DEP_1) | instskip(NEXT) | instid1(VALU_DEP_4)
	v_mul_hi_u32 v3, v151, s24
	v_sub_nc_u32_e32 v10, v153, v2
	s_delay_alu instid0(VALU_DEP_3) | instskip(SKIP_1) | instid1(VALU_DEP_4)
	v_mul_u64_e32 v[0:1], s[8:9], v[74:75]
	v_lshlrev_b32_e32 v75, 11, v79
	v_add_nc_u32_e32 v2, v151, v3
	v_mul_hi_u32 v3, v149, s24
	v_mul_u64_e32 v[4:5], s[8:9], v[10:11]
	s_delay_alu instid0(VALU_DEP_3) | instskip(NEXT) | instid1(VALU_DEP_1)
	v_lshrrev_b32_e32 v2, s25, v2
	v_mul_lo_u32 v2, v2, s26
	s_delay_alu instid0(VALU_DEP_1) | instskip(SKIP_1) | instid1(VALU_DEP_2)
	v_dual_sub_nc_u32 v10, v151, v2 :: v_dual_add_nc_u32 v2, v149, v3
	v_lshl_add_u64 v[22:23], v[0:1], 2, v[8:9]
	v_lshrrev_b32_e32 v6, s25, v2
	s_delay_alu instid0(VALU_DEP_3)
	v_mul_u64_e32 v[20:21], s[8:9], v[10:11]
	global_load_b128 v[0:3], v[22:23], off
	v_mul_lo_u32 v10, v6, s26
	v_lshl_add_u64 v[24:25], v[4:5], 2, v[8:9]
	s_clause 0x2
	global_load_b128 v[4:7], v[22:23], off offset:512
	global_load_b128 v[12:15], v[24:25], off
	global_load_b128 v[16:19], v[24:25], off offset:512
	v_sub_nc_u32_e32 v10, v149, v10
	s_delay_alu instid0(VALU_DEP_1)
	v_mul_u64_e32 v[28:29], s[8:9], v[10:11]
	s_mov_b32 s9, 0
	v_lshl_add_u64 v[30:31], v[20:21], 2, v[8:9]
	s_clause 0x1
	global_load_b128 v[20:23], v[30:31], off
	global_load_b128 v[24:27], v[30:31], off offset:512
	v_lshl_add_u64 v[8:9], v[28:29], 2, v[8:9]
	s_clause 0x1
	global_load_b128 v[28:31], v[8:9], off
	global_load_b128 v[32:35], v[8:9], off offset:512
	s_wait_xcnt 0x0
	v_add_nc_u32_e32 v8, 0x4400, v158
	s_delay_alu instid0(VALU_DEP_1)
	v_lshl_add_u32 v36, v152, 9, v8
	v_lshl_add_u32 v37, v150, 9, v8
	;; [unrolled: 1-line block ×3, first 2 shown]
	s_wait_loadcnt 0x7
	v_fma_mixlo_f16 v0, s4, v0, 0
	v_fma_mixlo_f16 v1, s4, v1, 0
	v_add_nc_u32_e32 v10, v8, v75
	v_fma_mixlo_f16 v2, s4, v2, 0
	v_fma_mixlo_f16 v3, s4, v3, 0
	v_and_b32_e32 v0, 0xffff, v0
	s_wait_loadcnt 0x6
	v_fma_mixlo_f16 v4, s4, v4, 0
	v_fma_mixlo_f16 v5, s4, v5, 0
	v_fma_mixlo_f16 v6, s4, v6, 0
	v_fma_mixlo_f16 v7, s4, v7, 0
	s_wait_loadcnt 0x5
	v_fma_mixlo_f16 v8, s4, v12, 0
	v_fma_mixlo_f16 v9, s4, v13, 0
	v_fma_mixlo_f16 v12, s4, v14, 0
	v_fma_mixlo_f16 v13, s4, v15, 0
	;; [unrolled: 5-line block ×3, first 2 shown]
	v_dual_lshlrev_b32 v1, 16, v1 :: v_dual_lshlrev_b32 v3, 16, v3
	v_lshlrev_b32_e32 v5, 16, v5
	v_and_b32_e32 v2, 0xffff, v2
	v_and_b32_e32 v4, 0xffff, v4
	v_dual_lshlrev_b32 v7, 16, v7 :: v_dual_lshlrev_b32 v9, 16, v9
	v_and_b32_e32 v6, 0xffff, v6
	v_and_b32_e32 v8, 0xffff, v8
	v_dual_lshlrev_b32 v13, 16, v13 :: v_dual_lshlrev_b32 v15, 16, v15
	v_and_b32_e32 v12, 0xffff, v12
	v_and_b32_e32 v14, 0xffff, v14
	v_dual_lshlrev_b32 v17, 16, v17 :: v_dual_bitop2_b32 v0, v1, v0 bitop3:0x54
	v_and_b32_e32 v16, 0xffff, v16
	s_wait_loadcnt 0x3
	v_fma_mixlo_f16 v18, s4, v20, 0
	v_fma_mixlo_f16 v19, s4, v21, 0
	;; [unrolled: 1-line block ×4, first 2 shown]
	s_wait_loadcnt 0x2
	v_fma_mixlo_f16 v22, s4, v24, 0
	v_fma_mixlo_f16 v23, s4, v25, 0
	;; [unrolled: 1-line block ×4, first 2 shown]
	v_or3_b32 v1, v3, v2, 0
	v_or_b32_e32 v2, v5, v4
	v_or3_b32 v3, v7, v6, 0
	v_or_b32_e32 v4, v9, v8
	v_or3_b32 v5, v13, v12, 0
	v_dual_lshlrev_b32 v14, 16, v23 :: v_dual_bitop2_b32 v6, v15, v14 bitop3:0x54
	v_or3_b32 v7, v17, v16, 0
	v_lshlrev_b32_e32 v8, 16, v19
	v_and_b32_e32 v9, 0xffff, v18
	v_lshlrev_b32_e32 v12, 16, v21
	v_and_b32_e32 v13, 0xffff, v20
	v_and_b32_e32 v15, 0xffff, v22
	v_lshlrev_b32_e32 v16, 16, v25
	v_and_b32_e32 v17, 0xffff, v24
	s_wait_loadcnt 0x1
	v_fma_mixlo_f16 v18, s4, v28, 0
	v_fma_mixlo_f16 v19, s4, v29, 0
	;; [unrolled: 1-line block ×3, first 2 shown]
	s_wait_loadcnt 0x0
	v_fma_mixlo_f16 v22, s4, v32, 0
	v_fma_mixlo_f16 v23, s4, v33, 0
	;; [unrolled: 1-line block ×5, first 2 shown]
	v_or_b32_e32 v8, v8, v9
	v_or3_b32 v9, v12, v13, 0
	v_or_b32_e32 v12, v14, v15
	v_or3_b32 v13, v16, v17, 0
	v_lshlrev_b32_e32 v14, 16, v19
	v_and_b32_e32 v15, 0xffff, v18
	v_dual_lshlrev_b32 v16, 16, v21 :: v_dual_lshlrev_b32 v18, 16, v23
	v_and_b32_e32 v19, 0xffff, v22
	v_and_b32_e32 v17, 0xffff, v20
	s_delay_alu instid0(VALU_DEP_4) | instskip(SKIP_1) | instid1(VALU_DEP_4)
	v_dual_lshlrev_b32 v20, 16, v25 :: v_dual_bitop2_b32 v14, v14, v15 bitop3:0x54
	v_and_b32_e32 v21, 0xffff, v24
	v_or_b32_e32 v18, v18, v19
	v_or3_b32 v0, 0, 0, v0
	v_or3_b32 v2, 0, 0, v2
	v_or3_b32 v4, 0, 0, v4
	v_or3_b32 v6, 0, 0, v6
	v_or3_b32 v8, 0, 0, v8
	v_or3_b32 v12, 0, 0, v12
	v_or3_b32 v15, v16, v17, 0
	v_or3_b32 v17, v20, v21, 0
	v_or3_b32 v14, 0, 0, v14
	v_or3_b32 v16, 0, 0, v18
	ds_store_2addr_b64 v10, v[0:1], v[2:3] offset1:32
	ds_store_2addr_b64 v36, v[4:5], v[6:7] offset1:32
	;; [unrolled: 1-line block ×4, first 2 shown]
	s_wait_dscnt 0x0
	s_barrier_signal -1
	s_barrier_wait -1
	s_cbranch_scc1 .LBB70_6
; %bb.5:
	s_load_b32 s2, s[0:1], 0xd0
	s_wait_kmcnt 0x0
	s_mul_i32 s2, s2, s34
	s_delay_alu instid0(SALU_CYCLE_1)
	s_add_co_i32 s2, s2, s5
	s_load_b32 s2, s[18:19], s2 offset:0x0 scale_offset
.LBB70_6:
	s_wait_xcnt 0x0
	s_clause 0x2
	s_load_b64 s[18:19], s[0:1], 0x8c
	s_load_b128 s[4:7], s[0:1], 0x98
	s_load_b64 s[40:41], s[0:1], 0xa8
	s_mul_i32 s28, s29, s3
	s_ashr_i32 s14, s31, 1
	s_sub_co_i32 s31, s38, s28
	s_mov_b32 s8, s24
	s_ashr_i32 s35, s34, 31
	s_xor_b32 s24, s44, s45
	s_add_co_i32 s30, s29, 1
	s_sub_co_i32 s39, s31, s3
	v_dual_lshrrev_b32 v106, 4, v136 :: v_dual_bitop2_b32 v76, 1, v155 bitop3:0x54
	v_dual_lshlrev_b32 v157, 9, v79 :: v_dual_bitop2_b32 v78, 60, v148 bitop3:0x40
	v_mul_u32_u24_e32 v105, 0x110, v136
	v_or_b32_e32 v72, 2, v155
	v_or_b32_e32 v70, 3, v155
	v_mbcnt_lo_u32_b32 v156, -1, 0
	s_wait_kmcnt 0x0
	s_ashr_i32 s38, s18, 2
	s_ashr_i32 s28, s6, 2
	s_cmp_ge_u32 s31, s3
	s_mul_u64 s[4:5], s[4:5], s[34:35]
	s_cselect_b32 s6, s30, s29
	s_add_nc_u64 s[4:5], s[10:11], s[4:5]
	s_cselect_b32 s10, s39, s31
	s_add_co_i32 s11, s6, 1
	s_cmp_ge_u32 s10, s3
	v_mul_lo_u32 v68, s28, v79
	s_cselect_b32 s3, s11, s6
	s_bfe_u32 s6, ttmp6, 0x40010
	s_xor_b32 s3, s3, s24
	s_and_b32 s18, ttmp7, 0xffff
	s_add_co_i32 s6, s6, 1
	s_sub_co_i32 s3, s3, s24
	s_bfe_u32 s11, ttmp6, 0x40004
	s_mul_i32 s24, s18, s6
	s_mul_i32 s6, s3, s19
	;; [unrolled: 1-line block ×3, first 2 shown]
	s_add_co_i32 s3, s11, s24
	s_ashr_i32 s7, s6, 31
	s_ashr_i32 s11, s10, 31
	s_cmp_eq_u32 s43, 0
	s_mul_u64 s[40:41], s[40:41], s[34:35]
	s_cselect_b32 s35, s18, s3
	s_add_nc_u64 s[4:5], s[4:5], s[6:7]
	s_sub_co_i32 s3, s2, 64
	s_lshl_b32 s30, s35, 6
	s_add_nc_u64 s[6:7], s[12:13], s[40:41]
	s_cmp_ge_i32 s30, s3
	s_add_nc_u64 s[18:19], s[6:7], s[10:11]
	s_cbranch_scc1 .LBB70_62
; %bb.7:
	v_dual_mov_b32 v81, 0 :: v_dual_lshlrev_b32 v7, 2, v78
	s_ashr_i32 s39, s38, 31
	s_lshl_b32 s6, s38, 4
	s_cmp_lg_u64 s[36:37], 0
	s_delay_alu instid0(VALU_DEP_1) | instskip(SKIP_2) | instid1(VALU_DEP_2)
	v_dual_mov_b32 v77, v81 :: v_dual_mov_b32 v73, v81
	v_dual_mov_b32 v71, v81 :: v_dual_ashrrev_i32 v69, 31, v68
	s_cselect_b32 s10, -1, 0
	v_mul_u64_e32 v[0:1], s[8:9], v[76:77]
	s_delay_alu instid0(VALU_DEP_3) | instskip(NEXT) | instid1(VALU_DEP_3)
	v_mul_u64_e32 v[2:3], s[8:9], v[72:73]
	v_mul_u64_e32 v[4:5], s[8:9], v[70:71]
	s_lshl_b32 s7, s28, 3
	v_lshl_add_u32 v6, v79, 1, v106
	v_dual_mov_b32 v36, 0 :: v_dual_add_nc_u32 v0, s7, v68
	v_mul_lo_u32 v73, v74, s14
	v_lshl_add_u32 v107, v148, 2, v157
	s_delay_alu instid0(VALU_DEP_4)
	v_mad_u32_u24 v109, 0x110, v6, v7
	v_mul_lo_u32 v84, s38, v6
	v_add_nc_u32_e32 v2, s7, v0
	v_lshlrev_b64_e32 v[98:99], 2, v[68:69]
	v_dual_mov_b32 v32, 0 :: v_dual_add_nc_u32 v71, 0x4400, v75
	v_dual_mov_b32 v34, 0 :: v_dual_add_nc_u32 v77, 0x8400, v157
	v_dual_mov_b32 v25, 0xfeffffff :: v_dual_lshlrev_b32 v82, 2, v78
	v_mbcnt_lo_u32_b32 v108, -1, 0
	v_dual_mov_b32 v33, 0 :: v_dual_mov_b32 v35, 0
	v_dual_add_nc_u32 v86, s6, v84 :: v_dual_ashrrev_i32 v85, 31, v84
	v_dual_mov_b32 v83, v81 :: v_dual_add_nc_u32 v110, 0x1000, v107
	v_dual_mov_b32 v8, v81 :: v_dual_add_nc_u32 v111, 0x2000, v107
	;; [unrolled: 1-line block ×3, first 2 shown]
	v_add_nc_u32_e32 v113, 0x1100, v109
	v_dual_mov_b32 v11, v81 :: v_dual_add_nc_u32 v114, 0x2200, v109
	v_add_nc_u32_e32 v4, v76, v1
	v_dual_add_nc_u32 v6, v72, v3 :: v_dual_add_nc_u32 v5, v70, v5
	v_dual_ashrrev_i32 v1, 31, v0 :: v_dual_ashrrev_i32 v3, 31, v2
	s_delay_alu instid0(VALU_DEP_2) | instskip(NEXT) | instid1(VALU_DEP_3)
	v_dual_lshrrev_b32 v7, s25, v4 :: v_dual_lshrrev_b32 v6, s25, v6
	v_dual_lshrrev_b32 v5, s25, v5 :: v_dual_add_nc_u32 v4, s7, v2
	v_add_nc_u32_e32 v90, s6, v86
	s_delay_alu instid0(VALU_DEP_3) | instskip(NEXT) | instid1(VALU_DEP_4)
	v_mul_lo_u32 v7, v7, s26
	v_mul_lo_u32 v6, v6, s26
	s_delay_alu instid0(VALU_DEP_4)
	v_mul_lo_u32 v10, v5, s26
	v_ashrrev_i32_e32 v5, 31, v4
	v_lshlrev_b64_e32 v[88:89], 2, v[0:1]
	v_lshlrev_b64_e32 v[92:93], 2, v[2:3]
	v_ashrrev_i32_e32 v87, 31, v86
	v_dual_add_nc_u32 v96, s6, v90 :: v_dual_ashrrev_i32 v91, 31, v90
	v_lshlrev_b64_e32 v[94:95], 2, v[4:5]
	v_dual_mov_b32 v37, 0 :: v_dual_sub_nc_u32 v0, v76, v7
	s_delay_alu instid0(VALU_DEP_3) | instskip(SKIP_2) | instid1(VALU_DEP_4)
	v_dual_sub_nc_u32 v1, v72, v6 :: v_dual_ashrrev_i32 v97, 31, v96
	v_sub_nc_u32_e32 v2, v70, v10
	v_dual_mov_b32 v38, 0 :: v_dual_add_nc_u32 v115, 0x3300, v109
	v_mul_lo_u32 v116, v0, s14
	s_delay_alu instid0(VALU_DEP_4) | instskip(NEXT) | instid1(VALU_DEP_4)
	v_mul_lo_u32 v117, v1, s14
	v_mul_lo_u32 v118, v2, s14
	v_dual_mov_b32 v10, v81 :: v_dual_mov_b32 v44, 0
	v_dual_mov_b32 v39, 0 :: v_dual_mov_b32 v40, 0
	;; [unrolled: 1-line block ×6, first 2 shown]
	v_mov_b32_e32 v24, 0xfeffffff
	s_add_nc_u64 s[6:7], s[0:1], 0xd0
	s_mov_b32 s11, 0xbbbac73d
	s_ashr_i32 s29, s28, 31
.LBB70_8:                               ; =>This Inner Loop Header: Depth=1
	s_ashr_i32 s31, s30, 31
	v_mov_b32_e32 v61, 0
	s_mul_u64 s[12:13], s[30:31], s[38:39]
	v_mov_b32_e32 v62, 0
	s_lshl_b64 s[12:13], s[12:13], 2
	s_delay_alu instid0(SALU_CYCLE_1) | instskip(NEXT) | instid1(SALU_CYCLE_1)
	s_add_nc_u64 s[12:13], s[4:5], s[12:13]
	v_lshl_add_u64 v[0:1], v[84:85], 2, s[12:13]
	v_lshl_add_u64 v[2:3], v[86:87], 2, s[12:13]
	;; [unrolled: 1-line block ×4, first 2 shown]
	s_delay_alu instid0(VALU_DEP_4) | instskip(NEXT) | instid1(VALU_DEP_4)
	v_add_nc_u64_e32 v[0:1], v[0:1], v[82:83]
	v_add_nc_u64_e32 v[2:3], v[2:3], v[82:83]
	s_delay_alu instid0(VALU_DEP_4) | instskip(NEXT) | instid1(VALU_DEP_4)
	v_add_nc_u64_e32 v[4:5], v[4:5], v[82:83]
	v_add_nc_u64_e32 v[6:7], v[6:7], v[82:83]
	s_clause 0x3
	global_load_b128 v[12:15], v[0:1], off
	global_load_b128 v[16:19], v[2:3], off
	;; [unrolled: 1-line block ×4, first 2 shown]
	s_wait_loadcnt 0x3
	ds_store_b128 v109, v[12:15]
	s_wait_loadcnt 0x2
	ds_store_b128 v113, v[16:19]
	;; [unrolled: 2-line block ×4, first 2 shown]
	s_wait_dscnt 0x0
	s_barrier_signal -1
	s_barrier_wait -1
	ds_load_b128 v[20:23], v105
	ds_load_b128 v[28:31], v71
	ds_load_b128 v[48:51], v71 offset:512
	ds_load_b128 v[52:55], v71 offset:1024
	v_dual_mov_b32 v12, 0 :: v_dual_mov_b32 v18, 0
	ds_load_b128 v[56:59], v71 offset:1536
	ds_load_b128 v[64:67], v105 offset:8704
	v_dual_mov_b32 v16, 0 :: v_dual_mov_b32 v13, 0
	v_dual_mov_b32 v19, 0 :: v_dual_mov_b32 v17, 0
	s_wait_dscnt 0x4
	;;#ASMSTART
	v_dot2_f32_f16 v12, v20, v28, v12
	;;#ASMEND
	;;#ASMSTART
	v_dot2_f32_f16 v12, v21, v29, v12
	;;#ASMEND
	;;#ASMSTART
	v_dot2_f32_f16 v12, v22, v30, v12
	;;#ASMEND
	;;#ASMSTART
	v_dot2_f32_f16 v12, v23, v31, v12
	;;#ASMEND
	s_wait_dscnt 0x3
	;;#ASMSTART
	v_dot2_f32_f16 v18, v20, v48, v18
	;;#ASMEND
	;;#ASMSTART
	v_dot2_f32_f16 v18, v21, v49, v18
	;;#ASMEND
	;;#ASMSTART
	v_dot2_f32_f16 v18, v22, v50, v18
	;;#ASMEND
	;;#ASMSTART
	v_dot2_f32_f16 v18, v23, v51, v18
	;;#ASMEND
	s_wait_dscnt 0x2
	;;#ASMSTART
	v_dot2_f32_f16 v16, v20, v52, v16
	;;#ASMEND
	;;#ASMSTART
	v_dot2_f32_f16 v16, v21, v53, v16
	;;#ASMEND
	;;#ASMSTART
	v_dot2_f32_f16 v16, v22, v54, v16
	;;#ASMEND
	;;#ASMSTART
	v_dot2_f32_f16 v16, v23, v55, v16
	;;#ASMEND
	s_wait_dscnt 0x1
	;;#ASMSTART
	v_dot2_f32_f16 v61, v20, v56, v61
	;;#ASMEND
	;;#ASMSTART
	v_dot2_f32_f16 v61, v21, v57, v61
	;;#ASMEND
	;;#ASMSTART
	v_dot2_f32_f16 v61, v22, v58, v61
	;;#ASMEND
	;;#ASMSTART
	v_dot2_f32_f16 v61, v23, v59, v61
	;;#ASMEND
	s_wait_dscnt 0x0
	;;#ASMSTART
	v_dot2_f32_f16 v13, v64, v28, v13
	;;#ASMEND
	;;#ASMSTART
	v_dot2_f32_f16 v13, v65, v29, v13
	;;#ASMEND
	;;#ASMSTART
	v_dot2_f32_f16 v13, v66, v30, v13
	;;#ASMEND
	;;#ASMSTART
	v_dot2_f32_f16 v13, v67, v31, v13
	;;#ASMEND
	;;#ASMSTART
	v_dot2_f32_f16 v19, v64, v48, v19
	;;#ASMEND
	;;#ASMSTART
	v_dot2_f32_f16 v19, v65, v49, v19
	;;#ASMEND
	;; [unrolled: 3-line block ×12, first 2 shown]
	ds_load_b128 v[20:23], v105 offset:16
	ds_load_b128 v[28:31], v71 offset:16
	;; [unrolled: 1-line block ×6, first 2 shown]
	s_wait_dscnt 0x4
	;;#ASMSTART
	v_dot2_f32_f16 v12, v20, v28, v12
	;;#ASMEND
	;;#ASMSTART
	v_dot2_f32_f16 v12, v21, v29, v12
	;;#ASMEND
	;;#ASMSTART
	v_dot2_f32_f16 v12, v22, v30, v12
	;;#ASMEND
	;;#ASMSTART
	v_dot2_f32_f16 v12, v23, v31, v12
	;;#ASMEND
	s_wait_dscnt 0x3
	;;#ASMSTART
	v_dot2_f32_f16 v18, v20, v48, v18
	;;#ASMEND
	;;#ASMSTART
	v_dot2_f32_f16 v18, v21, v49, v18
	;;#ASMEND
	;;#ASMSTART
	v_dot2_f32_f16 v18, v22, v50, v18
	;;#ASMEND
	;;#ASMSTART
	v_dot2_f32_f16 v18, v23, v51, v18
	;;#ASMEND
	;; [unrolled: 13-line block ×5, first 2 shown]
	;;#ASMSTART
	v_dot2_f32_f16 v19, v64, v48, v19
	;;#ASMEND
	;;#ASMSTART
	v_dot2_f32_f16 v19, v65, v49, v19
	;;#ASMEND
	;; [unrolled: 3-line block ×12, first 2 shown]
	ds_load_b128 v[20:23], v105 offset:32
	ds_load_b128 v[28:31], v71 offset:32
	;; [unrolled: 1-line block ×6, first 2 shown]
	s_wait_dscnt 0x4
	;;#ASMSTART
	v_dot2_f32_f16 v12, v20, v28, v12
	;;#ASMEND
	;;#ASMSTART
	v_dot2_f32_f16 v12, v21, v29, v12
	;;#ASMEND
	;;#ASMSTART
	v_dot2_f32_f16 v12, v22, v30, v12
	;;#ASMEND
	;;#ASMSTART
	v_dot2_f32_f16 v12, v23, v31, v12
	;;#ASMEND
	s_wait_dscnt 0x3
	;;#ASMSTART
	v_dot2_f32_f16 v18, v20, v48, v18
	;;#ASMEND
	;;#ASMSTART
	v_dot2_f32_f16 v18, v21, v49, v18
	;;#ASMEND
	;;#ASMSTART
	v_dot2_f32_f16 v18, v22, v50, v18
	;;#ASMEND
	;;#ASMSTART
	v_dot2_f32_f16 v18, v23, v51, v18
	;;#ASMEND
	s_wait_dscnt 0x2
	;;#ASMSTART
	v_dot2_f32_f16 v16, v20, v52, v16
	;;#ASMEND
	;;#ASMSTART
	v_dot2_f32_f16 v16, v21, v53, v16
	;;#ASMEND
	;;#ASMSTART
	v_dot2_f32_f16 v16, v22, v54, v16
	;;#ASMEND
	;;#ASMSTART
	v_dot2_f32_f16 v16, v23, v55, v16
	;;#ASMEND
	s_wait_dscnt 0x1
	;;#ASMSTART
	v_dot2_f32_f16 v61, v20, v56, v61
	;;#ASMEND
	;;#ASMSTART
	v_dot2_f32_f16 v61, v21, v57, v61
	;;#ASMEND
	;;#ASMSTART
	v_dot2_f32_f16 v61, v22, v58, v61
	;;#ASMEND
	;;#ASMSTART
	v_dot2_f32_f16 v61, v23, v59, v61
	;;#ASMEND
	s_wait_dscnt 0x0
	;;#ASMSTART
	v_dot2_f32_f16 v13, v64, v28, v13
	;;#ASMEND
	;;#ASMSTART
	v_dot2_f32_f16 v13, v65, v29, v13
	;;#ASMEND
	;;#ASMSTART
	v_dot2_f32_f16 v13, v66, v30, v13
	;;#ASMEND
	;;#ASMSTART
	v_dot2_f32_f16 v13, v67, v31, v13
	;;#ASMEND
	;;#ASMSTART
	v_dot2_f32_f16 v19, v64, v48, v19
	;;#ASMEND
	;;#ASMSTART
	v_dot2_f32_f16 v19, v65, v49, v19
	;;#ASMEND
	;; [unrolled: 3-line block ×12, first 2 shown]
	ds_load_b128 v[20:23], v105 offset:48
	ds_load_b128 v[28:31], v71 offset:48
	;; [unrolled: 1-line block ×6, first 2 shown]
	s_wait_dscnt 0x4
	;;#ASMSTART
	v_dot2_f32_f16 v12, v20, v28, v12
	;;#ASMEND
	;;#ASMSTART
	v_dot2_f32_f16 v12, v21, v29, v12
	;;#ASMEND
	;;#ASMSTART
	v_dot2_f32_f16 v12, v22, v30, v12
	;;#ASMEND
	;;#ASMSTART
	v_dot2_f32_f16 v12, v23, v31, v12
	;;#ASMEND
	s_wait_dscnt 0x3
	;;#ASMSTART
	v_dot2_f32_f16 v18, v20, v48, v18
	;;#ASMEND
	;;#ASMSTART
	v_dot2_f32_f16 v18, v21, v49, v18
	;;#ASMEND
	;;#ASMSTART
	v_dot2_f32_f16 v18, v22, v50, v18
	;;#ASMEND
	;;#ASMSTART
	v_dot2_f32_f16 v18, v23, v51, v18
	;;#ASMEND
	;; [unrolled: 13-line block ×5, first 2 shown]
	;;#ASMSTART
	v_dot2_f32_f16 v19, v64, v48, v19
	;;#ASMEND
	;;#ASMSTART
	v_dot2_f32_f16 v19, v65, v49, v19
	;;#ASMEND
	;; [unrolled: 3-line block ×12, first 2 shown]
	ds_load_b128 v[20:23], v105 offset:64
	ds_load_b128 v[28:31], v71 offset:64
	;; [unrolled: 1-line block ×6, first 2 shown]
	s_wait_dscnt 0x4
	;;#ASMSTART
	v_dot2_f32_f16 v12, v20, v28, v12
	;;#ASMEND
	;;#ASMSTART
	v_dot2_f32_f16 v12, v21, v29, v12
	;;#ASMEND
	;;#ASMSTART
	v_dot2_f32_f16 v12, v22, v30, v12
	;;#ASMEND
	;;#ASMSTART
	v_dot2_f32_f16 v12, v23, v31, v12
	;;#ASMEND
	s_wait_dscnt 0x3
	;;#ASMSTART
	v_dot2_f32_f16 v18, v20, v48, v18
	;;#ASMEND
	;;#ASMSTART
	v_dot2_f32_f16 v18, v21, v49, v18
	;;#ASMEND
	;;#ASMSTART
	v_dot2_f32_f16 v18, v22, v50, v18
	;;#ASMEND
	;;#ASMSTART
	v_dot2_f32_f16 v18, v23, v51, v18
	;;#ASMEND
	;; [unrolled: 13-line block ×5, first 2 shown]
	;;#ASMSTART
	v_dot2_f32_f16 v19, v64, v48, v19
	;;#ASMEND
	;;#ASMSTART
	v_dot2_f32_f16 v19, v65, v49, v19
	;;#ASMEND
	;; [unrolled: 3-line block ×12, first 2 shown]
	ds_load_b128 v[20:23], v105 offset:80
	ds_load_b128 v[28:31], v71 offset:80
	;; [unrolled: 1-line block ×6, first 2 shown]
	s_wait_dscnt 0x4
	;;#ASMSTART
	v_dot2_f32_f16 v12, v20, v28, v12
	;;#ASMEND
	;;#ASMSTART
	v_dot2_f32_f16 v12, v21, v29, v12
	;;#ASMEND
	;;#ASMSTART
	v_dot2_f32_f16 v12, v22, v30, v12
	;;#ASMEND
	;;#ASMSTART
	v_dot2_f32_f16 v12, v23, v31, v12
	;;#ASMEND
	s_wait_dscnt 0x3
	;;#ASMSTART
	v_dot2_f32_f16 v18, v20, v48, v18
	;;#ASMEND
	;;#ASMSTART
	v_dot2_f32_f16 v18, v21, v49, v18
	;;#ASMEND
	;;#ASMSTART
	v_dot2_f32_f16 v18, v22, v50, v18
	;;#ASMEND
	;;#ASMSTART
	v_dot2_f32_f16 v18, v23, v51, v18
	;;#ASMEND
	s_wait_dscnt 0x2
	;;#ASMSTART
	v_dot2_f32_f16 v16, v20, v52, v16
	;;#ASMEND
	;;#ASMSTART
	v_dot2_f32_f16 v16, v21, v53, v16
	;;#ASMEND
	;;#ASMSTART
	v_dot2_f32_f16 v16, v22, v54, v16
	;;#ASMEND
	;;#ASMSTART
	v_dot2_f32_f16 v16, v23, v55, v16
	;;#ASMEND
	s_wait_dscnt 0x1
	;;#ASMSTART
	v_dot2_f32_f16 v61, v20, v56, v61
	;;#ASMEND
	;;#ASMSTART
	v_dot2_f32_f16 v61, v21, v57, v61
	;;#ASMEND
	;;#ASMSTART
	v_dot2_f32_f16 v61, v22, v58, v61
	;;#ASMEND
	;;#ASMSTART
	v_dot2_f32_f16 v61, v23, v59, v61
	;;#ASMEND
	s_wait_dscnt 0x0
	;;#ASMSTART
	v_dot2_f32_f16 v13, v64, v28, v13
	;;#ASMEND
	;;#ASMSTART
	v_dot2_f32_f16 v13, v65, v29, v13
	;;#ASMEND
	;;#ASMSTART
	v_dot2_f32_f16 v13, v66, v30, v13
	;;#ASMEND
	;;#ASMSTART
	v_dot2_f32_f16 v13, v67, v31, v13
	;;#ASMEND
	;;#ASMSTART
	v_dot2_f32_f16 v19, v64, v48, v19
	;;#ASMEND
	;;#ASMSTART
	v_dot2_f32_f16 v19, v65, v49, v19
	;;#ASMEND
	;; [unrolled: 3-line block ×12, first 2 shown]
	ds_load_b128 v[20:23], v105 offset:96
	ds_load_b128 v[28:31], v71 offset:96
	;; [unrolled: 1-line block ×6, first 2 shown]
	s_wait_dscnt 0x4
	;;#ASMSTART
	v_dot2_f32_f16 v12, v20, v28, v12
	;;#ASMEND
	;;#ASMSTART
	v_dot2_f32_f16 v12, v21, v29, v12
	;;#ASMEND
	;;#ASMSTART
	v_dot2_f32_f16 v12, v22, v30, v12
	;;#ASMEND
	;;#ASMSTART
	v_dot2_f32_f16 v12, v23, v31, v12
	;;#ASMEND
	s_wait_dscnt 0x3
	;;#ASMSTART
	v_dot2_f32_f16 v18, v20, v48, v18
	;;#ASMEND
	;;#ASMSTART
	v_dot2_f32_f16 v18, v21, v49, v18
	;;#ASMEND
	;;#ASMSTART
	v_dot2_f32_f16 v18, v22, v50, v18
	;;#ASMEND
	;;#ASMSTART
	v_dot2_f32_f16 v18, v23, v51, v18
	;;#ASMEND
	;; [unrolled: 13-line block ×5, first 2 shown]
	;;#ASMSTART
	v_dot2_f32_f16 v19, v64, v48, v19
	;;#ASMEND
	;;#ASMSTART
	v_dot2_f32_f16 v19, v65, v49, v19
	;;#ASMEND
	;;#ASMSTART
	v_dot2_f32_f16 v19, v66, v50, v19
	;;#ASMEND
	;;#ASMSTART
	v_dot2_f32_f16 v19, v67, v51, v19
	;;#ASMEND
	;;#ASMSTART
	v_dot2_f32_f16 v17, v64, v52, v17
	;;#ASMEND
	;;#ASMSTART
	v_dot2_f32_f16 v17, v65, v53, v17
	;;#ASMEND
	;;#ASMSTART
	v_dot2_f32_f16 v17, v66, v54, v17
	;;#ASMEND
	;;#ASMSTART
	v_dot2_f32_f16 v17, v67, v55, v17
	;;#ASMEND
	;;#ASMSTART
	v_dot2_f32_f16 v62, v64, v56, v62
	;;#ASMEND
	;;#ASMSTART
	v_dot2_f32_f16 v62, v65, v57, v62
	;;#ASMEND
	;;#ASMSTART
	v_dot2_f32_f16 v62, v66, v58, v62
	;;#ASMEND
	;;#ASMSTART
	v_dot2_f32_f16 v62, v67, v59, v62
	;;#ASMEND
	ds_load_b128 v[20:23], v105 offset:112
	ds_load_b128 v[28:31], v71 offset:112
	;; [unrolled: 1-line block ×6, first 2 shown]
	s_wait_dscnt 0x4
	;;#ASMSTART
	v_dot2_f32_f16 v12, v20, v28, v12
	;;#ASMEND
	;;#ASMSTART
	v_dot2_f32_f16 v12, v21, v29, v12
	;;#ASMEND
	;;#ASMSTART
	v_dot2_f32_f16 v12, v22, v30, v12
	;;#ASMEND
	;;#ASMSTART
	v_dot2_f32_f16 v12, v23, v31, v12
	;;#ASMEND
	s_wait_dscnt 0x3
	;;#ASMSTART
	v_dot2_f32_f16 v18, v20, v48, v18
	;;#ASMEND
	;;#ASMSTART
	v_dot2_f32_f16 v18, v21, v49, v18
	;;#ASMEND
	;;#ASMSTART
	v_dot2_f32_f16 v18, v22, v50, v18
	;;#ASMEND
	;;#ASMSTART
	v_dot2_f32_f16 v18, v23, v51, v18
	;;#ASMEND
	;; [unrolled: 13-line block ×5, first 2 shown]
	;;#ASMSTART
	v_dot2_f32_f16 v19, v64, v48, v19
	;;#ASMEND
	;;#ASMSTART
	v_dot2_f32_f16 v19, v65, v49, v19
	;;#ASMEND
	;; [unrolled: 3-line block ×12, first 2 shown]
	ds_load_b128 v[20:23], v105 offset:128
	ds_load_b128 v[28:31], v71 offset:128
	;; [unrolled: 1-line block ×6, first 2 shown]
	s_wait_dscnt 0x4
	;;#ASMSTART
	v_dot2_f32_f16 v12, v20, v28, v12
	;;#ASMEND
	;;#ASMSTART
	v_dot2_f32_f16 v12, v21, v29, v12
	;;#ASMEND
	;;#ASMSTART
	v_dot2_f32_f16 v12, v22, v30, v12
	;;#ASMEND
	;;#ASMSTART
	v_dot2_f32_f16 v12, v23, v31, v12
	;;#ASMEND
	s_wait_dscnt 0x3
	;;#ASMSTART
	v_dot2_f32_f16 v18, v20, v48, v18
	;;#ASMEND
	;;#ASMSTART
	v_dot2_f32_f16 v18, v21, v49, v18
	;;#ASMEND
	;;#ASMSTART
	v_dot2_f32_f16 v18, v22, v50, v18
	;;#ASMEND
	;;#ASMSTART
	v_dot2_f32_f16 v18, v23, v51, v18
	;;#ASMEND
	;; [unrolled: 13-line block ×5, first 2 shown]
	;;#ASMSTART
	v_dot2_f32_f16 v19, v64, v48, v19
	;;#ASMEND
	;;#ASMSTART
	v_dot2_f32_f16 v19, v65, v49, v19
	;;#ASMEND
	;; [unrolled: 3-line block ×12, first 2 shown]
	ds_load_b128 v[20:23], v105 offset:144
	ds_load_b128 v[28:31], v71 offset:144
	ds_load_b128 v[48:51], v71 offset:656
	ds_load_b128 v[52:55], v71 offset:1168
	ds_load_b128 v[56:59], v71 offset:1680
	ds_load_b128 v[64:67], v105 offset:8848
	s_wait_dscnt 0x4
	;;#ASMSTART
	v_dot2_f32_f16 v12, v20, v28, v12
	;;#ASMEND
	;;#ASMSTART
	v_dot2_f32_f16 v12, v21, v29, v12
	;;#ASMEND
	;;#ASMSTART
	v_dot2_f32_f16 v12, v22, v30, v12
	;;#ASMEND
	;;#ASMSTART
	v_dot2_f32_f16 v12, v23, v31, v12
	;;#ASMEND
	s_wait_dscnt 0x3
	;;#ASMSTART
	v_dot2_f32_f16 v18, v20, v48, v18
	;;#ASMEND
	;;#ASMSTART
	v_dot2_f32_f16 v18, v21, v49, v18
	;;#ASMEND
	;;#ASMSTART
	v_dot2_f32_f16 v18, v22, v50, v18
	;;#ASMEND
	;;#ASMSTART
	v_dot2_f32_f16 v18, v23, v51, v18
	;;#ASMEND
	;; [unrolled: 13-line block ×5, first 2 shown]
	;;#ASMSTART
	v_dot2_f32_f16 v19, v64, v48, v19
	;;#ASMEND
	;;#ASMSTART
	v_dot2_f32_f16 v19, v65, v49, v19
	;;#ASMEND
	;; [unrolled: 3-line block ×12, first 2 shown]
	ds_load_b128 v[20:23], v105 offset:160
	ds_load_b128 v[28:31], v71 offset:160
	;; [unrolled: 1-line block ×6, first 2 shown]
	s_wait_dscnt 0x4
	;;#ASMSTART
	v_dot2_f32_f16 v12, v20, v28, v12
	;;#ASMEND
	;;#ASMSTART
	v_dot2_f32_f16 v12, v21, v29, v12
	;;#ASMEND
	;;#ASMSTART
	v_dot2_f32_f16 v12, v22, v30, v12
	;;#ASMEND
	;;#ASMSTART
	v_dot2_f32_f16 v12, v23, v31, v12
	;;#ASMEND
	s_wait_dscnt 0x3
	;;#ASMSTART
	v_dot2_f32_f16 v18, v20, v48, v18
	;;#ASMEND
	;;#ASMSTART
	v_dot2_f32_f16 v18, v21, v49, v18
	;;#ASMEND
	;;#ASMSTART
	v_dot2_f32_f16 v18, v22, v50, v18
	;;#ASMEND
	;;#ASMSTART
	v_dot2_f32_f16 v18, v23, v51, v18
	;;#ASMEND
	;; [unrolled: 13-line block ×5, first 2 shown]
	;;#ASMSTART
	v_dot2_f32_f16 v19, v64, v48, v19
	;;#ASMEND
	;;#ASMSTART
	v_dot2_f32_f16 v19, v65, v49, v19
	;;#ASMEND
	;; [unrolled: 3-line block ×12, first 2 shown]
	ds_load_b128 v[20:23], v105 offset:176
	ds_load_b128 v[28:31], v71 offset:176
	;; [unrolled: 1-line block ×6, first 2 shown]
	s_wait_dscnt 0x4
	;;#ASMSTART
	v_dot2_f32_f16 v12, v20, v28, v12
	;;#ASMEND
	;;#ASMSTART
	v_dot2_f32_f16 v12, v21, v29, v12
	;;#ASMEND
	;;#ASMSTART
	v_dot2_f32_f16 v12, v22, v30, v12
	;;#ASMEND
	;;#ASMSTART
	v_dot2_f32_f16 v12, v23, v31, v12
	;;#ASMEND
	s_wait_dscnt 0x3
	;;#ASMSTART
	v_dot2_f32_f16 v18, v20, v48, v18
	;;#ASMEND
	;;#ASMSTART
	v_dot2_f32_f16 v18, v21, v49, v18
	;;#ASMEND
	;;#ASMSTART
	v_dot2_f32_f16 v18, v22, v50, v18
	;;#ASMEND
	;;#ASMSTART
	v_dot2_f32_f16 v18, v23, v51, v18
	;;#ASMEND
	;; [unrolled: 13-line block ×5, first 2 shown]
	;;#ASMSTART
	v_dot2_f32_f16 v19, v64, v48, v19
	;;#ASMEND
	;;#ASMSTART
	v_dot2_f32_f16 v19, v65, v49, v19
	;;#ASMEND
	;; [unrolled: 3-line block ×12, first 2 shown]
	ds_load_b128 v[20:23], v105 offset:192
	ds_load_b128 v[28:31], v71 offset:192
	;; [unrolled: 1-line block ×6, first 2 shown]
	s_wait_dscnt 0x4
	;;#ASMSTART
	v_dot2_f32_f16 v12, v20, v28, v12
	;;#ASMEND
	;;#ASMSTART
	v_dot2_f32_f16 v12, v21, v29, v12
	;;#ASMEND
	;;#ASMSTART
	v_dot2_f32_f16 v12, v22, v30, v12
	;;#ASMEND
	;;#ASMSTART
	v_dot2_f32_f16 v12, v23, v31, v12
	;;#ASMEND
	s_wait_dscnt 0x3
	;;#ASMSTART
	v_dot2_f32_f16 v18, v20, v48, v18
	;;#ASMEND
	;;#ASMSTART
	v_dot2_f32_f16 v18, v21, v49, v18
	;;#ASMEND
	;;#ASMSTART
	v_dot2_f32_f16 v18, v22, v50, v18
	;;#ASMEND
	;;#ASMSTART
	v_dot2_f32_f16 v18, v23, v51, v18
	;;#ASMEND
	;; [unrolled: 13-line block ×5, first 2 shown]
	;;#ASMSTART
	v_dot2_f32_f16 v19, v64, v48, v19
	;;#ASMEND
	;;#ASMSTART
	v_dot2_f32_f16 v19, v65, v49, v19
	;;#ASMEND
	;; [unrolled: 3-line block ×12, first 2 shown]
	ds_load_b128 v[20:23], v105 offset:208
	ds_load_b128 v[28:31], v71 offset:208
	;; [unrolled: 1-line block ×6, first 2 shown]
	s_wait_dscnt 0x4
	;;#ASMSTART
	v_dot2_f32_f16 v12, v20, v28, v12
	;;#ASMEND
	;;#ASMSTART
	v_dot2_f32_f16 v12, v21, v29, v12
	;;#ASMEND
	;;#ASMSTART
	v_dot2_f32_f16 v12, v22, v30, v12
	;;#ASMEND
	;;#ASMSTART
	v_dot2_f32_f16 v12, v23, v31, v12
	;;#ASMEND
	s_wait_dscnt 0x3
	;;#ASMSTART
	v_dot2_f32_f16 v18, v20, v48, v18
	;;#ASMEND
	;;#ASMSTART
	v_dot2_f32_f16 v18, v21, v49, v18
	;;#ASMEND
	;;#ASMSTART
	v_dot2_f32_f16 v18, v22, v50, v18
	;;#ASMEND
	;;#ASMSTART
	v_dot2_f32_f16 v18, v23, v51, v18
	;;#ASMEND
	;; [unrolled: 13-line block ×5, first 2 shown]
	;;#ASMSTART
	v_dot2_f32_f16 v19, v64, v48, v19
	;;#ASMEND
	;;#ASMSTART
	v_dot2_f32_f16 v19, v65, v49, v19
	;;#ASMEND
	;; [unrolled: 3-line block ×12, first 2 shown]
	ds_load_b128 v[20:23], v105 offset:224
	ds_load_b128 v[28:31], v71 offset:224
	;; [unrolled: 1-line block ×6, first 2 shown]
	s_wait_dscnt 0x4
	;;#ASMSTART
	v_dot2_f32_f16 v12, v20, v28, v12
	;;#ASMEND
	;;#ASMSTART
	v_dot2_f32_f16 v12, v21, v29, v12
	;;#ASMEND
	;;#ASMSTART
	v_dot2_f32_f16 v12, v22, v30, v12
	;;#ASMEND
	;;#ASMSTART
	v_dot2_f32_f16 v12, v23, v31, v12
	;;#ASMEND
	s_wait_dscnt 0x3
	;;#ASMSTART
	v_dot2_f32_f16 v18, v20, v48, v18
	;;#ASMEND
	;;#ASMSTART
	v_dot2_f32_f16 v18, v21, v49, v18
	;;#ASMEND
	;;#ASMSTART
	v_dot2_f32_f16 v18, v22, v50, v18
	;;#ASMEND
	;;#ASMSTART
	v_dot2_f32_f16 v18, v23, v51, v18
	;;#ASMEND
	;; [unrolled: 13-line block ×5, first 2 shown]
	;;#ASMSTART
	v_dot2_f32_f16 v19, v64, v48, v19
	;;#ASMEND
	;;#ASMSTART
	v_dot2_f32_f16 v19, v65, v49, v19
	;;#ASMEND
	;; [unrolled: 3-line block ×12, first 2 shown]
	ds_load_b128 v[20:23], v105 offset:240
	ds_load_b128 v[28:31], v71 offset:240
	;; [unrolled: 1-line block ×6, first 2 shown]
	s_wait_dscnt 0x4
	;;#ASMSTART
	v_dot2_f32_f16 v12, v20, v28, v12
	;;#ASMEND
	;;#ASMSTART
	v_dot2_f32_f16 v12, v21, v29, v12
	;;#ASMEND
	;;#ASMSTART
	v_dot2_f32_f16 v12, v22, v30, v12
	;;#ASMEND
	;;#ASMSTART
	v_dot2_f32_f16 v12, v23, v31, v12
	;;#ASMEND
	s_wait_dscnt 0x3
	;;#ASMSTART
	v_dot2_f32_f16 v18, v20, v48, v18
	;;#ASMEND
	;;#ASMSTART
	v_dot2_f32_f16 v18, v21, v49, v18
	;;#ASMEND
	;;#ASMSTART
	v_dot2_f32_f16 v18, v22, v50, v18
	;;#ASMEND
	;;#ASMSTART
	v_dot2_f32_f16 v18, v23, v51, v18
	;;#ASMEND
	;; [unrolled: 13-line block ×5, first 2 shown]
	;;#ASMSTART
	v_dot2_f32_f16 v19, v64, v48, v19
	;;#ASMEND
	;;#ASMSTART
	v_dot2_f32_f16 v19, v65, v49, v19
	;;#ASMEND
	;; [unrolled: 3-line block ×12, first 2 shown]
	s_barrier_signal -1
	s_barrier_wait -1
	s_clause 0x3
	global_load_b128 v[20:23], v[0:1], off offset:256
	global_load_b128 v[28:31], v[2:3], off offset:256
	;; [unrolled: 1-line block ×4, first 2 shown]
	s_wait_loadcnt 0x3
	ds_store_b128 v109, v[20:23]
	s_wait_loadcnt 0x2
	ds_store_b128 v113, v[28:31]
	;; [unrolled: 2-line block ×4, first 2 shown]
	s_wait_dscnt 0x0
	s_barrier_signal -1
	s_barrier_wait -1
	ds_load_b128 v[0:3], v105
	ds_load_b128 v[4:7], v71 offset:256
	ds_load_b128 v[20:23], v71 offset:768
	ds_load_b128 v[28:31], v71 offset:1280
	ds_load_b128 v[48:51], v71 offset:1792
	ds_load_b128 v[52:55], v105 offset:8704
	s_wait_dscnt 0x4
	;;#ASMSTART
	v_dot2_f32_f16 v12, v0, v4, v12
	;;#ASMEND
	;;#ASMSTART
	v_dot2_f32_f16 v12, v1, v5, v12
	;;#ASMEND
	;;#ASMSTART
	v_dot2_f32_f16 v12, v2, v6, v12
	;;#ASMEND
	;;#ASMSTART
	v_dot2_f32_f16 v12, v3, v7, v12
	;;#ASMEND
	s_wait_dscnt 0x3
	;;#ASMSTART
	v_dot2_f32_f16 v18, v0, v20, v18
	;;#ASMEND
	;;#ASMSTART
	v_dot2_f32_f16 v18, v1, v21, v18
	;;#ASMEND
	;;#ASMSTART
	v_dot2_f32_f16 v18, v2, v22, v18
	;;#ASMEND
	;;#ASMSTART
	v_dot2_f32_f16 v18, v3, v23, v18
	;;#ASMEND
	;; [unrolled: 13-line block ×5, first 2 shown]
	;;#ASMSTART
	v_dot2_f32_f16 v19, v52, v20, v19
	;;#ASMEND
	;;#ASMSTART
	v_dot2_f32_f16 v19, v53, v21, v19
	;;#ASMEND
	;; [unrolled: 3-line block ×12, first 2 shown]
	ds_load_b128 v[0:3], v105 offset:16
	ds_load_b128 v[4:7], v71 offset:272
	;; [unrolled: 1-line block ×6, first 2 shown]
	s_wait_dscnt 0x4
	;;#ASMSTART
	v_dot2_f32_f16 v12, v0, v4, v12
	;;#ASMEND
	;;#ASMSTART
	v_dot2_f32_f16 v12, v1, v5, v12
	;;#ASMEND
	;;#ASMSTART
	v_dot2_f32_f16 v12, v2, v6, v12
	;;#ASMEND
	;;#ASMSTART
	v_dot2_f32_f16 v12, v3, v7, v12
	;;#ASMEND
	s_wait_dscnt 0x3
	;;#ASMSTART
	v_dot2_f32_f16 v18, v0, v20, v18
	;;#ASMEND
	;;#ASMSTART
	v_dot2_f32_f16 v18, v1, v21, v18
	;;#ASMEND
	;;#ASMSTART
	v_dot2_f32_f16 v18, v2, v22, v18
	;;#ASMEND
	;;#ASMSTART
	v_dot2_f32_f16 v18, v3, v23, v18
	;;#ASMEND
	s_wait_dscnt 0x2
	;;#ASMSTART
	v_dot2_f32_f16 v16, v0, v28, v16
	;;#ASMEND
	;;#ASMSTART
	v_dot2_f32_f16 v16, v1, v29, v16
	;;#ASMEND
	;;#ASMSTART
	v_dot2_f32_f16 v16, v2, v30, v16
	;;#ASMEND
	;;#ASMSTART
	v_dot2_f32_f16 v16, v3, v31, v16
	;;#ASMEND
	s_wait_dscnt 0x1
	;;#ASMSTART
	v_dot2_f32_f16 v61, v0, v48, v61
	;;#ASMEND
	;;#ASMSTART
	v_dot2_f32_f16 v61, v1, v49, v61
	;;#ASMEND
	;;#ASMSTART
	v_dot2_f32_f16 v61, v2, v50, v61
	;;#ASMEND
	;;#ASMSTART
	v_dot2_f32_f16 v61, v3, v51, v61
	;;#ASMEND
	s_wait_dscnt 0x0
	;;#ASMSTART
	v_dot2_f32_f16 v13, v52, v4, v13
	;;#ASMEND
	;;#ASMSTART
	v_dot2_f32_f16 v13, v53, v5, v13
	;;#ASMEND
	;;#ASMSTART
	v_dot2_f32_f16 v13, v54, v6, v13
	;;#ASMEND
	;;#ASMSTART
	v_dot2_f32_f16 v13, v55, v7, v13
	;;#ASMEND
	;;#ASMSTART
	v_dot2_f32_f16 v19, v52, v20, v19
	;;#ASMEND
	;;#ASMSTART
	v_dot2_f32_f16 v19, v53, v21, v19
	;;#ASMEND
	;; [unrolled: 3-line block ×12, first 2 shown]
	ds_load_b128 v[0:3], v105 offset:32
	ds_load_b128 v[4:7], v71 offset:288
	;; [unrolled: 1-line block ×6, first 2 shown]
	s_wait_dscnt 0x4
	;;#ASMSTART
	v_dot2_f32_f16 v12, v0, v4, v12
	;;#ASMEND
	;;#ASMSTART
	v_dot2_f32_f16 v12, v1, v5, v12
	;;#ASMEND
	;;#ASMSTART
	v_dot2_f32_f16 v12, v2, v6, v12
	;;#ASMEND
	;;#ASMSTART
	v_dot2_f32_f16 v12, v3, v7, v12
	;;#ASMEND
	s_wait_dscnt 0x3
	;;#ASMSTART
	v_dot2_f32_f16 v18, v0, v20, v18
	;;#ASMEND
	;;#ASMSTART
	v_dot2_f32_f16 v18, v1, v21, v18
	;;#ASMEND
	;;#ASMSTART
	v_dot2_f32_f16 v18, v2, v22, v18
	;;#ASMEND
	;;#ASMSTART
	v_dot2_f32_f16 v18, v3, v23, v18
	;;#ASMEND
	;; [unrolled: 13-line block ×5, first 2 shown]
	;;#ASMSTART
	v_dot2_f32_f16 v19, v52, v20, v19
	;;#ASMEND
	;;#ASMSTART
	v_dot2_f32_f16 v19, v53, v21, v19
	;;#ASMEND
	;; [unrolled: 3-line block ×12, first 2 shown]
	ds_load_b128 v[0:3], v105 offset:48
	ds_load_b128 v[4:7], v71 offset:304
	;; [unrolled: 1-line block ×6, first 2 shown]
	s_wait_dscnt 0x4
	;;#ASMSTART
	v_dot2_f32_f16 v12, v0, v4, v12
	;;#ASMEND
	;;#ASMSTART
	v_dot2_f32_f16 v12, v1, v5, v12
	;;#ASMEND
	;;#ASMSTART
	v_dot2_f32_f16 v12, v2, v6, v12
	;;#ASMEND
	;;#ASMSTART
	v_dot2_f32_f16 v12, v3, v7, v12
	;;#ASMEND
	s_wait_dscnt 0x3
	;;#ASMSTART
	v_dot2_f32_f16 v18, v0, v20, v18
	;;#ASMEND
	;;#ASMSTART
	v_dot2_f32_f16 v18, v1, v21, v18
	;;#ASMEND
	;;#ASMSTART
	v_dot2_f32_f16 v18, v2, v22, v18
	;;#ASMEND
	;;#ASMSTART
	v_dot2_f32_f16 v18, v3, v23, v18
	;;#ASMEND
	;; [unrolled: 13-line block ×5, first 2 shown]
	;;#ASMSTART
	v_dot2_f32_f16 v19, v52, v20, v19
	;;#ASMEND
	;;#ASMSTART
	v_dot2_f32_f16 v19, v53, v21, v19
	;;#ASMEND
	;; [unrolled: 3-line block ×12, first 2 shown]
	ds_load_b128 v[0:3], v105 offset:64
	ds_load_b128 v[4:7], v71 offset:320
	;; [unrolled: 1-line block ×6, first 2 shown]
	s_wait_dscnt 0x4
	;;#ASMSTART
	v_dot2_f32_f16 v12, v0, v4, v12
	;;#ASMEND
	;;#ASMSTART
	v_dot2_f32_f16 v12, v1, v5, v12
	;;#ASMEND
	;;#ASMSTART
	v_dot2_f32_f16 v12, v2, v6, v12
	;;#ASMEND
	;;#ASMSTART
	v_dot2_f32_f16 v12, v3, v7, v12
	;;#ASMEND
	s_wait_dscnt 0x3
	;;#ASMSTART
	v_dot2_f32_f16 v18, v0, v20, v18
	;;#ASMEND
	;;#ASMSTART
	v_dot2_f32_f16 v18, v1, v21, v18
	;;#ASMEND
	;;#ASMSTART
	v_dot2_f32_f16 v18, v2, v22, v18
	;;#ASMEND
	;;#ASMSTART
	v_dot2_f32_f16 v18, v3, v23, v18
	;;#ASMEND
	;; [unrolled: 13-line block ×5, first 2 shown]
	;;#ASMSTART
	v_dot2_f32_f16 v19, v52, v20, v19
	;;#ASMEND
	;;#ASMSTART
	v_dot2_f32_f16 v19, v53, v21, v19
	;;#ASMEND
	;; [unrolled: 3-line block ×12, first 2 shown]
	ds_load_b128 v[0:3], v105 offset:80
	ds_load_b128 v[4:7], v71 offset:336
	;; [unrolled: 1-line block ×6, first 2 shown]
	s_wait_dscnt 0x4
	;;#ASMSTART
	v_dot2_f32_f16 v12, v0, v4, v12
	;;#ASMEND
	;;#ASMSTART
	v_dot2_f32_f16 v12, v1, v5, v12
	;;#ASMEND
	;;#ASMSTART
	v_dot2_f32_f16 v12, v2, v6, v12
	;;#ASMEND
	;;#ASMSTART
	v_dot2_f32_f16 v12, v3, v7, v12
	;;#ASMEND
	s_wait_dscnt 0x3
	;;#ASMSTART
	v_dot2_f32_f16 v18, v0, v20, v18
	;;#ASMEND
	;;#ASMSTART
	v_dot2_f32_f16 v18, v1, v21, v18
	;;#ASMEND
	;;#ASMSTART
	v_dot2_f32_f16 v18, v2, v22, v18
	;;#ASMEND
	;;#ASMSTART
	v_dot2_f32_f16 v18, v3, v23, v18
	;;#ASMEND
	;; [unrolled: 13-line block ×5, first 2 shown]
	;;#ASMSTART
	v_dot2_f32_f16 v19, v52, v20, v19
	;;#ASMEND
	;;#ASMSTART
	v_dot2_f32_f16 v19, v53, v21, v19
	;;#ASMEND
	;; [unrolled: 3-line block ×12, first 2 shown]
	ds_load_b128 v[0:3], v105 offset:96
	ds_load_b128 v[4:7], v71 offset:352
	;; [unrolled: 1-line block ×6, first 2 shown]
	s_wait_dscnt 0x4
	;;#ASMSTART
	v_dot2_f32_f16 v12, v0, v4, v12
	;;#ASMEND
	;;#ASMSTART
	v_dot2_f32_f16 v12, v1, v5, v12
	;;#ASMEND
	;;#ASMSTART
	v_dot2_f32_f16 v12, v2, v6, v12
	;;#ASMEND
	;;#ASMSTART
	v_dot2_f32_f16 v12, v3, v7, v12
	;;#ASMEND
	s_wait_dscnt 0x3
	;;#ASMSTART
	v_dot2_f32_f16 v18, v0, v20, v18
	;;#ASMEND
	;;#ASMSTART
	v_dot2_f32_f16 v18, v1, v21, v18
	;;#ASMEND
	;;#ASMSTART
	v_dot2_f32_f16 v18, v2, v22, v18
	;;#ASMEND
	;;#ASMSTART
	v_dot2_f32_f16 v18, v3, v23, v18
	;;#ASMEND
	s_wait_dscnt 0x2
	;;#ASMSTART
	v_dot2_f32_f16 v16, v0, v28, v16
	;;#ASMEND
	;;#ASMSTART
	v_dot2_f32_f16 v16, v1, v29, v16
	;;#ASMEND
	;;#ASMSTART
	v_dot2_f32_f16 v16, v2, v30, v16
	;;#ASMEND
	;;#ASMSTART
	v_dot2_f32_f16 v16, v3, v31, v16
	;;#ASMEND
	s_wait_dscnt 0x1
	;;#ASMSTART
	v_dot2_f32_f16 v61, v0, v48, v61
	;;#ASMEND
	;;#ASMSTART
	v_dot2_f32_f16 v61, v1, v49, v61
	;;#ASMEND
	;;#ASMSTART
	v_dot2_f32_f16 v61, v2, v50, v61
	;;#ASMEND
	;;#ASMSTART
	v_dot2_f32_f16 v61, v3, v51, v61
	;;#ASMEND
	s_wait_dscnt 0x0
	;;#ASMSTART
	v_dot2_f32_f16 v13, v52, v4, v13
	;;#ASMEND
	;;#ASMSTART
	v_dot2_f32_f16 v13, v53, v5, v13
	;;#ASMEND
	;;#ASMSTART
	v_dot2_f32_f16 v13, v54, v6, v13
	;;#ASMEND
	;;#ASMSTART
	v_dot2_f32_f16 v13, v55, v7, v13
	;;#ASMEND
	;;#ASMSTART
	v_dot2_f32_f16 v19, v52, v20, v19
	;;#ASMEND
	;;#ASMSTART
	v_dot2_f32_f16 v19, v53, v21, v19
	;;#ASMEND
	;; [unrolled: 3-line block ×12, first 2 shown]
	ds_load_b128 v[0:3], v105 offset:112
	ds_load_b128 v[4:7], v71 offset:368
	;; [unrolled: 1-line block ×6, first 2 shown]
	s_wait_dscnt 0x4
	;;#ASMSTART
	v_dot2_f32_f16 v12, v0, v4, v12
	;;#ASMEND
	;;#ASMSTART
	v_dot2_f32_f16 v12, v1, v5, v12
	;;#ASMEND
	;;#ASMSTART
	v_dot2_f32_f16 v12, v2, v6, v12
	;;#ASMEND
	;;#ASMSTART
	v_dot2_f32_f16 v12, v3, v7, v12
	;;#ASMEND
	s_wait_dscnt 0x3
	;;#ASMSTART
	v_dot2_f32_f16 v18, v0, v20, v18
	;;#ASMEND
	;;#ASMSTART
	v_dot2_f32_f16 v18, v1, v21, v18
	;;#ASMEND
	;;#ASMSTART
	v_dot2_f32_f16 v18, v2, v22, v18
	;;#ASMEND
	;;#ASMSTART
	v_dot2_f32_f16 v18, v3, v23, v18
	;;#ASMEND
	;; [unrolled: 13-line block ×5, first 2 shown]
	;;#ASMSTART
	v_dot2_f32_f16 v19, v52, v20, v19
	;;#ASMEND
	;;#ASMSTART
	v_dot2_f32_f16 v19, v53, v21, v19
	;;#ASMEND
	;; [unrolled: 3-line block ×12, first 2 shown]
	ds_load_b128 v[0:3], v105 offset:128
	ds_load_b128 v[4:7], v71 offset:384
	;; [unrolled: 1-line block ×6, first 2 shown]
	s_wait_dscnt 0x4
	;;#ASMSTART
	v_dot2_f32_f16 v12, v0, v4, v12
	;;#ASMEND
	;;#ASMSTART
	v_dot2_f32_f16 v12, v1, v5, v12
	;;#ASMEND
	;;#ASMSTART
	v_dot2_f32_f16 v12, v2, v6, v12
	;;#ASMEND
	;;#ASMSTART
	v_dot2_f32_f16 v12, v3, v7, v12
	;;#ASMEND
	s_wait_dscnt 0x3
	;;#ASMSTART
	v_dot2_f32_f16 v18, v0, v20, v18
	;;#ASMEND
	;;#ASMSTART
	v_dot2_f32_f16 v18, v1, v21, v18
	;;#ASMEND
	;;#ASMSTART
	v_dot2_f32_f16 v18, v2, v22, v18
	;;#ASMEND
	;;#ASMSTART
	v_dot2_f32_f16 v18, v3, v23, v18
	;;#ASMEND
	;; [unrolled: 13-line block ×5, first 2 shown]
	;;#ASMSTART
	v_dot2_f32_f16 v19, v52, v20, v19
	;;#ASMEND
	;;#ASMSTART
	v_dot2_f32_f16 v19, v53, v21, v19
	;;#ASMEND
	;;#ASMSTART
	v_dot2_f32_f16 v19, v54, v22, v19
	;;#ASMEND
	;;#ASMSTART
	v_dot2_f32_f16 v19, v55, v23, v19
	;;#ASMEND
	;;#ASMSTART
	v_dot2_f32_f16 v17, v52, v28, v17
	;;#ASMEND
	;;#ASMSTART
	v_dot2_f32_f16 v17, v53, v29, v17
	;;#ASMEND
	;;#ASMSTART
	v_dot2_f32_f16 v17, v54, v30, v17
	;;#ASMEND
	;;#ASMSTART
	v_dot2_f32_f16 v17, v55, v31, v17
	;;#ASMEND
	;;#ASMSTART
	v_dot2_f32_f16 v62, v52, v48, v62
	;;#ASMEND
	;;#ASMSTART
	v_dot2_f32_f16 v62, v53, v49, v62
	;;#ASMEND
	;;#ASMSTART
	v_dot2_f32_f16 v62, v54, v50, v62
	;;#ASMEND
	;;#ASMSTART
	v_dot2_f32_f16 v62, v55, v51, v62
	;;#ASMEND
	ds_load_b128 v[0:3], v105 offset:144
	ds_load_b128 v[4:7], v71 offset:400
	;; [unrolled: 1-line block ×6, first 2 shown]
	s_wait_dscnt 0x4
	;;#ASMSTART
	v_dot2_f32_f16 v12, v0, v4, v12
	;;#ASMEND
	;;#ASMSTART
	v_dot2_f32_f16 v12, v1, v5, v12
	;;#ASMEND
	;;#ASMSTART
	v_dot2_f32_f16 v12, v2, v6, v12
	;;#ASMEND
	;;#ASMSTART
	v_dot2_f32_f16 v12, v3, v7, v12
	;;#ASMEND
	s_wait_dscnt 0x3
	;;#ASMSTART
	v_dot2_f32_f16 v18, v0, v20, v18
	;;#ASMEND
	;;#ASMSTART
	v_dot2_f32_f16 v18, v1, v21, v18
	;;#ASMEND
	;;#ASMSTART
	v_dot2_f32_f16 v18, v2, v22, v18
	;;#ASMEND
	;;#ASMSTART
	v_dot2_f32_f16 v18, v3, v23, v18
	;;#ASMEND
	;; [unrolled: 13-line block ×5, first 2 shown]
	;;#ASMSTART
	v_dot2_f32_f16 v19, v52, v20, v19
	;;#ASMEND
	;;#ASMSTART
	v_dot2_f32_f16 v19, v53, v21, v19
	;;#ASMEND
	;; [unrolled: 3-line block ×12, first 2 shown]
	ds_load_b128 v[0:3], v105 offset:160
	ds_load_b128 v[4:7], v71 offset:416
	;; [unrolled: 1-line block ×6, first 2 shown]
	s_wait_dscnt 0x4
	;;#ASMSTART
	v_dot2_f32_f16 v12, v0, v4, v12
	;;#ASMEND
	;;#ASMSTART
	v_dot2_f32_f16 v12, v1, v5, v12
	;;#ASMEND
	;;#ASMSTART
	v_dot2_f32_f16 v12, v2, v6, v12
	;;#ASMEND
	;;#ASMSTART
	v_dot2_f32_f16 v12, v3, v7, v12
	;;#ASMEND
	s_wait_dscnt 0x3
	;;#ASMSTART
	v_dot2_f32_f16 v18, v0, v20, v18
	;;#ASMEND
	;;#ASMSTART
	v_dot2_f32_f16 v18, v1, v21, v18
	;;#ASMEND
	;;#ASMSTART
	v_dot2_f32_f16 v18, v2, v22, v18
	;;#ASMEND
	;;#ASMSTART
	v_dot2_f32_f16 v18, v3, v23, v18
	;;#ASMEND
	s_wait_dscnt 0x2
	;;#ASMSTART
	v_dot2_f32_f16 v16, v0, v28, v16
	;;#ASMEND
	;;#ASMSTART
	v_dot2_f32_f16 v16, v1, v29, v16
	;;#ASMEND
	;;#ASMSTART
	v_dot2_f32_f16 v16, v2, v30, v16
	;;#ASMEND
	;;#ASMSTART
	v_dot2_f32_f16 v16, v3, v31, v16
	;;#ASMEND
	s_wait_dscnt 0x1
	;;#ASMSTART
	v_dot2_f32_f16 v61, v0, v48, v61
	;;#ASMEND
	;;#ASMSTART
	v_dot2_f32_f16 v61, v1, v49, v61
	;;#ASMEND
	;;#ASMSTART
	v_dot2_f32_f16 v61, v2, v50, v61
	;;#ASMEND
	;;#ASMSTART
	v_dot2_f32_f16 v61, v3, v51, v61
	;;#ASMEND
	s_wait_dscnt 0x0
	;;#ASMSTART
	v_dot2_f32_f16 v13, v52, v4, v13
	;;#ASMEND
	;;#ASMSTART
	v_dot2_f32_f16 v13, v53, v5, v13
	;;#ASMEND
	;;#ASMSTART
	v_dot2_f32_f16 v13, v54, v6, v13
	;;#ASMEND
	;;#ASMSTART
	v_dot2_f32_f16 v13, v55, v7, v13
	;;#ASMEND
	;;#ASMSTART
	v_dot2_f32_f16 v19, v52, v20, v19
	;;#ASMEND
	;;#ASMSTART
	v_dot2_f32_f16 v19, v53, v21, v19
	;;#ASMEND
	;;#ASMSTART
	v_dot2_f32_f16 v19, v54, v22, v19
	;;#ASMEND
	;;#ASMSTART
	v_dot2_f32_f16 v19, v55, v23, v19
	;;#ASMEND
	;;#ASMSTART
	v_dot2_f32_f16 v17, v52, v28, v17
	;;#ASMEND
	;;#ASMSTART
	v_dot2_f32_f16 v17, v53, v29, v17
	;;#ASMEND
	;;#ASMSTART
	v_dot2_f32_f16 v17, v54, v30, v17
	;;#ASMEND
	;;#ASMSTART
	v_dot2_f32_f16 v17, v55, v31, v17
	;;#ASMEND
	;;#ASMSTART
	v_dot2_f32_f16 v62, v52, v48, v62
	;;#ASMEND
	;;#ASMSTART
	v_dot2_f32_f16 v62, v53, v49, v62
	;;#ASMEND
	;;#ASMSTART
	v_dot2_f32_f16 v62, v54, v50, v62
	;;#ASMEND
	;;#ASMSTART
	v_dot2_f32_f16 v62, v55, v51, v62
	;;#ASMEND
	ds_load_b128 v[0:3], v105 offset:176
	ds_load_b128 v[4:7], v71 offset:432
	;; [unrolled: 1-line block ×6, first 2 shown]
	s_wait_dscnt 0x4
	;;#ASMSTART
	v_dot2_f32_f16 v12, v0, v4, v12
	;;#ASMEND
	;;#ASMSTART
	v_dot2_f32_f16 v12, v1, v5, v12
	;;#ASMEND
	;;#ASMSTART
	v_dot2_f32_f16 v12, v2, v6, v12
	;;#ASMEND
	;;#ASMSTART
	v_dot2_f32_f16 v12, v3, v7, v12
	;;#ASMEND
	s_wait_dscnt 0x3
	;;#ASMSTART
	v_dot2_f32_f16 v18, v0, v20, v18
	;;#ASMEND
	;;#ASMSTART
	v_dot2_f32_f16 v18, v1, v21, v18
	;;#ASMEND
	;;#ASMSTART
	v_dot2_f32_f16 v18, v2, v22, v18
	;;#ASMEND
	;;#ASMSTART
	v_dot2_f32_f16 v18, v3, v23, v18
	;;#ASMEND
	;; [unrolled: 13-line block ×5, first 2 shown]
	;;#ASMSTART
	v_dot2_f32_f16 v19, v52, v20, v19
	;;#ASMEND
	;;#ASMSTART
	v_dot2_f32_f16 v19, v53, v21, v19
	;;#ASMEND
	;; [unrolled: 3-line block ×12, first 2 shown]
	ds_load_b128 v[0:3], v105 offset:192
	ds_load_b128 v[4:7], v71 offset:448
	ds_load_b128 v[20:23], v71 offset:960
	ds_load_b128 v[28:31], v71 offset:1472
	ds_load_b128 v[48:51], v71 offset:1984
	ds_load_b128 v[52:55], v105 offset:8896
	s_wait_dscnt 0x4
	;;#ASMSTART
	v_dot2_f32_f16 v12, v0, v4, v12
	;;#ASMEND
	;;#ASMSTART
	v_dot2_f32_f16 v12, v1, v5, v12
	;;#ASMEND
	;;#ASMSTART
	v_dot2_f32_f16 v12, v2, v6, v12
	;;#ASMEND
	;;#ASMSTART
	v_dot2_f32_f16 v12, v3, v7, v12
	;;#ASMEND
	s_wait_dscnt 0x3
	;;#ASMSTART
	v_dot2_f32_f16 v18, v0, v20, v18
	;;#ASMEND
	;;#ASMSTART
	v_dot2_f32_f16 v18, v1, v21, v18
	;;#ASMEND
	;;#ASMSTART
	v_dot2_f32_f16 v18, v2, v22, v18
	;;#ASMEND
	;;#ASMSTART
	v_dot2_f32_f16 v18, v3, v23, v18
	;;#ASMEND
	;; [unrolled: 13-line block ×5, first 2 shown]
	;;#ASMSTART
	v_dot2_f32_f16 v19, v52, v20, v19
	;;#ASMEND
	;;#ASMSTART
	v_dot2_f32_f16 v19, v53, v21, v19
	;;#ASMEND
	;; [unrolled: 3-line block ×12, first 2 shown]
	ds_load_b128 v[0:3], v105 offset:208
	ds_load_b128 v[4:7], v71 offset:464
	;; [unrolled: 1-line block ×6, first 2 shown]
	s_wait_dscnt 0x4
	;;#ASMSTART
	v_dot2_f32_f16 v12, v0, v4, v12
	;;#ASMEND
	;;#ASMSTART
	v_dot2_f32_f16 v12, v1, v5, v12
	;;#ASMEND
	;;#ASMSTART
	v_dot2_f32_f16 v12, v2, v6, v12
	;;#ASMEND
	;;#ASMSTART
	v_dot2_f32_f16 v12, v3, v7, v12
	;;#ASMEND
	s_wait_dscnt 0x3
	;;#ASMSTART
	v_dot2_f32_f16 v18, v0, v20, v18
	;;#ASMEND
	;;#ASMSTART
	v_dot2_f32_f16 v18, v1, v21, v18
	;;#ASMEND
	;;#ASMSTART
	v_dot2_f32_f16 v18, v2, v22, v18
	;;#ASMEND
	;;#ASMSTART
	v_dot2_f32_f16 v18, v3, v23, v18
	;;#ASMEND
	;; [unrolled: 13-line block ×5, first 2 shown]
	;;#ASMSTART
	v_dot2_f32_f16 v19, v52, v20, v19
	;;#ASMEND
	;;#ASMSTART
	v_dot2_f32_f16 v19, v53, v21, v19
	;;#ASMEND
	;; [unrolled: 3-line block ×12, first 2 shown]
	ds_load_b128 v[0:3], v105 offset:224
	ds_load_b128 v[4:7], v71 offset:480
	;; [unrolled: 1-line block ×6, first 2 shown]
	s_wait_dscnt 0x4
	;;#ASMSTART
	v_dot2_f32_f16 v12, v0, v4, v12
	;;#ASMEND
	;;#ASMSTART
	v_dot2_f32_f16 v12, v1, v5, v12
	;;#ASMEND
	;;#ASMSTART
	v_dot2_f32_f16 v12, v2, v6, v12
	;;#ASMEND
	;;#ASMSTART
	v_dot2_f32_f16 v12, v3, v7, v12
	;;#ASMEND
	s_wait_dscnt 0x3
	;;#ASMSTART
	v_dot2_f32_f16 v18, v0, v20, v18
	;;#ASMEND
	;;#ASMSTART
	v_dot2_f32_f16 v18, v1, v21, v18
	;;#ASMEND
	;;#ASMSTART
	v_dot2_f32_f16 v18, v2, v22, v18
	;;#ASMEND
	;;#ASMSTART
	v_dot2_f32_f16 v18, v3, v23, v18
	;;#ASMEND
	;; [unrolled: 13-line block ×5, first 2 shown]
	;;#ASMSTART
	v_dot2_f32_f16 v19, v52, v20, v19
	;;#ASMEND
	;;#ASMSTART
	v_dot2_f32_f16 v19, v53, v21, v19
	;;#ASMEND
	;; [unrolled: 3-line block ×12, first 2 shown]
	ds_load_b128 v[0:3], v105 offset:240
	ds_load_b128 v[4:7], v71 offset:496
	;; [unrolled: 1-line block ×6, first 2 shown]
	s_wait_dscnt 0x4
	;;#ASMSTART
	v_dot2_f32_f16 v12, v0, v4, v12
	;;#ASMEND
	;;#ASMSTART
	v_dot2_f32_f16 v12, v1, v5, v12
	;;#ASMEND
	;;#ASMSTART
	v_dot2_f32_f16 v12, v2, v6, v12
	;;#ASMEND
	;;#ASMSTART
	v_dot2_f32_f16 v12, v3, v7, v12
	;;#ASMEND
	s_wait_dscnt 0x3
	;;#ASMSTART
	v_dot2_f32_f16 v18, v0, v20, v18
	;;#ASMEND
	;;#ASMSTART
	v_dot2_f32_f16 v18, v1, v21, v18
	;;#ASMEND
	;;#ASMSTART
	v_dot2_f32_f16 v18, v2, v22, v18
	;;#ASMEND
	;;#ASMSTART
	v_dot2_f32_f16 v18, v3, v23, v18
	;;#ASMEND
	;; [unrolled: 13-line block ×5, first 2 shown]
	;;#ASMSTART
	v_dot2_f32_f16 v19, v52, v20, v19
	;;#ASMEND
	;;#ASMSTART
	v_dot2_f32_f16 v19, v53, v21, v19
	;;#ASMEND
	;; [unrolled: 3-line block ×5, first 2 shown]
	v_cmp_ngt_f32_e64 s12, 0x3f200000, |v12|
	;;#ASMSTART
	v_dot2_f32_f16 v17, v53, v29, v17
	;;#ASMEND
	;;#ASMSTART
	v_dot2_f32_f16 v17, v54, v30, v17
	;;#ASMEND
	;; [unrolled: 3-line block ×7, first 2 shown]
                                        ; implicit-def: $vgpr1
	s_and_saveexec_b32 s13, s12
	s_delay_alu instid0(SALU_CYCLE_1)
	s_xor_b32 s12, exec_lo, s13
	s_cbranch_execz .LBB70_10
; %bb.9:                                ;   in Loop: Header=BB70_8 Depth=1
	v_add_f32_e64 v0, |v12|, |v12|
	s_delay_alu instid0(VALU_DEP_1) | instskip(SKIP_1) | instid1(VALU_DEP_2)
	v_mul_f32_e32 v1, 0x3fb8aa3b, v0
	v_cmp_ngt_f32_e32 vcc_lo, 0xc2ce8ed0, v0
	v_rndne_f32_e32 v2, v1
	v_fma_f32 v3, 0x3fb8aa3b, v0, -v1
	s_delay_alu instid0(VALU_DEP_2) | instskip(NEXT) | instid1(VALU_DEP_2)
	v_sub_f32_e32 v1, v1, v2
	v_fmac_f32_e32 v3, 0x32a5705f, v0
	v_cvt_i32_f32_e32 v2, v2
	s_delay_alu instid0(VALU_DEP_2) | instskip(NEXT) | instid1(VALU_DEP_1)
	v_add_f32_e32 v1, v1, v3
	v_exp_f32_e32 v1, v1
	v_nop
	s_delay_alu instid0(TRANS32_DEP_1) | instskip(NEXT) | instid1(VALU_DEP_1)
	v_ldexp_f32 v1, v1, v2
	v_cndmask_b32_e32 v1, 0, v1, vcc_lo
	v_cmp_nlt_f32_e32 vcc_lo, 0x42b17218, v0
	s_delay_alu instid0(VALU_DEP_2) | instskip(NEXT) | instid1(VALU_DEP_1)
	v_cndmask_b32_e32 v0, 0x7f800000, v1, vcc_lo
	v_add_f32_e32 v0, 1.0, v0
	s_delay_alu instid0(VALU_DEP_1) | instskip(SKIP_1) | instid1(TRANS32_DEP_1)
	v_rcp_f32_e32 v0, v0
	v_nop
	v_fma_f32 v1, v0, -2.0, 1.0
.LBB70_10:                              ;   in Loop: Header=BB70_8 Depth=1
	s_and_not1_saveexec_b32 s12, s12
	s_cbranch_execz .LBB70_12
; %bb.11:                               ;   in Loop: Header=BB70_8 Depth=1
	v_mul_f32_e32 v0, v12, v12
	s_delay_alu instid0(VALU_DEP_1) | instskip(NEXT) | instid1(VALU_DEP_1)
	v_fmaak_f32 v1, s11, v0, 0x3ca908c9
	v_fmaak_f32 v1, v0, v1, 0xbd5c1c4e
	s_delay_alu instid0(VALU_DEP_1) | instskip(NEXT) | instid1(VALU_DEP_1)
	v_fmaak_f32 v1, v0, v1, 0x3e088382
	v_fmaak_f32 v1, v0, v1, 0xbeaaaa99
	s_delay_alu instid0(VALU_DEP_1) | instskip(NEXT) | instid1(VALU_DEP_1)
	v_mul_f32_e64 v1, |v12|, v1
	v_fma_f32 v1, v0, v1, |v12|
.LBB70_12:                              ;   in Loop: Header=BB70_8 Depth=1
	s_or_b32 exec_lo, exec_lo, s12
	v_add_nc_u32_e32 v0, s30, v136
	s_and_not1_b32 vcc_lo, exec_lo, s10
	s_delay_alu instid0(VALU_DEP_1)
	v_add_nc_u32_e32 v2, v0, v73
	s_cbranch_vccnz .LBB70_61
; %bb.13:                               ;   in Loop: Header=BB70_8 Depth=1
	global_load_u16 v3, v2, s[36:37] scale_offset
	s_wait_loadcnt 0x0
	v_cvt_f32_f16_e32 v3, v3
	s_delay_alu instid0(VALU_DEP_1) | instskip(SKIP_2) | instid1(SALU_CYCLE_1)
	v_mul_f32_e32 v15, v104, v3
	v_cmp_ngt_f32_e64 s12, 0x3f200000, |v13|
                                        ; implicit-def: $vgpr3
	s_and_saveexec_b32 s13, s12
	s_xor_b32 s12, exec_lo, s13
	s_cbranch_execz .LBB70_15
.LBB70_14:                              ;   in Loop: Header=BB70_8 Depth=1
	v_add_f32_e64 v3, |v13|, |v13|
	s_delay_alu instid0(VALU_DEP_1) | instskip(SKIP_1) | instid1(VALU_DEP_2)
	v_mul_f32_e32 v4, 0x3fb8aa3b, v3
	v_cmp_ngt_f32_e32 vcc_lo, 0xc2ce8ed0, v3
	v_rndne_f32_e32 v5, v4
	v_fma_f32 v6, 0x3fb8aa3b, v3, -v4
	s_delay_alu instid0(VALU_DEP_2) | instskip(NEXT) | instid1(VALU_DEP_2)
	v_sub_f32_e32 v4, v4, v5
	v_fmac_f32_e32 v6, 0x32a5705f, v3
	v_cvt_i32_f32_e32 v5, v5
	s_delay_alu instid0(VALU_DEP_2) | instskip(NEXT) | instid1(VALU_DEP_1)
	v_add_f32_e32 v4, v4, v6
	v_exp_f32_e32 v4, v4
	v_nop
	s_delay_alu instid0(TRANS32_DEP_1) | instskip(NEXT) | instid1(VALU_DEP_1)
	v_ldexp_f32 v4, v4, v5
	v_cndmask_b32_e32 v4, 0, v4, vcc_lo
	v_cmp_nlt_f32_e32 vcc_lo, 0x42b17218, v3
	s_delay_alu instid0(VALU_DEP_2) | instskip(NEXT) | instid1(VALU_DEP_1)
	v_cndmask_b32_e32 v3, 0x7f800000, v4, vcc_lo
	v_add_f32_e32 v3, 1.0, v3
	s_delay_alu instid0(VALU_DEP_1) | instskip(SKIP_1) | instid1(TRANS32_DEP_1)
	v_rcp_f32_e32 v3, v3
	v_nop
	v_fma_f32 v3, v3, -2.0, 1.0
.LBB70_15:                              ;   in Loop: Header=BB70_8 Depth=1
	s_and_not1_saveexec_b32 s12, s12
	s_cbranch_execz .LBB70_18
; %bb.16:                               ;   in Loop: Header=BB70_8 Depth=1
	v_mul_f32_e32 v3, v13, v13
	s_delay_alu instid0(VALU_DEP_1) | instskip(NEXT) | instid1(VALU_DEP_1)
	v_fmaak_f32 v4, s11, v3, 0x3ca908c9
	v_fmaak_f32 v4, v3, v4, 0xbd5c1c4e
	s_delay_alu instid0(VALU_DEP_1) | instskip(NEXT) | instid1(VALU_DEP_1)
	v_fmaak_f32 v4, v3, v4, 0x3e088382
	v_fmaak_f32 v4, v3, v4, 0xbeaaaa99
	s_delay_alu instid0(VALU_DEP_1) | instskip(NEXT) | instid1(VALU_DEP_1)
	v_mul_f32_e64 v4, |v13|, v4
	v_fma_f32 v3, v3, v4, |v13|
	s_or_b32 exec_lo, exec_lo, s12
	s_delay_alu instid0(SALU_CYCLE_1)
	s_and_not1_b32 vcc_lo, exec_lo, s10
	s_cbranch_vccz .LBB70_19
.LBB70_17:                              ;   in Loop: Header=BB70_8 Depth=1
	v_mov_b32_e32 v30, 0
	s_branch .LBB70_20
.LBB70_18:                              ;   in Loop: Header=BB70_8 Depth=1
	s_or_b32 exec_lo, exec_lo, s12
	s_delay_alu instid0(SALU_CYCLE_1)
	s_and_not1_b32 vcc_lo, exec_lo, s10
	s_cbranch_vccnz .LBB70_17
.LBB70_19:                              ;   in Loop: Header=BB70_8 Depth=1
	global_load_u16 v2, v2, s[36:37] offset:64 scale_offset
	s_wait_loadcnt 0x0
	v_cvt_f32_f16_e32 v2, v2
	s_delay_alu instid0(VALU_DEP_1)
	v_mul_f32_e32 v30, v104, v2
.LBB70_20:                              ;   in Loop: Header=BB70_8 Depth=1
	v_bfi_b32 v1, 0x7fffffff, v1, v12
	v_bfi_b32 v2, 0x7fffffff, v3, v13
	v_xor_b32_e32 v3, 16, v108
	v_cmp_ngt_f32_e64 s12, 0x3f200000, |v18|
	s_delay_alu instid0(VALU_DEP_4) | instskip(NEXT) | instid1(VALU_DEP_3)
	v_fmac_f32_e32 v15, s15, v1
	v_cmp_gt_i32_e32 vcc_lo, 32, v3
	v_fmac_f32_e32 v30, s15, v2
	s_delay_alu instid0(VALU_DEP_3) | instskip(SKIP_1) | instid1(VALU_DEP_1)
	v_add_f32_e32 v2, 0x40051340, v15
	v_cndmask_b32_e32 v1, v108, v3, vcc_lo
	v_dual_add_f32 v3, 0x40051340, v30 :: v_dual_lshlrev_b32 v12, 2, v1
	s_delay_alu instid0(VALU_DEP_1)
	v_max3_num_f32 v1, v25, v2, v3
	v_xor_b32_e32 v3, 8, v108
	ds_bpermute_b32 v2, v12, v1
	v_cmp_gt_i32_e32 vcc_lo, 32, v3
	s_wait_dscnt 0x0
	v_dual_cndmask_b32 v3, v108, v3 :: v_dual_max_num_f32 v2, v2, v2
	s_delay_alu instid0(VALU_DEP_1) | instskip(SKIP_3) | instid1(VALU_DEP_1)
	v_dual_max_num_f32 v1, v1, v2 :: v_dual_lshlrev_b32 v48, 2, v3
	ds_bpermute_b32 v2, v48, v1
	s_wait_dscnt 0x0
	v_dual_max_num_f32 v2, v2, v2 :: v_dual_bitop2_b32 v3, 4, v108 bitop3:0x14
	v_cmp_gt_i32_e32 vcc_lo, 32, v3
	s_delay_alu instid0(VALU_DEP_2) | instskip(NEXT) | instid1(VALU_DEP_1)
	v_dual_max_num_f32 v1, v1, v2 :: v_dual_cndmask_b32 v3, v108, v3, vcc_lo
	v_dual_lshlrev_b32 v31, 2, v3 :: v_dual_bitop2_b32 v3, 2, v108 bitop3:0x14
	ds_bpermute_b32 v2, v31, v1
	v_cmp_gt_i32_e32 vcc_lo, 32, v3
	s_wait_dscnt 0x0
	v_dual_cndmask_b32 v3, v108, v3 :: v_dual_max_num_f32 v2, v2, v2
	s_delay_alu instid0(VALU_DEP_1) | instskip(SKIP_3) | instid1(VALU_DEP_1)
	v_dual_lshlrev_b32 v29, 2, v3 :: v_dual_max_num_f32 v1, v1, v2
	ds_bpermute_b32 v2, v29, v1
	s_wait_dscnt 0x0
	v_dual_max_num_f32 v2, v2, v2 :: v_dual_bitop2_b32 v3, 1, v108 bitop3:0x14
	v_cmp_gt_i32_e32 vcc_lo, 32, v3
	s_delay_alu instid0(VALU_DEP_2) | instskip(NEXT) | instid1(VALU_DEP_1)
	v_dual_max_num_f32 v13, v1, v2 :: v_dual_cndmask_b32 v3, v108, v3, vcc_lo
                                        ; implicit-def: $vgpr1
	v_lshlrev_b32_e32 v28, 2, v3
	ds_bpermute_b32 v14, v28, v13
	s_and_saveexec_b32 s13, s12
	s_delay_alu instid0(SALU_CYCLE_1)
	s_xor_b32 s12, exec_lo, s13
	s_cbranch_execz .LBB70_28
; %bb.21:                               ;   in Loop: Header=BB70_8 Depth=1
	v_add_f32_e64 v1, |v18|, |v18|
	s_delay_alu instid0(VALU_DEP_1) | instskip(SKIP_1) | instid1(VALU_DEP_2)
	v_mul_f32_e32 v2, 0x3fb8aa3b, v1
	v_cmp_ngt_f32_e32 vcc_lo, 0xc2ce8ed0, v1
	v_rndne_f32_e32 v3, v2
	v_fma_f32 v4, 0x3fb8aa3b, v1, -v2
	s_delay_alu instid0(VALU_DEP_2) | instskip(NEXT) | instid1(VALU_DEP_2)
	v_sub_f32_e32 v2, v2, v3
	v_fmac_f32_e32 v4, 0x32a5705f, v1
	v_cvt_i32_f32_e32 v3, v3
	s_delay_alu instid0(VALU_DEP_2) | instskip(NEXT) | instid1(VALU_DEP_1)
	v_add_f32_e32 v2, v2, v4
	v_exp_f32_e32 v2, v2
	v_nop
	s_delay_alu instid0(TRANS32_DEP_1) | instskip(NEXT) | instid1(VALU_DEP_1)
	v_ldexp_f32 v2, v2, v3
	v_cndmask_b32_e32 v2, 0, v2, vcc_lo
	v_cmp_nlt_f32_e32 vcc_lo, 0x42b17218, v1
	s_delay_alu instid0(VALU_DEP_2) | instskip(NEXT) | instid1(VALU_DEP_1)
	v_cndmask_b32_e32 v1, 0x7f800000, v2, vcc_lo
	v_add_f32_e32 v1, 1.0, v1
	s_delay_alu instid0(VALU_DEP_1) | instskip(SKIP_1) | instid1(TRANS32_DEP_1)
	v_rcp_f32_e32 v1, v1
	v_nop
	v_fma_f32 v1, v1, -2.0, 1.0
	s_and_not1_saveexec_b32 s12, s12
	s_cbranch_execnz .LBB70_29
.LBB70_22:                              ;   in Loop: Header=BB70_8 Depth=1
	s_or_b32 exec_lo, exec_lo, s12
	v_add_nc_u32_e32 v2, v0, v116
	s_and_not1_b32 vcc_lo, exec_lo, s10
	s_cbranch_vccnz .LBB70_30
.LBB70_23:                              ;   in Loop: Header=BB70_8 Depth=1
	global_load_u16 v3, v2, s[36:37] scale_offset
	s_wait_loadcnt 0x0
	v_cvt_f32_f16_e32 v3, v3
	s_delay_alu instid0(VALU_DEP_1) | instskip(SKIP_2) | instid1(SALU_CYCLE_1)
	v_mul_f32_e32 v49, v104, v3
	v_cmp_ngt_f32_e64 s12, 0x3f200000, |v19|
                                        ; implicit-def: $vgpr3
	s_and_saveexec_b32 s13, s12
	s_xor_b32 s12, exec_lo, s13
	s_cbranch_execz .LBB70_25
.LBB70_24:                              ;   in Loop: Header=BB70_8 Depth=1
	v_add_f32_e64 v3, |v19|, |v19|
	s_delay_alu instid0(VALU_DEP_1) | instskip(SKIP_1) | instid1(VALU_DEP_2)
	v_mul_f32_e32 v4, 0x3fb8aa3b, v3
	v_cmp_ngt_f32_e32 vcc_lo, 0xc2ce8ed0, v3
	v_rndne_f32_e32 v5, v4
	v_fma_f32 v6, 0x3fb8aa3b, v3, -v4
	s_delay_alu instid0(VALU_DEP_2) | instskip(NEXT) | instid1(VALU_DEP_2)
	v_sub_f32_e32 v4, v4, v5
	v_fmac_f32_e32 v6, 0x32a5705f, v3
	v_cvt_i32_f32_e32 v5, v5
	s_delay_alu instid0(VALU_DEP_2) | instskip(NEXT) | instid1(VALU_DEP_1)
	v_add_f32_e32 v4, v4, v6
	v_exp_f32_e32 v4, v4
	v_nop
	s_delay_alu instid0(TRANS32_DEP_1) | instskip(NEXT) | instid1(VALU_DEP_1)
	v_ldexp_f32 v4, v4, v5
	v_cndmask_b32_e32 v4, 0, v4, vcc_lo
	v_cmp_nlt_f32_e32 vcc_lo, 0x42b17218, v3
	s_delay_alu instid0(VALU_DEP_2) | instskip(NEXT) | instid1(VALU_DEP_1)
	v_cndmask_b32_e32 v3, 0x7f800000, v4, vcc_lo
	v_add_f32_e32 v3, 1.0, v3
	s_delay_alu instid0(VALU_DEP_1) | instskip(SKIP_1) | instid1(TRANS32_DEP_1)
	v_rcp_f32_e32 v3, v3
	v_nop
	v_fma_f32 v3, v3, -2.0, 1.0
.LBB70_25:                              ;   in Loop: Header=BB70_8 Depth=1
	s_and_not1_saveexec_b32 s12, s12
	s_cbranch_execz .LBB70_31
; %bb.26:                               ;   in Loop: Header=BB70_8 Depth=1
	v_mul_f32_e32 v3, v19, v19
	s_delay_alu instid0(VALU_DEP_1) | instskip(NEXT) | instid1(VALU_DEP_1)
	v_fmaak_f32 v4, s11, v3, 0x3ca908c9
	v_fmaak_f32 v4, v3, v4, 0xbd5c1c4e
	s_delay_alu instid0(VALU_DEP_1) | instskip(NEXT) | instid1(VALU_DEP_1)
	v_fmaak_f32 v4, v3, v4, 0x3e088382
	v_fmaak_f32 v4, v3, v4, 0xbeaaaa99
	s_delay_alu instid0(VALU_DEP_1) | instskip(NEXT) | instid1(VALU_DEP_1)
	v_mul_f32_e64 v4, |v19|, v4
	v_fma_f32 v3, v3, v4, |v19|
	s_or_b32 exec_lo, exec_lo, s12
	s_delay_alu instid0(SALU_CYCLE_1)
	s_and_not1_b32 vcc_lo, exec_lo, s10
	s_cbranch_vccz .LBB70_32
.LBB70_27:                              ;   in Loop: Header=BB70_8 Depth=1
	v_mov_b32_e32 v50, 0
	s_branch .LBB70_33
.LBB70_28:                              ;   in Loop: Header=BB70_8 Depth=1
	s_and_not1_saveexec_b32 s12, s12
	s_cbranch_execz .LBB70_22
.LBB70_29:                              ;   in Loop: Header=BB70_8 Depth=1
	v_mul_f32_e32 v1, v18, v18
	s_delay_alu instid0(VALU_DEP_1) | instskip(NEXT) | instid1(VALU_DEP_1)
	v_fmaak_f32 v2, s11, v1, 0x3ca908c9
	v_fmaak_f32 v2, v1, v2, 0xbd5c1c4e
	s_delay_alu instid0(VALU_DEP_1) | instskip(NEXT) | instid1(VALU_DEP_1)
	v_fmaak_f32 v2, v1, v2, 0x3e088382
	v_fmaak_f32 v2, v1, v2, 0xbeaaaa99
	s_delay_alu instid0(VALU_DEP_1) | instskip(NEXT) | instid1(VALU_DEP_1)
	v_mul_f32_e64 v2, |v18|, v2
	v_fma_f32 v1, v1, v2, |v18|
	s_or_b32 exec_lo, exec_lo, s12
	v_add_nc_u32_e32 v2, v0, v116
	s_and_not1_b32 vcc_lo, exec_lo, s10
	s_cbranch_vccz .LBB70_23
.LBB70_30:                              ;   in Loop: Header=BB70_8 Depth=1
	v_mov_b32_e32 v49, 0
	v_cmp_ngt_f32_e64 s12, 0x3f200000, |v19|
                                        ; implicit-def: $vgpr3
	s_and_saveexec_b32 s13, s12
	s_delay_alu instid0(SALU_CYCLE_1)
	s_xor_b32 s12, exec_lo, s13
	s_cbranch_execz .LBB70_25
	s_branch .LBB70_24
.LBB70_31:                              ;   in Loop: Header=BB70_8 Depth=1
	s_or_b32 exec_lo, exec_lo, s12
	s_delay_alu instid0(SALU_CYCLE_1)
	s_and_not1_b32 vcc_lo, exec_lo, s10
	s_cbranch_vccnz .LBB70_27
.LBB70_32:                              ;   in Loop: Header=BB70_8 Depth=1
	global_load_u16 v2, v2, s[36:37] offset:64 scale_offset
	s_wait_loadcnt 0x0
	v_cvt_f32_f16_e32 v2, v2
	s_delay_alu instid0(VALU_DEP_1)
	v_mul_f32_e32 v50, v104, v2
.LBB70_33:                              ;   in Loop: Header=BB70_8 Depth=1
	v_bfi_b32 v1, 0x7fffffff, v1, v18
	v_bfi_b32 v2, 0x7fffffff, v3, v19
	v_cmp_ngt_f32_e64 s12, 0x3f200000, |v16|
	s_delay_alu instid0(VALU_DEP_2) | instskip(NEXT) | instid1(VALU_DEP_1)
	v_dual_fmac_f32 v49, s15, v1 :: v_dual_fmac_f32 v50, s15, v2
	v_dual_add_f32 v1, 0x40051340, v49 :: v_dual_add_f32 v2, 0x40051340, v50
	s_delay_alu instid0(VALU_DEP_1) | instskip(SKIP_3) | instid1(VALU_DEP_1)
	v_max3_num_f32 v1, v26, v1, v2
	ds_bpermute_b32 v2, v12, v1
	s_wait_dscnt 0x0
	v_max_num_f32_e32 v2, v2, v2
	v_max_num_f32_e32 v1, v1, v2
	ds_bpermute_b32 v2, v48, v1
	s_wait_dscnt 0x0
	v_max_num_f32_e32 v2, v2, v2
	s_delay_alu instid0(VALU_DEP_1) | instskip(SKIP_3) | instid1(VALU_DEP_1)
	v_max_num_f32_e32 v1, v1, v2
	ds_bpermute_b32 v2, v31, v1
	s_wait_dscnt 0x0
	v_max_num_f32_e32 v2, v2, v2
	v_max_num_f32_e32 v1, v1, v2
	ds_bpermute_b32 v2, v29, v1
	s_wait_dscnt 0x0
	v_max_num_f32_e32 v2, v2, v2
	s_delay_alu instid0(VALU_DEP_1) | instskip(SKIP_2) | instid1(SALU_CYCLE_1)
	v_max_num_f32_e32 v54, v1, v2
                                        ; implicit-def: $vgpr1
	ds_bpermute_b32 v56, v28, v54
	s_and_saveexec_b32 s13, s12
	s_xor_b32 s12, exec_lo, s13
	s_cbranch_execz .LBB70_41
; %bb.34:                               ;   in Loop: Header=BB70_8 Depth=1
	v_add_f32_e64 v1, |v16|, |v16|
	s_delay_alu instid0(VALU_DEP_1) | instskip(SKIP_1) | instid1(VALU_DEP_2)
	v_mul_f32_e32 v2, 0x3fb8aa3b, v1
	v_cmp_ngt_f32_e32 vcc_lo, 0xc2ce8ed0, v1
	v_rndne_f32_e32 v3, v2
	v_fma_f32 v4, 0x3fb8aa3b, v1, -v2
	s_delay_alu instid0(VALU_DEP_2) | instskip(NEXT) | instid1(VALU_DEP_2)
	v_sub_f32_e32 v2, v2, v3
	v_fmac_f32_e32 v4, 0x32a5705f, v1
	v_cvt_i32_f32_e32 v3, v3
	s_delay_alu instid0(VALU_DEP_2) | instskip(NEXT) | instid1(VALU_DEP_1)
	v_add_f32_e32 v2, v2, v4
	v_exp_f32_e32 v2, v2
	v_nop
	s_delay_alu instid0(TRANS32_DEP_1) | instskip(NEXT) | instid1(VALU_DEP_1)
	v_ldexp_f32 v2, v2, v3
	v_cndmask_b32_e32 v2, 0, v2, vcc_lo
	v_cmp_nlt_f32_e32 vcc_lo, 0x42b17218, v1
	s_delay_alu instid0(VALU_DEP_2) | instskip(NEXT) | instid1(VALU_DEP_1)
	v_cndmask_b32_e32 v1, 0x7f800000, v2, vcc_lo
	v_add_f32_e32 v1, 1.0, v1
	s_delay_alu instid0(VALU_DEP_1) | instskip(SKIP_1) | instid1(TRANS32_DEP_1)
	v_rcp_f32_e32 v1, v1
	v_nop
	v_fma_f32 v1, v1, -2.0, 1.0
	s_and_not1_saveexec_b32 s12, s12
	s_cbranch_execnz .LBB70_42
.LBB70_35:                              ;   in Loop: Header=BB70_8 Depth=1
	s_or_b32 exec_lo, exec_lo, s12
	v_add_nc_u32_e32 v2, v0, v117
	s_and_not1_b32 vcc_lo, exec_lo, s10
	s_cbranch_vccnz .LBB70_43
.LBB70_36:                              ;   in Loop: Header=BB70_8 Depth=1
	global_load_u16 v3, v2, s[36:37] scale_offset
	s_wait_loadcnt 0x0
	v_cvt_f32_f16_e32 v3, v3
	s_delay_alu instid0(VALU_DEP_1) | instskip(SKIP_2) | instid1(SALU_CYCLE_1)
	v_mul_f32_e32 v51, v104, v3
	v_cmp_ngt_f32_e64 s12, 0x3f200000, |v17|
                                        ; implicit-def: $vgpr3
	s_and_saveexec_b32 s13, s12
	s_xor_b32 s12, exec_lo, s13
	s_cbranch_execz .LBB70_38
.LBB70_37:                              ;   in Loop: Header=BB70_8 Depth=1
	v_add_f32_e64 v3, |v17|, |v17|
	s_delay_alu instid0(VALU_DEP_1) | instskip(SKIP_1) | instid1(VALU_DEP_2)
	v_mul_f32_e32 v4, 0x3fb8aa3b, v3
	v_cmp_ngt_f32_e32 vcc_lo, 0xc2ce8ed0, v3
	v_rndne_f32_e32 v5, v4
	v_fma_f32 v6, 0x3fb8aa3b, v3, -v4
	s_delay_alu instid0(VALU_DEP_2) | instskip(NEXT) | instid1(VALU_DEP_2)
	v_sub_f32_e32 v4, v4, v5
	v_fmac_f32_e32 v6, 0x32a5705f, v3
	v_cvt_i32_f32_e32 v5, v5
	s_delay_alu instid0(VALU_DEP_2) | instskip(NEXT) | instid1(VALU_DEP_1)
	v_add_f32_e32 v4, v4, v6
	v_exp_f32_e32 v4, v4
	v_nop
	s_delay_alu instid0(TRANS32_DEP_1) | instskip(NEXT) | instid1(VALU_DEP_1)
	v_ldexp_f32 v4, v4, v5
	v_cndmask_b32_e32 v4, 0, v4, vcc_lo
	v_cmp_nlt_f32_e32 vcc_lo, 0x42b17218, v3
	s_delay_alu instid0(VALU_DEP_2) | instskip(NEXT) | instid1(VALU_DEP_1)
	v_cndmask_b32_e32 v3, 0x7f800000, v4, vcc_lo
	v_add_f32_e32 v3, 1.0, v3
	s_delay_alu instid0(VALU_DEP_1) | instskip(SKIP_1) | instid1(TRANS32_DEP_1)
	v_rcp_f32_e32 v3, v3
	v_nop
	v_fma_f32 v3, v3, -2.0, 1.0
.LBB70_38:                              ;   in Loop: Header=BB70_8 Depth=1
	s_and_not1_saveexec_b32 s12, s12
	s_cbranch_execz .LBB70_44
; %bb.39:                               ;   in Loop: Header=BB70_8 Depth=1
	v_mul_f32_e32 v3, v17, v17
	s_delay_alu instid0(VALU_DEP_1) | instskip(NEXT) | instid1(VALU_DEP_1)
	v_fmaak_f32 v4, s11, v3, 0x3ca908c9
	v_fmaak_f32 v4, v3, v4, 0xbd5c1c4e
	s_delay_alu instid0(VALU_DEP_1) | instskip(NEXT) | instid1(VALU_DEP_1)
	v_fmaak_f32 v4, v3, v4, 0x3e088382
	v_fmaak_f32 v4, v3, v4, 0xbeaaaa99
	s_delay_alu instid0(VALU_DEP_1) | instskip(NEXT) | instid1(VALU_DEP_1)
	v_mul_f32_e64 v4, |v17|, v4
	v_fma_f32 v3, v3, v4, |v17|
	s_or_b32 exec_lo, exec_lo, s12
	s_delay_alu instid0(SALU_CYCLE_1)
	s_and_not1_b32 vcc_lo, exec_lo, s10
	s_cbranch_vccz .LBB70_45
.LBB70_40:                              ;   in Loop: Header=BB70_8 Depth=1
	v_mov_b32_e32 v53, 0
	s_branch .LBB70_46
.LBB70_41:                              ;   in Loop: Header=BB70_8 Depth=1
	s_and_not1_saveexec_b32 s12, s12
	s_cbranch_execz .LBB70_35
.LBB70_42:                              ;   in Loop: Header=BB70_8 Depth=1
	v_mul_f32_e32 v1, v16, v16
	s_delay_alu instid0(VALU_DEP_1) | instskip(NEXT) | instid1(VALU_DEP_1)
	v_fmaak_f32 v2, s11, v1, 0x3ca908c9
	v_fmaak_f32 v2, v1, v2, 0xbd5c1c4e
	s_delay_alu instid0(VALU_DEP_1) | instskip(NEXT) | instid1(VALU_DEP_1)
	v_fmaak_f32 v2, v1, v2, 0x3e088382
	v_fmaak_f32 v2, v1, v2, 0xbeaaaa99
	s_delay_alu instid0(VALU_DEP_1) | instskip(NEXT) | instid1(VALU_DEP_1)
	v_mul_f32_e64 v2, |v16|, v2
	v_fma_f32 v1, v1, v2, |v16|
	s_or_b32 exec_lo, exec_lo, s12
	v_add_nc_u32_e32 v2, v0, v117
	s_and_not1_b32 vcc_lo, exec_lo, s10
	s_cbranch_vccz .LBB70_36
.LBB70_43:                              ;   in Loop: Header=BB70_8 Depth=1
	v_mov_b32_e32 v51, 0
	v_cmp_ngt_f32_e64 s12, 0x3f200000, |v17|
                                        ; implicit-def: $vgpr3
	s_and_saveexec_b32 s13, s12
	s_delay_alu instid0(SALU_CYCLE_1)
	s_xor_b32 s12, exec_lo, s13
	s_cbranch_execz .LBB70_38
	s_branch .LBB70_37
.LBB70_44:                              ;   in Loop: Header=BB70_8 Depth=1
	s_or_b32 exec_lo, exec_lo, s12
	s_delay_alu instid0(SALU_CYCLE_1)
	s_and_not1_b32 vcc_lo, exec_lo, s10
	s_cbranch_vccnz .LBB70_40
.LBB70_45:                              ;   in Loop: Header=BB70_8 Depth=1
	global_load_u16 v2, v2, s[36:37] offset:64 scale_offset
	s_wait_loadcnt 0x0
	v_cvt_f32_f16_e32 v2, v2
	s_delay_alu instid0(VALU_DEP_1)
	v_mul_f32_e32 v53, v104, v2
.LBB70_46:                              ;   in Loop: Header=BB70_8 Depth=1
	v_bfi_b32 v1, 0x7fffffff, v1, v16
	v_bfi_b32 v2, 0x7fffffff, v3, v17
	v_cmp_ngt_f32_e64 s12, 0x3f200000, |v61|
                                        ; implicit-def: $vgpr59
	s_delay_alu instid0(VALU_DEP_2) | instskip(NEXT) | instid1(VALU_DEP_1)
	v_dual_fmac_f32 v51, s15, v1 :: v_dual_fmac_f32 v53, s15, v2
	v_dual_add_f32 v1, 0x40051340, v51 :: v_dual_add_f32 v2, 0x40051340, v53
	s_delay_alu instid0(VALU_DEP_1) | instskip(SKIP_3) | instid1(VALU_DEP_1)
	v_max3_num_f32 v1, v27, v1, v2
	ds_bpermute_b32 v2, v12, v1
	s_wait_dscnt 0x0
	v_max_num_f32_e32 v2, v2, v2
	v_max_num_f32_e32 v1, v1, v2
	ds_bpermute_b32 v2, v48, v1
	s_wait_dscnt 0x0
	v_max_num_f32_e32 v2, v2, v2
	s_delay_alu instid0(VALU_DEP_1) | instskip(SKIP_3) | instid1(VALU_DEP_1)
	v_max_num_f32_e32 v1, v1, v2
	ds_bpermute_b32 v2, v31, v1
	s_wait_dscnt 0x0
	v_max_num_f32_e32 v2, v2, v2
	v_max_num_f32_e32 v1, v1, v2
	ds_bpermute_b32 v2, v29, v1
	s_wait_dscnt 0x0
	v_max_num_f32_e32 v2, v2, v2
	s_delay_alu instid0(VALU_DEP_1) | instskip(SKIP_2) | instid1(SALU_CYCLE_1)
	v_max_num_f32_e32 v57, v1, v2
	ds_bpermute_b32 v58, v28, v57
	s_and_saveexec_b32 s13, s12
	s_xor_b32 s12, exec_lo, s13
	s_cbranch_execz .LBB70_54
; %bb.47:                               ;   in Loop: Header=BB70_8 Depth=1
	v_add_f32_e64 v1, |v61|, |v61|
	s_delay_alu instid0(VALU_DEP_1) | instskip(SKIP_1) | instid1(VALU_DEP_2)
	v_mul_f32_e32 v2, 0x3fb8aa3b, v1
	v_cmp_ngt_f32_e32 vcc_lo, 0xc2ce8ed0, v1
	v_rndne_f32_e32 v3, v2
	v_fma_f32 v4, 0x3fb8aa3b, v1, -v2
	s_delay_alu instid0(VALU_DEP_2) | instskip(NEXT) | instid1(VALU_DEP_2)
	v_sub_f32_e32 v2, v2, v3
	v_fmac_f32_e32 v4, 0x32a5705f, v1
	v_cvt_i32_f32_e32 v3, v3
	s_delay_alu instid0(VALU_DEP_2) | instskip(NEXT) | instid1(VALU_DEP_1)
	v_add_f32_e32 v2, v2, v4
	v_exp_f32_e32 v2, v2
	v_nop
	s_delay_alu instid0(TRANS32_DEP_1) | instskip(NEXT) | instid1(VALU_DEP_1)
	v_ldexp_f32 v2, v2, v3
	v_cndmask_b32_e32 v2, 0, v2, vcc_lo
	v_cmp_nlt_f32_e32 vcc_lo, 0x42b17218, v1
	s_delay_alu instid0(VALU_DEP_2) | instskip(NEXT) | instid1(VALU_DEP_1)
	v_cndmask_b32_e32 v1, 0x7f800000, v2, vcc_lo
	v_add_f32_e32 v1, 1.0, v1
	s_delay_alu instid0(VALU_DEP_1) | instskip(SKIP_1) | instid1(TRANS32_DEP_1)
	v_rcp_f32_e32 v1, v1
	v_nop
	v_fma_f32 v59, v1, -2.0, 1.0
	s_and_not1_saveexec_b32 s12, s12
	s_cbranch_execnz .LBB70_55
.LBB70_48:                              ;   in Loop: Header=BB70_8 Depth=1
	s_or_b32 exec_lo, exec_lo, s12
	v_add_nc_u32_e32 v0, v0, v118
	s_and_not1_b32 vcc_lo, exec_lo, s10
	s_cbranch_vccnz .LBB70_56
.LBB70_49:                              ;   in Loop: Header=BB70_8 Depth=1
	global_load_u16 v1, v0, s[36:37] scale_offset
	s_wait_loadcnt 0x0
	v_cvt_f32_f16_e32 v1, v1
	s_delay_alu instid0(VALU_DEP_1) | instskip(SKIP_2) | instid1(SALU_CYCLE_1)
	v_mul_f32_e32 v52, v104, v1
	v_cmp_ngt_f32_e64 s12, 0x3f200000, |v62|
                                        ; implicit-def: $vgpr60
	s_and_saveexec_b32 s13, s12
	s_xor_b32 s12, exec_lo, s13
	s_cbranch_execz .LBB70_51
.LBB70_50:                              ;   in Loop: Header=BB70_8 Depth=1
	v_add_f32_e64 v1, |v62|, |v62|
	s_delay_alu instid0(VALU_DEP_1) | instskip(SKIP_1) | instid1(VALU_DEP_2)
	v_mul_f32_e32 v2, 0x3fb8aa3b, v1
	v_cmp_ngt_f32_e32 vcc_lo, 0xc2ce8ed0, v1
	v_rndne_f32_e32 v3, v2
	v_fma_f32 v4, 0x3fb8aa3b, v1, -v2
	s_delay_alu instid0(VALU_DEP_2) | instskip(NEXT) | instid1(VALU_DEP_2)
	v_sub_f32_e32 v2, v2, v3
	v_fmac_f32_e32 v4, 0x32a5705f, v1
	v_cvt_i32_f32_e32 v3, v3
	s_delay_alu instid0(VALU_DEP_2) | instskip(NEXT) | instid1(VALU_DEP_1)
	v_add_f32_e32 v2, v2, v4
	v_exp_f32_e32 v2, v2
	v_nop
	s_delay_alu instid0(TRANS32_DEP_1) | instskip(NEXT) | instid1(VALU_DEP_1)
	v_ldexp_f32 v2, v2, v3
	v_cndmask_b32_e32 v2, 0, v2, vcc_lo
	v_cmp_nlt_f32_e32 vcc_lo, 0x42b17218, v1
	s_delay_alu instid0(VALU_DEP_2) | instskip(NEXT) | instid1(VALU_DEP_1)
	v_cndmask_b32_e32 v1, 0x7f800000, v2, vcc_lo
	v_add_f32_e32 v1, 1.0, v1
	s_delay_alu instid0(VALU_DEP_1) | instskip(SKIP_1) | instid1(TRANS32_DEP_1)
	v_rcp_f32_e32 v1, v1
	v_nop
	v_fma_f32 v60, v1, -2.0, 1.0
.LBB70_51:                              ;   in Loop: Header=BB70_8 Depth=1
	s_and_not1_saveexec_b32 s12, s12
	s_cbranch_execz .LBB70_57
; %bb.52:                               ;   in Loop: Header=BB70_8 Depth=1
	v_mul_f32_e32 v1, v62, v62
	s_delay_alu instid0(VALU_DEP_1) | instskip(NEXT) | instid1(VALU_DEP_1)
	v_fmaak_f32 v2, s11, v1, 0x3ca908c9
	v_fmaak_f32 v2, v1, v2, 0xbd5c1c4e
	s_delay_alu instid0(VALU_DEP_1) | instskip(NEXT) | instid1(VALU_DEP_1)
	v_fmaak_f32 v2, v1, v2, 0x3e088382
	v_fmaak_f32 v2, v1, v2, 0xbeaaaa99
	s_delay_alu instid0(VALU_DEP_1) | instskip(NEXT) | instid1(VALU_DEP_1)
	v_mul_f32_e64 v2, |v62|, v2
	v_fma_f32 v60, v1, v2, |v62|
	s_or_b32 exec_lo, exec_lo, s12
	s_delay_alu instid0(SALU_CYCLE_1)
	s_and_not1_b32 vcc_lo, exec_lo, s10
	s_cbranch_vccz .LBB70_58
.LBB70_53:                              ;   in Loop: Header=BB70_8 Depth=1
	v_mov_b32_e32 v55, 0
	s_branch .LBB70_59
.LBB70_54:                              ;   in Loop: Header=BB70_8 Depth=1
	s_and_not1_saveexec_b32 s12, s12
	s_cbranch_execz .LBB70_48
.LBB70_55:                              ;   in Loop: Header=BB70_8 Depth=1
	v_mul_f32_e32 v1, v61, v61
	s_delay_alu instid0(VALU_DEP_1) | instskip(NEXT) | instid1(VALU_DEP_1)
	v_fmaak_f32 v2, s11, v1, 0x3ca908c9
	v_fmaak_f32 v2, v1, v2, 0xbd5c1c4e
	s_delay_alu instid0(VALU_DEP_1) | instskip(NEXT) | instid1(VALU_DEP_1)
	v_fmaak_f32 v2, v1, v2, 0x3e088382
	v_fmaak_f32 v2, v1, v2, 0xbeaaaa99
	s_delay_alu instid0(VALU_DEP_1) | instskip(NEXT) | instid1(VALU_DEP_1)
	v_mul_f32_e64 v2, |v61|, v2
	v_fma_f32 v59, v1, v2, |v61|
	s_or_b32 exec_lo, exec_lo, s12
	v_add_nc_u32_e32 v0, v0, v118
	s_and_not1_b32 vcc_lo, exec_lo, s10
	s_cbranch_vccz .LBB70_49
.LBB70_56:                              ;   in Loop: Header=BB70_8 Depth=1
	v_mov_b32_e32 v52, 0
	v_cmp_ngt_f32_e64 s12, 0x3f200000, |v62|
                                        ; implicit-def: $vgpr60
	s_and_saveexec_b32 s13, s12
	s_delay_alu instid0(SALU_CYCLE_1)
	s_xor_b32 s12, exec_lo, s13
	s_cbranch_execz .LBB70_51
	s_branch .LBB70_50
.LBB70_57:                              ;   in Loop: Header=BB70_8 Depth=1
	s_or_b32 exec_lo, exec_lo, s12
	s_delay_alu instid0(SALU_CYCLE_1)
	s_and_not1_b32 vcc_lo, exec_lo, s10
	s_cbranch_vccnz .LBB70_53
.LBB70_58:                              ;   in Loop: Header=BB70_8 Depth=1
	global_load_u16 v0, v0, s[36:37] offset:64 scale_offset
	s_wait_loadcnt 0x0
	v_cvt_f32_f16_e32 v0, v0
	s_delay_alu instid0(VALU_DEP_1)
	v_mul_f32_e32 v55, v104, v0
.LBB70_59:                              ;   in Loop: Header=BB70_8 Depth=1
	s_mul_u64 s[12:13], s[30:31], s[28:29]
	v_bfi_b32 v59, 0x7fffffff, v59, v61
	s_lshl_b64 s[12:13], s[12:13], 2
	v_lshlrev_b32_e32 v80, 2, v148
	s_add_nc_u64 s[12:13], s[18:19], s[12:13]
	s_wait_dscnt 0x0
	v_add_nc_u64_e32 v[0:1], s[12:13], v[98:99]
	v_add_nc_u64_e32 v[2:3], s[12:13], v[88:89]
	;; [unrolled: 1-line block ×4, first 2 shown]
	v_fmac_f32_e32 v52, s15, v59
	s_barrier_signal -1
	s_barrier_wait -1
	v_add_nc_u64_e32 v[64:65], v[0:1], v[80:81]
	v_add_nc_u64_e32 v[66:67], v[2:3], v[80:81]
	;; [unrolled: 1-line block ×4, first 2 shown]
	v_bfi_b32 v60, 0x7fffffff, v60, v62
	v_max_num_f32_e32 v58, v58, v58
	s_clause 0x3
	global_load_b128 v[0:3], v[64:65], off
	global_load_b128 v[4:7], v[66:67], off
	;; [unrolled: 1-line block ×4, first 2 shown]
	v_dual_max_num_f32 v14, v14, v14 :: v_dual_max_num_f32 v13, v13, v13
	v_fmac_f32_e32 v55, s15, v60
	v_add_f32_e32 v59, 0x40051340, v52
	v_dual_max_num_f32 v56, v56, v56 :: v_dual_max_num_f32 v54, v54, v54
	s_delay_alu instid0(VALU_DEP_3) | instskip(SKIP_1) | instid1(SALU_CYCLE_1)
	v_dual_max_num_f32 v57, v57, v57 :: v_dual_add_f32 v60, 0x40051340, v55
	s_or_b32 s12, s30, 32
	s_ashr_i32 s13, s12, 31
	s_delay_alu instid0(VALU_DEP_1) | instskip(SKIP_1) | instid1(SALU_CYCLE_1)
	v_max3_num_f32 v59, v24, v59, v60
	s_mul_u64 s[12:13], s[12:13], s[28:29]
	s_lshl_b64 s[12:13], s[12:13], 2
	ds_bpermute_b32 v60, v12, v59
	v_dual_max_num_f32 v12, v13, v14 :: v_dual_max_num_f32 v13, v54, v56
	v_max_num_f32_e32 v14, v57, v58
	s_add_nc_u64 s[12:13], s[18:19], s[12:13]
	s_delay_alu instid0(SALU_CYCLE_1) | instskip(NEXT) | instid1(VALU_DEP_3)
	v_add_nc_u64_e32 v[146:147], s[12:13], v[98:99]
	v_dual_sub_f32 v54, v26, v13 :: v_dual_add_nc_u32 v61, v77, v158
	v_dual_sub_f32 v15, v15, v12 :: v_dual_sub_f32 v50, v50, v13
	v_dual_sub_f32 v25, v25, v12 :: v_dual_sub_f32 v56, v27, v14
	s_delay_alu instid0(VALU_DEP_2) | instskip(SKIP_1) | instid1(VALU_DEP_3)
	v_dual_sub_f32 v53, v53, v14 :: v_dual_mul_f32 v26, 0x3fb8aa3b, v15
	v_dual_sub_f32 v30, v30, v12 :: v_dual_add_nc_u32 v69, 0x800, v158
	v_mul_f32_e32 v57, 0x3fb8aa3b, v25
	v_dual_sub_f32 v49, v49, v13 :: v_dual_sub_f32 v51, v51, v14
	s_wait_dscnt 0x0
	v_max_num_f32_e32 v60, v60, v60
	s_wait_xcnt 0x2
	v_fma_f32 v66, 0x3fb8aa3b, v15, -v26
	v_rndne_f32_e32 v67, v26
	v_dual_mul_f32 v27, 0x3fb8aa3b, v30 :: v_dual_mul_f32 v58, 0x3fb8aa3b, v49
	s_delay_alu instid0(VALU_DEP_3) | instskip(SKIP_1) | instid1(VALU_DEP_3)
	v_dual_max_num_f32 v59, v59, v60 :: v_dual_fmac_f32 v66, 0x32a5705f, v15
	v_dual_mul_f32 v62, 0x3fb8aa3b, v50 :: v_dual_mul_f32 v65, 0x3fb8aa3b, v53
	v_fma_f32 v119, 0x3fb8aa3b, v49, -v58
	ds_bpermute_b32 v48, v48, v59
	v_dual_sub_f32 v26, v26, v67 :: v_dual_mul_f32 v63, 0x3fb8aa3b, v54
	v_mul_f32_e32 v64, 0x3fb8aa3b, v51
	v_rndne_f32_e32 v128, v65
	s_wait_xcnt 0x1
	v_fma_f32 v100, 0x3fb8aa3b, v30, -v27
	v_rndne_f32_e32 v101, v27
	v_fmac_f32_e32 v119, 0x32a5705f, v49
	v_fma_f32 v127, 0x3fb8aa3b, v53, -v65
	s_wait_xcnt 0x0
	v_fma_f32 v102, 0x3fb8aa3b, v25, -v57
	v_fma_f32 v121, 0x3fb8aa3b, v50, -v62
	v_rndne_f32_e32 v122, v62
	v_rndne_f32_e32 v124, v63
	v_dual_mul_f32 v60, 0x3fb8aa3b, v56 :: v_dual_sub_f32 v27, v27, v101
	v_rndne_f32_e32 v103, v57
	v_fmac_f32_e32 v100, 0x32a5705f, v30
	v_fma_f32 v123, 0x3fb8aa3b, v54, -v63
	v_cvt_i32_f32_e32 v67, v67
	v_dual_fmac_f32 v102, 0x32a5705f, v25 :: v_dual_fmac_f32 v121, 0x32a5705f, v50
	s_wait_dscnt 0x0
	v_max_num_f32_e32 v48, v48, v48
	v_dual_sub_f32 v65, v65, v128 :: v_dual_add_f32 v26, v26, v66
	v_dual_sub_f32 v62, v62, v122 :: v_dual_sub_f32 v63, v63, v124
	s_delay_alu instid0(VALU_DEP_3) | instskip(SKIP_1) | instid1(VALU_DEP_4)
	v_max_num_f32_e32 v48, v59, v48
	v_rndne_f32_e32 v120, v58
	v_exp_f32_e32 v26, v26
	v_dual_sub_f32 v57, v57, v103 :: v_dual_add_f32 v27, v27, v100
	ds_bpermute_b32 v31, v31, v48
	v_add_f32_e32 v62, v62, v121
	v_cmp_ngt_f32_e32 vcc_lo, 0xc2ce8ed0, v15
	v_fma_f32 v129, 0x3fb8aa3b, v56, -v60
	v_ldexp_f32 v26, v26, v67
	v_dual_sub_f32 v58, v58, v120 :: v_dual_fmac_f32 v123, 0x32a5705f, v54
	v_add_f32_e32 v57, v57, v102
	v_exp_f32_e32 v27, v27
	v_cvt_i32_f32_e32 v101, v101
	v_cndmask_b32_e32 v26, 0, v26, vcc_lo
	v_rndne_f32_e32 v130, v60
	v_dual_fmac_f32 v129, 0x32a5705f, v56 :: v_dual_add_f32 v58, v58, v119
	v_exp_f32_e32 v57, v57
	v_cvt_i32_f32_e32 v59, v103
	v_ldexp_f32 v27, v27, v101
	v_cmp_ngt_f32_e32 vcc_lo, 0xc2ce8ed0, v30
	v_fma_f32 v125, 0x3fb8aa3b, v51, -v64
	v_rndne_f32_e32 v126, v64
	s_wait_dscnt 0x0
	v_max_num_f32_e32 v31, v31, v31
	v_dual_fmac_f32 v127, 0x32a5705f, v53 :: v_dual_sub_f32 v60, v60, v130
	v_exp_f32_e32 v58, v58
	v_cvt_i32_f32_e32 v103, v120
	s_delay_alu instid0(VALU_DEP_3)
	v_max_num_f32_e32 v31, v48, v31
	v_ldexp_f32 v57, v57, v59
	v_dual_fmac_f32 v125, 0x32a5705f, v51 :: v_dual_sub_f32 v64, v64, v126
	v_add_f32_e32 v63, v63, v123
	ds_bpermute_b32 v29, v29, v31
	v_cndmask_b32_e32 v27, 0, v27, vcc_lo
	v_cmp_ngt_f32_e32 vcc_lo, 0xc2ce8ed0, v25
	v_dual_add_f32 v65, v65, v127 :: v_dual_add_f32 v48, v60, v129
	v_exp_f32_e32 v60, v62
	v_cvt_i32_f32_e32 v120, v122
	v_ldexp_f32 v58, v58, v103
	v_cndmask_b32_e32 v57, 0, v57, vcc_lo
	v_cmp_ngt_f32_e32 vcc_lo, 0xc2ce8ed0, v49
	v_add_f32_e32 v64, v64, v125
	v_exp_f32_e32 v62, v63
	v_cvt_i32_f32_e32 v122, v124
	v_ldexp_f32 v59, v60, v120
	v_cndmask_b32_e32 v58, 0, v58, vcc_lo
	v_cmp_ngt_f32_e32 vcc_lo, 0xc2ce8ed0, v50
	v_exp_f32_e32 v63, v64
	v_cvt_i32_f32_e32 v124, v126
	v_ldexp_f32 v60, v62, v122
	v_exp_f32_e32 v64, v65
	s_wait_dscnt 0x0
	v_max_num_f32_e32 v29, v29, v29
	v_cvt_i32_f32_e32 v126, v128
	v_exp_f32_e32 v48, v48
	v_ldexp_f32 v62, v63, v124
	v_cvt_i32_f32_e32 v128, v130
	v_dual_max_num_f32 v31, v31, v29 :: v_dual_cndmask_b32 v29, 0, v59, vcc_lo
	v_cmp_ngt_f32_e32 vcc_lo, 0xc2ce8ed0, v54
	v_ldexp_f32 v63, v64, v126
	s_delay_alu instid0(TRANS32_DEP_1) | instid1(VALU_DEP_4)
	v_ldexp_f32 v48, v48, v128
	v_add_nc_u64_e32 v[168:169], s[12:13], v[88:89]
	v_add_nc_u64_e32 v[170:171], s[12:13], v[92:93]
	v_cndmask_b32_e32 v59, 0, v60, vcc_lo
	v_cmp_ngt_f32_e32 vcc_lo, 0xc2ce8ed0, v51
	ds_bpermute_b32 v60, v28, v31
	v_add_nc_u64_e32 v[172:173], s[12:13], v[94:95]
	v_add_nc_u64_e32 v[146:147], v[146:147], v[80:81]
	;; [unrolled: 1-line block ×3, first 2 shown]
	v_cndmask_b32_e32 v62, 0, v62, vcc_lo
	v_cmp_ngt_f32_e32 vcc_lo, 0xc2ce8ed0, v53
	v_add_nc_u64_e32 v[176:177], v[170:171], v[80:81]
	v_add_nc_u64_e32 v[180:181], v[172:173], v[80:81]
	v_cndmask_b32_e32 v63, 0, v63, vcc_lo
	v_cmp_ngt_f32_e32 vcc_lo, 0xc2ce8ed0, v56
	v_cndmask_b32_e32 v48, 0, v48, vcc_lo
	v_cmp_nlt_f32_e32 vcc_lo, 0x42b17218, v15
	s_wait_dscnt 0x0
	v_dual_max_num_f32 v15, v60, v60 :: v_dual_cndmask_b32 v26, 0x7f800000, v26
	v_cmp_nlt_f32_e32 vcc_lo, 0x42b17218, v30
	s_delay_alu instid0(VALU_DEP_2) | instskip(SKIP_2) | instid1(VALU_DEP_3)
	v_max_num_f32_e32 v15, v31, v15
	v_cndmask_b32_e32 v28, 0x7f800000, v27, vcc_lo
	v_cmp_nlt_f32_e32 vcc_lo, 0x42b17218, v25
	v_sub_f32_e32 v24, v24, v15
	v_cndmask_b32_e32 v100, 0x7f800000, v57, vcc_lo
	v_cmp_nlt_f32_e32 vcc_lo, 0x42b17218, v49
	s_delay_alu instid0(VALU_DEP_2) | instskip(SKIP_2) | instid1(VALU_DEP_3)
	v_cvt_f16_f32_e32 v25, v100
	v_cndmask_b32_e32 v27, 0x7f800000, v58, vcc_lo
	v_cmp_nlt_f32_e32 vcc_lo, 0x42b17218, v50
	v_and_b32_e32 v25, 0xffff, v25
	v_cndmask_b32_e32 v29, 0x7f800000, v29, vcc_lo
	v_cmp_nlt_f32_e32 vcc_lo, 0x42b17218, v54
	s_delay_alu instid0(VALU_DEP_2)
	v_pk_add_f32 v[102:103], v[26:27], v[28:29]
	v_cndmask_b32_e32 v101, 0x7f800000, v59, vcc_lo
	v_cmp_nlt_f32_e32 vcc_lo, 0x42b17218, v51
	v_cvt_pk_f16_f32 v26, v26, v27
	v_dual_sub_f32 v27, v55, v15 :: v_dual_sub_f32 v51, v52, v15
	v_cndmask_b32_e32 v30, 0x7f800000, v62, vcc_lo
	v_cmp_nlt_f32_e32 vcc_lo, 0x42b17218, v56
	s_delay_alu instid0(VALU_DEP_3) | instskip(SKIP_3) | instid1(VALU_DEP_4)
	v_mul_f32_e32 v52, 0x3fb8aa3b, v27
	v_cndmask_b32_e32 v48, 0x7f800000, v48, vcc_lo
	v_cmp_nlt_f32_e32 vcc_lo, 0x42b17218, v53
	v_mul_f32_e32 v53, 0x3fb8aa3b, v24
	v_fma_f32 v56, 0x3fb8aa3b, v27, -v52
	v_rndne_f32_e32 v57, v52
	v_cvt_f16_f32_e32 v49, v48
	s_delay_alu instid0(VALU_DEP_4) | instskip(NEXT) | instid1(VALU_DEP_4)
	v_fma_f32 v58, 0x3fb8aa3b, v24, -v53
	v_fmac_f32_e32 v56, 0x32a5705f, v27
	s_delay_alu instid0(VALU_DEP_4)
	v_sub_f32_e32 v52, v52, v57
	v_rndne_f32_e32 v59, v53
	v_cvt_f16_f32_e32 v31, v101
	v_fmac_f32_e32 v58, 0x32a5705f, v24
	v_and_b32_e32 v49, 0xffff, v49
	v_add_f32_e32 v52, v52, v56
	v_cvt_pk_f16_f32 v28, v28, v29
	v_mul_f32_e32 v29, 0x3fb8aa3b, v51
	v_sub_f32_e32 v53, v53, v59
	v_cndmask_b32_e32 v50, 0x7f800000, v63, vcc_lo
	v_cmp_ngt_f32_e32 vcc_lo, 0xc2ce8ed0, v51
	v_and_b32_e32 v31, 0xffff, v31
	v_fma_f32 v54, 0x3fb8aa3b, v51, -v29
	v_rndne_f32_e32 v55, v29
	v_exp_f32_e32 v52, v52
	v_cvt_i32_f32_e32 v56, v57
	v_mul_u32_u24_e32 v57, 0x10001, v49
	v_fmac_f32_e32 v54, 0x32a5705f, v51
	v_sub_f32_e32 v29, v29, v55
	v_pk_fma_f32 v[8:9], v[8:9], v[100:101], v[102:103]
	s_delay_alu instid0(VALU_DEP_4) | instskip(SKIP_1) | instid1(VALU_DEP_4)
	v_pk_mul_f16 v60, v38, v57
	v_pk_mul_f16 v62, v36, v57
	v_add_f32_e32 v29, v29, v54
	v_mul_u32_u24_e32 v54, 0x10001, v25
	v_add_f32_e32 v25, v53, v58
	v_mul_u32_u24_e32 v53, 0x10001, v31
	v_cvt_i32_f32_e32 v31, v55
	v_exp_f32_e32 v29, v29
	v_cvt_i32_f32_e32 v55, v59
	v_exp_f32_e32 v25, v25
	v_pk_mul_f16 v58, v40, v53
	v_pk_mul_f16 v59, v39, v53
	;; [unrolled: 1-line block ×3, first 2 shown]
	s_delay_alu instid0(TRANS32_DEP_2) | instskip(SKIP_1) | instid1(TRANS32_DEP_1)
	v_ldexp_f32 v29, v29, v31
	v_ldexp_f32 v31, v52, v56
	v_ldexp_f32 v25, v25, v55
	v_pk_mul_f16 v55, v42, v54
	v_pk_mul_f16 v56, v41, v53
	v_cndmask_b32_e32 v29, 0, v29, vcc_lo
	v_cmp_ngt_f32_e32 vcc_lo, 0xc2ce8ed0, v24
	v_cndmask_b32_e32 v25, 0, v25, vcc_lo
	v_cmp_ngt_f32_e32 vcc_lo, 0xc2ce8ed0, v27
	v_cndmask_b32_e32 v52, 0, v31, vcc_lo
	v_cmp_nlt_f32_e32 vcc_lo, 0x42b17218, v51
	v_cndmask_b32_e32 v31, 0x7f800000, v29, vcc_lo
	v_cmp_nlt_f32_e32 vcc_lo, 0x42b17218, v24
	;; [unrolled: 2-line block ×3, first 2 shown]
	s_delay_alu instid0(VALU_DEP_4) | instskip(SKIP_2) | instid1(VALU_DEP_2)
	v_cvt_pk_f16_f32 v27, v30, v31
	v_cndmask_b32_e32 v51, 0x7f800000, v52, vcc_lo
	v_pk_mul_f16 v52, v43, v54
	v_cvt_pk_f16_f32 v29, v50, v51
	ds_store_2addr_b64 v61, v[26:27], v[28:29] offset1:32
	s_wait_loadcnt 0x3
	ds_store_b128 v107, v[0:3]
	s_wait_loadcnt 0x2
	ds_store_b128 v110, v[4:7]
	;; [unrolled: 2-line block ×4, first 2 shown]
	v_pk_add_f32 v[4:5], v[30:31], v[50:51]
	s_wait_dscnt 0x0
	s_barrier_signal -1
	s_barrier_wait -1
	ds_load_b128 v[0:3], v77
	v_pk_fma_f32 v[10:11], v[10:11], v[48:49], v[4:5]
	ds_load_b128 v[4:7], v77 offset:16
	v_pk_mul_f16 v61, v37, v57
	s_wait_dscnt 0x1
	v_dual_lshrrev_b32 v67, 16, v0 :: v_dual_lshrrev_b32 v119, 16, v1
	s_wait_dscnt 0x0
	v_lshrrev_b32_e32 v124, 16, v6
	v_cvt_f16_f32_e32 v24, v49
	v_and_b32_e32 v0, 0xffff, v0
	v_and_b32_e32 v1, 0xffff, v1
	v_mul_u32_u24_e32 v67, 0x10001, v67
	v_lshrrev_b32_e32 v120, 16, v2
	v_and_b32_e32 v24, 0xffff, v24
	v_mul_u32_u24_e32 v0, 0x10001, v0
	v_mul_u32_u24_e32 v1, 0x10001, v1
	v_dual_lshrrev_b32 v121, 16, v3 :: v_dual_lshrrev_b32 v123, 16, v5
	s_delay_alu instid0(VALU_DEP_4)
	v_mul_u32_u24_e32 v16, 0x10001, v24
	v_and_b32_e32 v2, 0xffff, v2
	v_and_b32_e32 v3, 0xffff, v3
	v_mul_u32_u24_e32 v119, 0x10001, v119
	v_lshrrev_b32_e32 v122, 16, v4
	v_pk_mul_f16 v63, v35, v16
	v_pk_mul_f16 v64, v34, v16
	;; [unrolled: 1-line block ×4, first 2 shown]
	ds_load_2addr_b64 v[16:19], v158 offset1:32
	ds_load_b128 v[20:23], v77 offset:32
	ds_load_b128 v[24:27], v77 offset:48
	ds_load_2addr_b64 v[28:31], v158 offset0:64 offset1:96
	ds_load_2addr_b64 v[32:35], v158 offset0:128 offset1:160
	;; [unrolled: 1-line block ×3, first 2 shown]
	ds_load_2addr_b64 v[40:43], v69 offset1:32
	ds_load_2addr_b64 v[48:51], v69 offset0:64 offset1:96
	v_and_b32_e32 v4, 0xffff, v4
	v_and_b32_e32 v5, 0xffff, v5
	v_mul_u32_u24_e32 v2, 0x10001, v2
	v_mul_u32_u24_e32 v120, 0x10001, v120
	;; [unrolled: 1-line block ×4, first 2 shown]
	v_lshrrev_b32_e32 v125, 16, v7
	v_and_b32_e32 v6, 0xffff, v6
	v_and_b32_e32 v7, 0xffff, v7
	v_mul_u32_u24_e32 v4, 0x10001, v4
	v_mul_u32_u24_e32 v122, 0x10001, v122
	;; [unrolled: 1-line block ×3, first 2 shown]
	s_wait_dscnt 0x7
	v_pk_mul_f16 v130, v16, v0
	v_pk_mul_f16 v131, v16, v67
	;; [unrolled: 1-line block ×3, first 2 shown]
	v_pk_fma_f16 v16, v16, v119, v63
	v_pk_fma_f16 v47, v17, v0, v47
	v_pk_fma_f16 v56, v17, v67, v56
	v_pk_fma_f16 v60, v17, v1, v60
	v_pk_fma_f16 v17, v17, v119, v64
	v_pk_fma_f16 v52, v18, v0, v52
	v_pk_fma_f16 v58, v18, v67, v58
	v_pk_fma_f16 v61, v18, v1, v61
	v_pk_fma_f16 v18, v18, v119, v65
	v_pk_fma_f16 v0, v19, v0, v55
	v_pk_fma_f16 v55, v19, v67, v59
	v_pk_fma_f16 v1, v19, v1, v62
	v_pk_fma_f16 v19, v19, v119, v66
	v_pk_fma_f16 v46, v46, v54, v130
	v_pk_fma_f16 v45, v45, v53, v131
	v_pk_fma_f16 v44, v44, v57, v132
	v_mul_u32_u24_e32 v123, 0x10001, v123
	s_wait_dscnt 0x4
	v_pk_fma_f16 v16, v28, v121, v16
	v_pk_fma_f16 v47, v29, v2, v47
	;; [unrolled: 1-line block ×16, first 2 shown]
	v_dual_lshrrev_b32 v126, 16, v20 :: v_dual_lshrrev_b32 v127, 16, v21
	v_and_b32_e32 v20, 0xffff, v20
	v_and_b32_e32 v21, 0xffff, v21
	v_mul_u32_u24_e32 v6, 0x10001, v6
	v_mul_u32_u24_e32 v124, 0x10001, v124
	;; [unrolled: 1-line block ×4, first 2 shown]
	s_wait_dscnt 0x3
	v_pk_fma_f16 v16, v32, v123, v16
	v_pk_fma_f16 v28, v33, v4, v47
	;; [unrolled: 1-line block ×13, first 2 shown]
	v_lshrrev_b32_e32 v128, 16, v22
	v_and_b32_e32 v22, 0xffff, v22
	v_and_b32_e32 v129, 0xffff, v23
	v_mul_u32_u24_e32 v20, 0x10001, v20
	v_mul_u32_u24_e32 v126, 0x10001, v126
	;; [unrolled: 1-line block ×3, first 2 shown]
	s_wait_dscnt 0x2
	v_pk_fma_f16 v5, v36, v125, v16
	v_pk_fma_f16 v16, v37, v6, v28
	;; [unrolled: 1-line block ×13, first 2 shown]
	s_wait_dscnt 0x1
	v_pk_fma_f16 v6, v41, v20, v16
	v_pk_fma_f16 v7, v41, v126, v28
	;; [unrolled: 1-line block ×10, first 2 shown]
	v_lshrrev_b32_e32 v4, 16, v23
	v_pk_fma_f16 v20, v43, v21, v1
	v_mul_u32_u24_e32 v21, 0x10001, v22
	v_mul_u32_u24_e32 v22, 0x10001, v128
	;; [unrolled: 1-line block ×3, first 2 shown]
	v_pk_fma_f16 v18, v34, v123, v18
	v_pk_fma_f16 v19, v35, v123, v19
	;; [unrolled: 1-line block ×3, first 2 shown]
	s_wait_dscnt 0x0
	v_pk_fma_f16 v33, v48, v21, v0
	v_pk_fma_f16 v34, v48, v22, v2
	;; [unrolled: 1-line block ×3, first 2 shown]
	ds_load_2addr_b64 v[0:3], v69 offset0:128 offset1:160
	v_mul_u32_u24_e32 v127, 0x10001, v127
	v_pk_fma_f16 v17, v37, v125, v17
	v_pk_fma_f16 v30, v43, v126, v30
	;; [unrolled: 1-line block ×6, first 2 shown]
	v_mul_u32_u24_e32 v4, 0x10001, v4
	v_pk_fma_f16 v6, v49, v21, v6
	v_pk_fma_f16 v7, v49, v22, v7
	;; [unrolled: 1-line block ×6, first 2 shown]
	v_and_b32_e32 v30, 0xffff, v24
	v_lshrrev_b32_e32 v24, 16, v24
	v_and_b32_e32 v32, 0xffff, v25
	v_lshrrev_b32_e32 v25, 16, v25
	v_pk_fma_f16 v18, v42, v127, v18
	v_pk_fma_f16 v19, v43, v127, v19
	;; [unrolled: 1-line block ×7, first 2 shown]
	v_mul_u32_u24_e32 v23, 0x10001, v30
	v_mul_u32_u24_e32 v24, 0x10001, v24
	;; [unrolled: 1-line block ×4, first 2 shown]
	v_pk_fma_f16 v18, v50, v4, v18
	v_pk_fma_f16 v19, v51, v4, v19
	s_wait_dscnt 0x0
	v_pk_fma_f16 v32, v0, v23, v33
	v_pk_fma_f16 v33, v0, v24, v34
	;; [unrolled: 1-line block ×8, first 2 shown]
	v_and_b32_e32 v0, 0xffff, v26
	v_dual_lshrrev_b32 v1, 16, v26 :: v_dual_lshrrev_b32 v17, 16, v27
	ds_load_2addr_b64 v[4:7], v69 offset0:192 offset1:224
	v_pk_fma_f16 v28, v2, v23, v28
	v_pk_fma_f16 v29, v2, v24, v29
	;; [unrolled: 1-line block ×8, first 2 shown]
	v_mul_u32_u24_e32 v20, 0x10001, v0
	v_mul_u32_u24_e32 v23, 0x10001, v1
	ds_load_b128 v[0:3], v77 offset:64
	v_and_b32_e32 v16, 0xffff, v27
	v_add_nc_u32_e32 v119, 0x1000, v158
	v_mul_u32_u24_e32 v27, 0x10001, v17
	v_add_nc_u32_e32 v120, 0x1800, v158
	v_add_nc_u32_e32 v121, 0x2000, v158
	v_mul_u32_u24_e32 v26, 0x10001, v16
	ds_load_2addr_b64 v[16:19], v119 offset1:32
	s_wait_dscnt 0x2
	v_pk_fma_f16 v30, v4, v20, v32
	v_pk_fma_f16 v32, v4, v23, v33
	;; [unrolled: 1-line block ×14, first 2 shown]
	ds_load_b128 v[20:23], v77 offset:80
	s_wait_dscnt 0x2
	v_and_b32_e32 v5, 0xffff, v0
	v_lshrrev_b32_e32 v0, 16, v0
	v_and_b32_e32 v6, 0xffff, v1
	v_lshrrev_b32_e32 v1, 16, v1
	v_pk_fma_f16 v24, v7, v26, v24
	v_mul_u32_u24_e32 v26, 0x10001, v5
	v_mul_u32_u24_e32 v0, 0x10001, v0
	;; [unrolled: 1-line block ×4, first 2 shown]
	v_pk_fma_f16 v25, v7, v27, v25
	s_wait_dscnt 0x1
	v_pk_fma_f16 v27, v16, v26, v30
	v_pk_fma_f16 v30, v16, v0, v32
	;; [unrolled: 1-line block ×4, first 2 shown]
	ds_load_2addr_b64 v[4:7], v119 offset0:64 offset1:96
	v_pk_fma_f16 v33, v17, v26, v34
	v_pk_fma_f16 v34, v17, v0, v35
	;; [unrolled: 1-line block ×6, first 2 shown]
	v_and_b32_e32 v0, 0xffff, v2
	v_lshrrev_b32_e32 v2, 16, v2
	v_and_b32_e32 v37, 0xffff, v3
	v_lshrrev_b32_e32 v3, 16, v3
	v_pk_fma_f16 v28, v18, v26, v28
	v_pk_fma_f16 v31, v18, v41, v31
	;; [unrolled: 1-line block ×5, first 2 shown]
	v_mul_u32_u24_e32 v38, 0x10001, v0
	v_mul_u32_u24_e32 v39, 0x10001, v2
	;; [unrolled: 1-line block ×3, first 2 shown]
	v_pk_fma_f16 v19, v19, v1, v25
	ds_load_2addr_b64 v[0:3], v119 offset0:128 offset1:160
	v_mul_u32_u24_e32 v37, 0x10001, v37
	s_wait_dscnt 0x1
	v_pk_fma_f16 v25, v4, v38, v27
	v_pk_fma_f16 v27, v4, v39, v30
	;; [unrolled: 1-line block ×12, first 2 shown]
	v_and_b32_e32 v5, 0xffff, v20
	v_lshrrev_b32_e32 v6, 16, v20
	v_and_b32_e32 v20, 0xffff, v21
	v_lshrrev_b32_e32 v21, 16, v21
	v_pk_fma_f16 v26, v7, v38, v26
	v_pk_fma_f16 v34, v7, v39, v36
	;; [unrolled: 1-line block ×3, first 2 shown]
	v_mul_u32_u24_e32 v35, 0x10001, v5
	v_mul_u32_u24_e32 v21, 0x10001, v21
	;; [unrolled: 1-line block ×4, first 2 shown]
	v_pk_fma_f16 v19, v7, v40, v19
	s_wait_dscnt 0x0
	v_pk_fma_f16 v25, v0, v35, v25
	v_pk_fma_f16 v37, v0, v21, v4
	ds_load_2addr_b64 v[4:7], v119 offset0:192 offset1:224
	v_pk_fma_f16 v27, v0, v36, v27
	v_pk_fma_f16 v30, v0, v20, v30
	;; [unrolled: 1-line block ×6, first 2 shown]
	v_and_b32_e32 v0, 0xffff, v22
	v_lshrrev_b32_e32 v1, 16, v22
	v_pk_fma_f16 v28, v2, v35, v28
	v_pk_fma_f16 v29, v2, v36, v29
	;; [unrolled: 1-line block ×8, first 2 shown]
	v_and_b32_e32 v17, 0xffff, v23
	v_lshrrev_b32_e32 v18, 16, v23
	v_mul_u32_u24_e32 v20, 0x10001, v0
	v_mul_u32_u24_e32 v21, 0x10001, v1
	ds_load_b128 v[0:3], v77 offset:96
	v_mul_u32_u24_e32 v36, 0x10001, v17
	v_mul_u32_u24_e32 v40, 0x10001, v18
	s_wait_dscnt 0x1
	v_pk_fma_f16 v25, v4, v20, v25
	v_pk_fma_f16 v27, v4, v21, v27
	;; [unrolled: 1-line block ×6, first 2 shown]
	ds_load_2addr_b64 v[16:19], v120 offset1:32
	v_pk_fma_f16 v33, v5, v36, v33
	v_pk_fma_f16 v38, v5, v40, v38
	;; [unrolled: 1-line block ×8, first 2 shown]
	ds_load_b128 v[20:23], v77 offset:112
	v_pk_fma_f16 v24, v7, v36, v24
	s_wait_dscnt 0x2
	v_and_b32_e32 v5, 0xffff, v0
	v_lshrrev_b32_e32 v0, 16, v0
	v_and_b32_e32 v6, 0xffff, v1
	v_lshrrev_b32_e32 v1, 16, v1
	v_pk_fma_f16 v35, v7, v40, v35
	v_mul_u32_u24_e32 v36, 0x10001, v5
	v_mul_u32_u24_e32 v0, 0x10001, v0
	;; [unrolled: 1-line block ×4, first 2 shown]
	s_wait_dscnt 0x1
	v_pk_fma_f16 v25, v16, v36, v25
	v_pk_fma_f16 v27, v16, v0, v27
	;; [unrolled: 1-line block ×4, first 2 shown]
	ds_load_2addr_b64 v[4:7], v120 offset0:64 offset1:96
	v_pk_fma_f16 v37, v17, v36, v37
	v_pk_fma_f16 v32, v17, v0, v32
	;; [unrolled: 1-line block ×6, first 2 shown]
	v_and_b32_e32 v0, 0xffff, v2
	v_lshrrev_b32_e32 v2, 16, v2
	v_and_b32_e32 v36, 0xffff, v3
	v_lshrrev_b32_e32 v3, 16, v3
	v_pk_fma_f16 v33, v17, v41, v33
	v_pk_fma_f16 v17, v17, v1, v38
	;; [unrolled: 1-line block ×5, first 2 shown]
	v_mul_u32_u24_e32 v38, 0x10001, v0
	v_mul_u32_u24_e32 v39, 0x10001, v2
	;; [unrolled: 1-line block ×3, first 2 shown]
	v_pk_fma_f16 v19, v19, v1, v35
	ds_load_2addr_b64 v[0:3], v120 offset0:128 offset1:160
	v_mul_u32_u24_e32 v36, 0x10001, v36
	s_wait_dscnt 0x1
	v_pk_fma_f16 v25, v4, v38, v25
	v_pk_fma_f16 v27, v4, v39, v27
	;; [unrolled: 1-line block ×12, first 2 shown]
	v_and_b32_e32 v5, 0xffff, v20
	v_lshrrev_b32_e32 v6, 16, v20
	v_and_b32_e32 v20, 0xffff, v21
	v_lshrrev_b32_e32 v21, 16, v21
	v_pk_fma_f16 v24, v7, v36, v24
	v_mul_u32_u24_e32 v35, 0x10001, v5
	v_mul_u32_u24_e32 v36, 0x10001, v6
	v_mul_u32_u24_e32 v20, 0x10001, v20
	v_mul_u32_u24_e32 v21, 0x10001, v21
	v_pk_fma_f16 v26, v7, v38, v26
	v_pk_fma_f16 v34, v7, v39, v34
	;; [unrolled: 1-line block ×3, first 2 shown]
	s_wait_dscnt 0x0
	v_pk_fma_f16 v37, v1, v35, v16
	v_pk_fma_f16 v32, v1, v36, v32
	;; [unrolled: 1-line block ×4, first 2 shown]
	v_and_b32_e32 v16, 0xffff, v22
	v_lshrrev_b32_e32 v17, 16, v22
	v_pk_fma_f16 v25, v0, v35, v25
	v_pk_fma_f16 v27, v0, v36, v27
	;; [unrolled: 1-line block ×4, first 2 shown]
	ds_load_2addr_b64 v[4:7], v120 offset0:192 offset1:224
	v_pk_fma_f16 v28, v2, v35, v28
	v_pk_fma_f16 v29, v2, v36, v29
	;; [unrolled: 1-line block ×8, first 2 shown]
	v_lshrrev_b32_e32 v20, 16, v23
	v_mul_u32_u24_e32 v36, 0x10001, v16
	v_mul_u32_u24_e32 v38, 0x10001, v17
	ds_load_b128 v[16:19], v77 offset:128
	v_and_b32_e32 v3, 0xffff, v23
	v_mul_u32_u24_e32 v40, 0x10001, v20
	ds_load_2addr_b64 v[20:23], v121 offset1:32
	v_mul_u32_u24_e32 v39, 0x10001, v3
	s_wait_dscnt 0x2
	v_pk_fma_f16 v25, v4, v36, v25
	v_pk_fma_f16 v27, v4, v38, v27
	;; [unrolled: 1-line block ×12, first 2 shown]
	ds_load_b128 v[0:3], v77 offset:144
	s_wait_dscnt 0x2
	v_and_b32_e32 v5, 0xffff, v16
	v_lshrrev_b32_e32 v6, 16, v16
	v_and_b32_e32 v16, 0xffff, v17
	v_lshrrev_b32_e32 v17, 16, v17
	v_pk_fma_f16 v26, v7, v36, v26
	v_pk_fma_f16 v34, v7, v38, v34
	v_mul_u32_u24_e32 v36, 0x10001, v5
	v_mul_u32_u24_e32 v38, 0x10001, v6
	;; [unrolled: 1-line block ×4, first 2 shown]
	v_pk_fma_f16 v24, v7, v39, v24
	v_pk_fma_f16 v35, v7, v40, v35
	s_wait_dscnt 0x1
	v_pk_fma_f16 v25, v20, v36, v25
	v_pk_fma_f16 v27, v20, v38, v27
	;; [unrolled: 1-line block ×4, first 2 shown]
	ds_load_2addr_b64 v[4:7], v121 offset0:64 offset1:96
	v_pk_fma_f16 v37, v21, v36, v37
	v_pk_fma_f16 v32, v21, v38, v32
	;; [unrolled: 1-line block ×6, first 2 shown]
	v_and_b32_e32 v36, 0xffff, v18
	v_lshrrev_b32_e32 v18, 16, v18
	v_and_b32_e32 v38, 0xffff, v19
	v_lshrrev_b32_e32 v19, 16, v19
	v_pk_fma_f16 v33, v21, v16, v33
	v_mul_u32_u24_e32 v36, 0x10001, v36
	v_mul_u32_u24_e32 v39, 0x10001, v18
	;; [unrolled: 1-line block ×4, first 2 shown]
	v_pk_fma_f16 v21, v21, v17, v41
	v_pk_fma_f16 v31, v22, v16, v31
	v_pk_fma_f16 v22, v22, v17, v42
	v_pk_fma_f16 v24, v23, v16, v24
	s_wait_dscnt 0x1
	v_and_b32_e32 v195, 0xffff, v0
	v_dual_lshrrev_b32 v196, 16, v0 :: v_dual_lshrrev_b32 v198, 16, v1
	v_and_b32_e32 v197, 0xffff, v1
	v_add_nc_u32_e32 v1, 0x3000, v158
	v_add_nc_u32_e32 v0, 0x3800, v158
	s_wait_dscnt 0x0
	v_pk_fma_f16 v159, v4, v36, v25
	v_pk_fma_f16 v184, v4, v39, v27
	;; [unrolled: 1-line block ×4, first 2 shown]
	v_add_nc_u32_e32 v4, 0x2800, v158
	v_pk_fma_f16 v137, v23, v17, v35
	v_pk_fma_f16 v187, v5, v36, v37
	ds_load_2addr_b64 v[16:19], v121 offset0:128 offset1:160
	v_pk_fma_f16 v188, v5, v39, v32
	v_pk_fma_f16 v189, v5, v38, v33
	;; [unrolled: 1-line block ×10, first 2 shown]
	ds_load_2addr_b64 v[24:27], v121 offset0:192 offset1:224
	ds_load_2addr_b64 v[20:23], v4 offset1:32
	ds_load_b128 v[64:67], v77 offset:160
	ds_load_b128 v[44:47], v77 offset:176
	ds_load_2addr_b64 v[52:55], v4 offset0:64 offset1:96
	ds_load_2addr_b64 v[48:51], v4 offset0:128 offset1:160
	;; [unrolled: 1-line block ×3, first 2 shown]
	ds_load_2addr_b64 v[28:31], v1 offset1:32
	ds_load_2addr_b64 v[32:35], v1 offset0:64 offset1:96
	ds_load_2addr_b64 v[36:39], v1 offset0:128 offset1:160
	ds_load_b128 v[122:125], v77 offset:192
	ds_load_b128 v[126:129], v77 offset:208
	ds_load_2addr_b64 v[130:133], v1 offset0:192 offset1:224
	ds_load_2addr_b64 v[138:141], v0 offset1:32
	ds_load_2addr_b64 v[142:145], v0 offset0:64 offset1:96
	ds_load_2addr_b64 v[60:63], v0 offset0:128 offset1:160
	ds_load_b128 v[160:163], v77 offset:224
	ds_load_b128 v[164:167], v77 offset:240
	ds_load_2addr_b64 v[56:59], v0 offset0:192 offset1:224
	s_wait_dscnt 0x0
	s_barrier_signal -1
	s_barrier_wait -1
	s_clause 0x3
	global_load_b128 v[168:171], v[146:147], off
	global_load_b128 v[172:175], v[174:175], off
	;; [unrolled: 1-line block ×4, first 2 shown]
	v_mul_u32_u24_e32 v80, 0x10001, v195
	s_wait_xcnt 0x3
	v_mul_u32_u24_e32 v146, 0x10001, v196
	v_mul_u32_u24_e32 v147, 0x10001, v197
	;; [unrolled: 1-line block ×3, first 2 shown]
	v_pk_fma_f16 v7, v7, v134, v137
	v_pk_fma_f16 v134, v16, v80, v159
	;; [unrolled: 1-line block ×15, first 2 shown]
	v_and_b32_e32 v146, 0xffff, v2
	v_lshrrev_b32_e32 v2, 16, v2
	v_and_b32_e32 v189, 0xffff, v3
	v_lshrrev_b32_e32 v3, 16, v3
	v_pk_fma_f16 v147, v19, v147, v199
	v_mul_u32_u24_e32 v146, 0x10001, v146
	v_mul_u32_u24_e32 v2, 0x10001, v2
	;; [unrolled: 1-line block ×4, first 2 shown]
	v_pk_fma_f16 v7, v19, v195, v7
	v_pk_fma_f16 v19, v24, v146, v134
	;; [unrolled: 1-line block ×14, first 2 shown]
	v_and_b32_e32 v26, 0xffff, v64
	v_lshrrev_b32_e32 v64, 16, v64
	v_and_b32_e32 v80, 0xffff, v65
	v_lshrrev_b32_e32 v65, 16, v65
	v_pk_fma_f16 v18, v27, v146, v18
	v_mul_u32_u24_e32 v26, 0x10001, v26
	v_mul_u32_u24_e32 v64, 0x10001, v64
	;; [unrolled: 1-line block ×4, first 2 shown]
	v_pk_fma_f16 v146, v27, v189, v147
	v_pk_fma_f16 v3, v27, v3, v7
	v_pk_fma_f16 v7, v20, v26, v19
	v_pk_fma_f16 v19, v20, v64, v134
	v_pk_fma_f16 v27, v20, v80, v137
	v_pk_fma_f16 v16, v20, v65, v16
	v_pk_fma_f16 v20, v21, v26, v24
	v_pk_fma_f16 v24, v21, v64, v159
	v_pk_fma_f16 v134, v21, v80, v184
	v_pk_fma_f16 v5, v21, v65, v5
	v_pk_fma_f16 v17, v22, v26, v17
	v_pk_fma_f16 v21, v22, v64, v25
	v_pk_fma_f16 v25, v22, v80, v185
	v_pk_fma_f16 v6, v22, v65, v6
	v_pk_fma_f16 v18, v23, v26, v18
	v_and_b32_e32 v22, 0xffff, v66
	v_dual_lshrrev_b32 v26, 16, v66 :: v_dual_lshrrev_b32 v66, 16, v67
	v_pk_fma_f16 v2, v23, v64, v2
	v_and_b32_e32 v64, 0xffff, v67
	s_delay_alu instid0(VALU_DEP_4) | instskip(NEXT) | instid1(VALU_DEP_4)
	v_mul_u32_u24_e32 v22, 0x10001, v22
	v_mul_u32_u24_e32 v26, 0x10001, v26
	v_pk_fma_f16 v67, v23, v80, v146
	v_mul_u32_u24_e32 v66, 0x10001, v66
	v_mul_u32_u24_e32 v64, 0x10001, v64
	v_pk_fma_f16 v7, v52, v22, v7
	v_pk_fma_f16 v19, v52, v26, v19
	;; [unrolled: 1-line block ×8, first 2 shown]
	v_and_b32_e32 v22, 0xffff, v44
	v_lshrrev_b32_e32 v26, 16, v44
	v_and_b32_e32 v44, 0xffff, v45
	v_pk_fma_f16 v3, v23, v65, v3
	v_pk_fma_f16 v23, v52, v64, v27
	;; [unrolled: 1-line block ×5, first 2 shown]
	v_lshrrev_b32_e32 v45, 16, v45
	v_pk_fma_f16 v52, v55, v64, v67
	v_mul_u32_u24_e32 v22, 0x10001, v22
	v_mul_u32_u24_e32 v26, 0x10001, v26
	;; [unrolled: 1-line block ×3, first 2 shown]
	v_pk_fma_f16 v5, v53, v66, v5
	v_pk_fma_f16 v6, v54, v66, v6
	v_mul_u32_u24_e32 v45, 0x10001, v45
	v_pk_fma_f16 v3, v55, v66, v3
	v_pk_fma_f16 v7, v48, v22, v7
	;; [unrolled: 1-line block ×13, first 2 shown]
	v_and_b32_e32 v26, 0xffff, v46
	v_lshrrev_b32_e32 v44, 16, v46
	v_and_b32_e32 v46, 0xffff, v47
	v_lshrrev_b32_e32 v47, 16, v47
	v_pk_fma_f16 v16, v48, v45, v16
	v_pk_fma_f16 v5, v49, v45, v5
	;; [unrolled: 1-line block ×4, first 2 shown]
	v_mul_u32_u24_e32 v26, 0x10001, v26
	v_mul_u32_u24_e32 v44, 0x10001, v44
	;; [unrolled: 1-line block ×4, first 2 shown]
	s_wait_loadcnt 0x3
	ds_store_b128 v107, v[168:171]
	s_wait_loadcnt 0x2
	ds_store_b128 v110, v[172:175]
	;; [unrolled: 2-line block ×4, first 2 shown]
	v_pk_fma_f16 v7, v40, v26, v7
	v_pk_fma_f16 v19, v40, v44, v19
	;; [unrolled: 1-line block ×13, first 2 shown]
	v_and_b32_e32 v26, 0xffff, v122
	v_dual_lshrrev_b32 v40, 16, v122 :: v_dual_lshrrev_b32 v42, 16, v123
	v_and_b32_e32 v41, 0xffff, v123
	v_pk_fma_f16 v2, v43, v44, v2
	s_delay_alu instid0(VALU_DEP_4) | instskip(NEXT) | instid1(VALU_DEP_4)
	v_mul_u32_u24_e32 v26, 0x10001, v26
	v_mul_u32_u24_e32 v40, 0x10001, v40
	;; [unrolled: 1-line block ×4, first 2 shown]
	v_pk_fma_f16 v22, v43, v45, v22
	v_pk_fma_f16 v7, v28, v26, v7
	;; [unrolled: 1-line block ×8, first 2 shown]
	v_and_b32_e32 v26, 0xffff, v124
	v_lshrrev_b32_e32 v28, 16, v124
	v_pk_fma_f16 v24, v29, v40, v24
	v_pk_fma_f16 v27, v29, v41, v27
	;; [unrolled: 1-line block ×7, first 2 shown]
	v_and_b32_e32 v29, 0xffff, v125
	v_lshrrev_b32_e32 v30, 16, v125
	v_mul_u32_u24_e32 v26, 0x10001, v26
	v_mul_u32_u24_e32 v28, 0x10001, v28
	v_pk_fma_f16 v3, v43, v46, v3
	v_mul_u32_u24_e32 v29, 0x10001, v29
	v_mul_u32_u24_e32 v30, 0x10001, v30
	v_pk_fma_f16 v7, v32, v26, v7
	v_pk_fma_f16 v19, v32, v28, v19
	;; [unrolled: 1-line block ×8, first 2 shown]
	v_and_b32_e32 v26, 0xffff, v126
	v_lshrrev_b32_e32 v28, 16, v126
	v_pk_fma_f16 v23, v32, v29, v23
	v_pk_fma_f16 v16, v32, v30, v16
	v_lshrrev_b32_e32 v32, 16, v127
	v_mul_u32_u24_e32 v26, 0x10001, v26
	v_mul_u32_u24_e32 v28, 0x10001, v28
	v_pk_fma_f16 v22, v31, v41, v22
	v_pk_fma_f16 v3, v31, v42, v3
	v_and_b32_e32 v31, 0xffff, v127
	v_pk_fma_f16 v7, v36, v26, v7
	v_pk_fma_f16 v19, v36, v28, v19
	v_pk_fma_f16 v20, v37, v26, v20
	v_pk_fma_f16 v24, v37, v28, v24
	v_pk_fma_f16 v17, v38, v26, v17
	v_pk_fma_f16 v21, v38, v28, v21
	v_pk_fma_f16 v18, v39, v26, v18
	v_pk_fma_f16 v2, v39, v28, v2
	v_and_b32_e32 v26, 0xffff, v128
	v_lshrrev_b32_e32 v28, 16, v128
	v_pk_fma_f16 v27, v33, v29, v27
	v_pk_fma_f16 v25, v34, v29, v25
	;; [unrolled: 1-line block ×3, first 2 shown]
	v_mul_u32_u24_e32 v29, 0x10001, v31
	v_mul_u32_u24_e32 v31, 0x10001, v32
	v_lshrrev_b32_e32 v32, 16, v129
	v_mul_u32_u24_e32 v26, 0x10001, v26
	v_mul_u32_u24_e32 v28, 0x10001, v28
	v_pk_fma_f16 v5, v33, v30, v5
	v_pk_fma_f16 v6, v34, v30, v6
	;; [unrolled: 1-line block ×3, first 2 shown]
	v_and_b32_e32 v30, 0xffff, v129
	v_pk_fma_f16 v7, v130, v26, v7
	v_pk_fma_f16 v19, v130, v28, v19
	v_pk_fma_f16 v20, v131, v26, v20
	v_pk_fma_f16 v24, v131, v28, v24
	v_pk_fma_f16 v17, v132, v26, v17
	v_pk_fma_f16 v21, v132, v28, v21
	v_pk_fma_f16 v18, v133, v26, v18
	v_pk_fma_f16 v2, v133, v28, v2
	v_and_b32_e32 v26, 0xffff, v160
	v_lshrrev_b32_e32 v28, 16, v160
	v_pk_fma_f16 v23, v36, v29, v23
	v_pk_fma_f16 v27, v37, v29, v27
	;; [unrolled: 1-line block ×4, first 2 shown]
	v_mul_u32_u24_e32 v29, 0x10001, v30
	v_mul_u32_u24_e32 v30, 0x10001, v32
	v_lshrrev_b32_e32 v32, 16, v161
	v_mul_u32_u24_e32 v26, 0x10001, v26
	v_mul_u32_u24_e32 v28, 0x10001, v28
	v_pk_fma_f16 v16, v36, v31, v16
	v_pk_fma_f16 v5, v37, v31, v5
	;; [unrolled: 1-line block ×4, first 2 shown]
	v_and_b32_e32 v31, 0xffff, v161
	v_pk_fma_f16 v7, v138, v26, v7
	v_pk_fma_f16 v19, v138, v28, v19
	;; [unrolled: 1-line block ×8, first 2 shown]
	v_and_b32_e32 v26, 0xffff, v162
	v_lshrrev_b32_e32 v28, 16, v162
	v_pk_fma_f16 v23, v130, v29, v23
	v_pk_fma_f16 v16, v130, v30, v16
	;; [unrolled: 1-line block ×7, first 2 shown]
	v_mul_u32_u24_e32 v29, 0x10001, v31
	v_mul_u32_u24_e32 v31, 0x10001, v32
	v_pk_fma_f16 v3, v133, v30, v3
	v_and_b32_e32 v30, 0xffff, v163
	v_lshrrev_b32_e32 v32, 16, v163
	v_mul_u32_u24_e32 v26, 0x10001, v26
	v_mul_u32_u24_e32 v28, 0x10001, v28
	v_pk_fma_f16 v23, v138, v29, v23
	v_pk_fma_f16 v16, v138, v31, v16
	;; [unrolled: 1-line block ×7, first 2 shown]
	v_mul_u32_u24_e32 v29, 0x10001, v30
	v_mul_u32_u24_e32 v30, 0x10001, v32
	v_pk_fma_f16 v3, v141, v31, v3
	v_pk_fma_f16 v7, v142, v26, v7
	;; [unrolled: 1-line block ×9, first 2 shown]
	v_and_b32_e32 v26, 0xffff, v164
	v_dual_lshrrev_b32 v28, 16, v164 :: v_dual_lshrrev_b32 v32, 16, v165
	v_and_b32_e32 v31, 0xffff, v165
	v_pk_fma_f16 v23, v142, v29, v23
	v_pk_fma_f16 v16, v142, v30, v16
	;; [unrolled: 1-line block ×5, first 2 shown]
	v_mul_u32_u24_e32 v26, 0x10001, v26
	v_mul_u32_u24_e32 v29, 0x10001, v31
	;; [unrolled: 1-line block ×4, first 2 shown]
	v_pk_fma_f16 v5, v143, v30, v5
	v_pk_fma_f16 v7, v60, v26, v7
	;; [unrolled: 1-line block ×6, first 2 shown]
	v_and_b32_e32 v16, 0xffff, v166
	v_lshrrev_b32_e32 v17, 16, v166
	v_and_b32_e32 v18, 0xffff, v167
	v_pk_fma_f16 v6, v144, v30, v6
	v_pk_fma_f16 v3, v145, v30, v3
	;; [unrolled: 1-line block ×10, first 2 shown]
	v_lshrrev_b32_e32 v21, 16, v167
	v_mul_u32_u24_e32 v29, 0x10001, v16
	v_mul_u32_u24_e32 v35, 0x10001, v17
	;; [unrolled: 1-line block ×3, first 2 shown]
	s_wait_dscnt 0x0
	s_barrier_signal -1
	s_barrier_wait -1
	ds_load_b128 v[16:19], v77 offset:256
	v_mul_u32_u24_e32 v37, 0x10001, v21
	v_pk_fma_f16 v39, v56, v36, v23
	v_pk_fma_f16 v41, v57, v29, v20
	ds_load_2addr_b64 v[20:23], v158 offset1:32
	v_pk_fma_f16 v7, v56, v29, v7
	v_pk_fma_f16 v42, v57, v35, v24
	;; [unrolled: 1-line block ×7, first 2 shown]
	ds_load_b128 v[24:27], v77 offset:272
	v_pk_fma_f16 v5, v61, v31, v5
	v_pk_fma_f16 v6, v62, v31, v6
	;; [unrolled: 1-line block ×7, first 2 shown]
	s_wait_dscnt 0x2
	v_and_b32_e32 v28, 0xffff, v16
	v_lshrrev_b32_e32 v16, 16, v16
	v_and_b32_e32 v29, 0xffff, v17
	v_lshrrev_b32_e32 v17, 16, v17
	v_pk_fma_f16 v6, v58, v37, v6
	v_pk_fma_f16 v2, v59, v35, v2
	v_mul_u32_u24_e32 v16, 0x10001, v16
	v_mul_u32_u24_e32 v50, 0x10001, v29
	v_pk_fma_f16 v3, v59, v37, v3
	v_mul_u32_u24_e32 v49, 0x10001, v28
	v_mul_u32_u24_e32 v17, 0x10001, v17
	ds_load_b128 v[28:31], v77 offset:288
	ds_load_b128 v[32:35], v77 offset:304
	s_wait_dscnt 0x3
	v_pk_fma_f16 v51, v20, v16, v38
	v_pk_fma_f16 v52, v20, v50, v39
	ds_load_2addr_b64 v[36:39], v158 offset0:64 offset1:96
	v_pk_fma_f16 v7, v20, v49, v7
	v_pk_fma_f16 v20, v20, v17, v40
	;; [unrolled: 1-line block ×7, first 2 shown]
	v_and_b32_e32 v16, 0xffff, v18
	v_lshrrev_b32_e32 v18, 16, v18
	v_and_b32_e32 v45, 0xffff, v19
	v_lshrrev_b32_e32 v19, 16, v19
	v_pk_fma_f16 v5, v21, v17, v5
	v_pk_fma_f16 v21, v22, v49, v44
	;; [unrolled: 1-line block ×6, first 2 shown]
	v_mul_u32_u24_e32 v47, 0x10001, v16
	v_mul_u32_u24_e32 v48, 0x10001, v18
	;; [unrolled: 1-line block ×3, first 2 shown]
	v_pk_fma_f16 v3, v23, v17, v3
	ds_load_2addr_b64 v[16:19], v158 offset0:128 offset1:160
	v_mul_u32_u24_e32 v45, 0x10001, v45
	s_wait_dscnt 0x1
	v_pk_fma_f16 v7, v36, v47, v7
	v_pk_fma_f16 v23, v36, v48, v51
	;; [unrolled: 1-line block ×13, first 2 shown]
	v_and_b32_e32 v21, 0xffff, v24
	v_lshrrev_b32_e32 v22, 16, v24
	v_and_b32_e32 v24, 0xffff, v25
	v_lshrrev_b32_e32 v25, 16, v25
	v_pk_fma_f16 v44, v39, v45, v46
	v_mul_u32_u24_e32 v45, 0x10001, v21
	v_mul_u32_u24_e32 v46, 0x10001, v22
	;; [unrolled: 1-line block ×4, first 2 shown]
	v_pk_fma_f16 v2, v39, v48, v2
	v_pk_fma_f16 v3, v39, v49, v3
	s_wait_dscnt 0x0
	v_pk_fma_f16 v7, v16, v45, v7
	v_pk_fma_f16 v39, v16, v46, v23
	;; [unrolled: 1-line block ×4, first 2 shown]
	ds_load_2addr_b64 v[20:23], v158 offset0:192 offset1:224
	v_pk_fma_f16 v36, v17, v45, v36
	v_pk_fma_f16 v40, v17, v46, v40
	;; [unrolled: 1-line block ×8, first 2 shown]
	v_and_b32_e32 v17, 0xffff, v26
	v_lshrrev_b32_e32 v18, 16, v26
	v_and_b32_e32 v26, 0xffff, v27
	v_lshrrev_b32_e32 v27, 16, v27
	v_pk_fma_f16 v38, v19, v45, v38
	v_pk_fma_f16 v24, v19, v24, v44
	v_mul_u32_u24_e32 v44, 0x10001, v17
	v_mul_u32_u24_e32 v45, 0x10001, v18
	;; [unrolled: 1-line block ×4, first 2 shown]
	v_pk_fma_f16 v2, v19, v46, v2
	v_pk_fma_f16 v3, v19, v25, v3
	s_wait_dscnt 0x0
	v_pk_fma_f16 v7, v20, v44, v7
	v_pk_fma_f16 v25, v20, v45, v39
	;; [unrolled: 1-line block ×4, first 2 shown]
	ds_load_2addr_b64 v[16:19], v69 offset1:32
	v_pk_fma_f16 v36, v21, v44, v36
	v_pk_fma_f16 v40, v21, v45, v40
	;; [unrolled: 1-line block ×8, first 2 shown]
	v_and_b32_e32 v21, 0xffff, v28
	v_lshrrev_b32_e32 v22, 16, v28
	v_and_b32_e32 v28, 0xffff, v29
	v_lshrrev_b32_e32 v29, 16, v29
	v_pk_fma_f16 v38, v23, v44, v38
	v_pk_fma_f16 v24, v23, v26, v24
	v_mul_u32_u24_e32 v26, 0x10001, v21
	v_mul_u32_u24_e32 v44, 0x10001, v22
	;; [unrolled: 1-line block ×4, first 2 shown]
	v_pk_fma_f16 v2, v23, v45, v2
	v_pk_fma_f16 v3, v23, v27, v3
	s_wait_dscnt 0x0
	v_pk_fma_f16 v7, v16, v26, v7
	v_pk_fma_f16 v25, v16, v44, v25
	;; [unrolled: 1-line block ×4, first 2 shown]
	ds_load_2addr_b64 v[20:23], v69 offset0:64 offset1:96
	v_pk_fma_f16 v36, v17, v26, v36
	v_pk_fma_f16 v39, v17, v44, v40
	;; [unrolled: 1-line block ×8, first 2 shown]
	v_and_b32_e32 v17, 0xffff, v30
	v_lshrrev_b32_e32 v18, 16, v30
	v_and_b32_e32 v30, 0xffff, v31
	v_lshrrev_b32_e32 v31, 16, v31
	v_pk_fma_f16 v26, v19, v26, v38
	v_pk_fma_f16 v24, v19, v28, v24
	v_mul_u32_u24_e32 v28, 0x10001, v17
	v_mul_u32_u24_e32 v38, 0x10001, v18
	v_mul_u32_u24_e32 v30, 0x10001, v30
	v_mul_u32_u24_e32 v31, 0x10001, v31
	v_pk_fma_f16 v2, v19, v44, v2
	v_pk_fma_f16 v3, v19, v29, v3
	s_wait_dscnt 0x0
	v_pk_fma_f16 v7, v20, v28, v7
	v_pk_fma_f16 v25, v20, v38, v25
	;; [unrolled: 1-line block ×4, first 2 shown]
	ds_load_2addr_b64 v[16:19], v69 offset0:128 offset1:160
	v_pk_fma_f16 v29, v21, v28, v36
	v_pk_fma_f16 v36, v21, v38, v39
	;; [unrolled: 1-line block ×9, first 2 shown]
	v_and_b32_e32 v21, 0xffff, v32
	v_dual_lshrrev_b32 v22, 16, v32 :: v_dual_lshrrev_b32 v32, 16, v33
	v_and_b32_e32 v28, 0xffff, v33
	v_pk_fma_f16 v24, v23, v30, v24
	s_delay_alu instid0(VALU_DEP_4) | instskip(NEXT) | instid1(VALU_DEP_4)
	v_mul_u32_u24_e32 v30, 0x10001, v21
	v_mul_u32_u24_e32 v33, 0x10001, v22
	;; [unrolled: 1-line block ×4, first 2 shown]
	v_pk_fma_f16 v2, v23, v38, v2
	v_pk_fma_f16 v3, v23, v31, v3
	s_wait_dscnt 0x0
	v_pk_fma_f16 v7, v16, v30, v7
	v_pk_fma_f16 v31, v16, v33, v25
	;; [unrolled: 1-line block ×4, first 2 shown]
	ds_load_2addr_b64 v[20:23], v69 offset0:192 offset1:224
	v_pk_fma_f16 v29, v17, v30, v29
	v_pk_fma_f16 v36, v17, v33, v36
	;; [unrolled: 1-line block ×10, first 2 shown]
	v_and_b32_e32 v17, 0xffff, v34
	v_dual_lshrrev_b32 v18, 16, v34 :: v_dual_lshrrev_b32 v34, 16, v35
	v_pk_fma_f16 v33, v19, v28, v24
	v_and_b32_e32 v28, 0xffff, v35
	ds_load_b128 v[24:27], v77 offset:320
	v_mul_u32_u24_e32 v35, 0x10001, v17
	v_mul_u32_u24_e32 v42, 0x10001, v18
	;; [unrolled: 1-line block ×4, first 2 shown]
	v_pk_fma_f16 v3, v19, v32, v3
	s_wait_dscnt 0x1
	v_pk_fma_f16 v7, v20, v35, v7
	v_pk_fma_f16 v32, v20, v42, v31
	;; [unrolled: 1-line block ×5, first 2 shown]
	ds_load_2addr_b64 v[16:19], v119 offset1:32
	v_pk_fma_f16 v36, v21, v42, v36
	v_pk_fma_f16 v39, v21, v43, v39
	;; [unrolled: 1-line block ×8, first 2 shown]
	ds_load_b128 v[28:31], v77 offset:336
	s_wait_dscnt 0x2
	v_and_b32_e32 v21, 0xffff, v24
	v_lshrrev_b32_e32 v22, 16, v24
	v_and_b32_e32 v24, 0xffff, v25
	v_lshrrev_b32_e32 v25, 16, v25
	v_pk_fma_f16 v2, v23, v42, v2
	v_pk_fma_f16 v33, v23, v43, v33
	v_mul_u32_u24_e32 v42, 0x10001, v21
	v_mul_u32_u24_e32 v43, 0x10001, v22
	;; [unrolled: 1-line block ×4, first 2 shown]
	v_pk_fma_f16 v3, v23, v34, v3
	s_wait_dscnt 0x1
	v_pk_fma_f16 v7, v16, v42, v7
	v_pk_fma_f16 v32, v16, v43, v32
	;; [unrolled: 1-line block ×4, first 2 shown]
	ds_load_2addr_b64 v[20:23], v119 offset0:64 offset1:96
	v_pk_fma_f16 v38, v17, v42, v44
	v_pk_fma_f16 v36, v17, v43, v36
	;; [unrolled: 1-line block ×8, first 2 shown]
	v_and_b32_e32 v17, 0xffff, v26
	v_lshrrev_b32_e32 v18, 16, v26
	v_and_b32_e32 v26, 0xffff, v27
	v_lshrrev_b32_e32 v27, 16, v27
	v_pk_fma_f16 v35, v19, v42, v35
	v_pk_fma_f16 v24, v19, v24, v33
	v_mul_u32_u24_e32 v33, 0x10001, v17
	v_mul_u32_u24_e32 v42, 0x10001, v18
	;; [unrolled: 1-line block ×4, first 2 shown]
	v_pk_fma_f16 v2, v19, v43, v2
	v_pk_fma_f16 v3, v19, v25, v3
	s_wait_dscnt 0x0
	v_pk_fma_f16 v7, v20, v33, v7
	v_pk_fma_f16 v25, v20, v42, v32
	;; [unrolled: 1-line block ×4, first 2 shown]
	ds_load_2addr_b64 v[16:19], v119 offset0:128 offset1:160
	v_pk_fma_f16 v34, v21, v33, v38
	v_pk_fma_f16 v36, v21, v42, v36
	v_pk_fma_f16 v38, v21, v26, v39
	v_pk_fma_f16 v5, v21, v27, v5
	v_pk_fma_f16 v37, v22, v33, v37
	v_pk_fma_f16 v39, v22, v42, v40
	v_pk_fma_f16 v40, v22, v26, v41
	v_pk_fma_f16 v6, v22, v27, v6
	v_and_b32_e32 v21, 0xffff, v28
	v_lshrrev_b32_e32 v22, 16, v28
	v_and_b32_e32 v28, 0xffff, v29
	v_lshrrev_b32_e32 v29, 16, v29
	v_pk_fma_f16 v33, v23, v33, v35
	v_pk_fma_f16 v24, v23, v26, v24
	v_mul_u32_u24_e32 v26, 0x10001, v21
	v_mul_u32_u24_e32 v35, 0x10001, v22
	;; [unrolled: 1-line block ×4, first 2 shown]
	v_pk_fma_f16 v2, v23, v42, v2
	v_pk_fma_f16 v3, v23, v27, v3
	s_wait_dscnt 0x0
	v_pk_fma_f16 v7, v16, v26, v7
	v_pk_fma_f16 v41, v16, v35, v25
	;; [unrolled: 1-line block ×4, first 2 shown]
	ds_load_2addr_b64 v[20:23], v119 offset0:192 offset1:224
	v_pk_fma_f16 v34, v17, v26, v34
	v_pk_fma_f16 v36, v17, v35, v36
	;; [unrolled: 1-line block ×10, first 2 shown]
	v_and_b32_e32 v17, 0xffff, v30
	v_dual_lshrrev_b32 v18, 16, v30 :: v_dual_lshrrev_b32 v30, 16, v31
	v_pk_fma_f16 v35, v19, v28, v24
	v_and_b32_e32 v28, 0xffff, v31
	ds_load_b128 v[24:27], v77 offset:352
	v_mul_u32_u24_e32 v31, 0x10001, v17
	v_mul_u32_u24_e32 v42, 0x10001, v18
	;; [unrolled: 1-line block ×4, first 2 shown]
	v_pk_fma_f16 v3, v19, v29, v3
	s_wait_dscnt 0x1
	v_pk_fma_f16 v7, v20, v31, v7
	v_pk_fma_f16 v41, v20, v42, v41
	;; [unrolled: 1-line block ×5, first 2 shown]
	ds_load_2addr_b64 v[16:19], v120 offset1:32
	v_pk_fma_f16 v36, v21, v42, v36
	v_pk_fma_f16 v38, v21, v43, v38
	;; [unrolled: 1-line block ×8, first 2 shown]
	ds_load_b128 v[28:31], v77 offset:368
	s_wait_dscnt 0x2
	v_and_b32_e32 v21, 0xffff, v24
	v_lshrrev_b32_e32 v22, 16, v24
	v_and_b32_e32 v24, 0xffff, v25
	v_lshrrev_b32_e32 v25, 16, v25
	v_pk_fma_f16 v2, v23, v42, v2
	v_pk_fma_f16 v35, v23, v43, v35
	v_mul_u32_u24_e32 v42, 0x10001, v21
	v_mul_u32_u24_e32 v43, 0x10001, v22
	;; [unrolled: 1-line block ×4, first 2 shown]
	v_pk_fma_f16 v3, v23, v44, v3
	s_wait_dscnt 0x1
	v_pk_fma_f16 v7, v16, v42, v7
	v_pk_fma_f16 v41, v16, v43, v41
	v_pk_fma_f16 v32, v16, v24, v32
	v_pk_fma_f16 v16, v16, v25, v20
	ds_load_2addr_b64 v[20:23], v120 offset0:64 offset1:96
	v_pk_fma_f16 v34, v17, v42, v34
	v_pk_fma_f16 v36, v17, v43, v36
	;; [unrolled: 1-line block ×8, first 2 shown]
	v_and_b32_e32 v17, 0xffff, v26
	v_lshrrev_b32_e32 v18, 16, v26
	v_and_b32_e32 v26, 0xffff, v27
	v_lshrrev_b32_e32 v27, 16, v27
	v_pk_fma_f16 v33, v19, v42, v33
	v_pk_fma_f16 v24, v19, v24, v35
	v_mul_u32_u24_e32 v35, 0x10001, v17
	v_mul_u32_u24_e32 v42, 0x10001, v18
	;; [unrolled: 1-line block ×4, first 2 shown]
	v_pk_fma_f16 v2, v19, v43, v2
	v_pk_fma_f16 v3, v19, v25, v3
	s_wait_dscnt 0x0
	v_pk_fma_f16 v7, v20, v35, v7
	v_pk_fma_f16 v25, v20, v42, v41
	;; [unrolled: 1-line block ×4, first 2 shown]
	ds_load_2addr_b64 v[16:19], v120 offset0:128 offset1:160
	v_pk_fma_f16 v34, v21, v35, v34
	v_pk_fma_f16 v36, v21, v42, v36
	v_pk_fma_f16 v38, v21, v26, v38
	v_pk_fma_f16 v5, v21, v27, v5
	v_pk_fma_f16 v37, v22, v35, v37
	v_pk_fma_f16 v39, v22, v42, v39
	v_pk_fma_f16 v40, v22, v26, v40
	v_pk_fma_f16 v6, v22, v27, v6
	v_and_b32_e32 v21, 0xffff, v28
	v_lshrrev_b32_e32 v22, 16, v28
	v_and_b32_e32 v28, 0xffff, v29
	v_lshrrev_b32_e32 v29, 16, v29
	v_pk_fma_f16 v33, v23, v35, v33
	v_pk_fma_f16 v24, v23, v26, v24
	v_mul_u32_u24_e32 v26, 0x10001, v21
	v_mul_u32_u24_e32 v35, 0x10001, v22
	;; [unrolled: 1-line block ×4, first 2 shown]
	v_pk_fma_f16 v2, v23, v42, v2
	v_pk_fma_f16 v3, v23, v27, v3
	s_wait_dscnt 0x0
	v_pk_fma_f16 v7, v16, v26, v7
	v_pk_fma_f16 v41, v16, v35, v25
	;; [unrolled: 1-line block ×4, first 2 shown]
	ds_load_2addr_b64 v[20:23], v120 offset0:192 offset1:224
	v_pk_fma_f16 v34, v17, v26, v34
	v_pk_fma_f16 v36, v17, v35, v36
	;; [unrolled: 1-line block ×10, first 2 shown]
	v_and_b32_e32 v17, 0xffff, v30
	v_dual_lshrrev_b32 v18, 16, v30 :: v_dual_lshrrev_b32 v30, 16, v31
	v_pk_fma_f16 v35, v19, v28, v24
	v_and_b32_e32 v28, 0xffff, v31
	ds_load_b128 v[24:27], v77 offset:384
	v_mul_u32_u24_e32 v31, 0x10001, v17
	v_mul_u32_u24_e32 v42, 0x10001, v18
	;; [unrolled: 1-line block ×4, first 2 shown]
	v_pk_fma_f16 v3, v19, v29, v3
	s_wait_dscnt 0x1
	v_pk_fma_f16 v7, v20, v31, v7
	v_pk_fma_f16 v41, v20, v42, v41
	;; [unrolled: 1-line block ×5, first 2 shown]
	ds_load_2addr_b64 v[16:19], v121 offset1:32
	v_pk_fma_f16 v36, v21, v42, v36
	v_pk_fma_f16 v38, v21, v43, v38
	;; [unrolled: 1-line block ×8, first 2 shown]
	ds_load_b128 v[28:31], v77 offset:400
	s_wait_dscnt 0x2
	v_and_b32_e32 v21, 0xffff, v24
	v_lshrrev_b32_e32 v22, 16, v24
	v_and_b32_e32 v24, 0xffff, v25
	v_lshrrev_b32_e32 v25, 16, v25
	v_pk_fma_f16 v2, v23, v42, v2
	v_pk_fma_f16 v35, v23, v43, v35
	v_mul_u32_u24_e32 v42, 0x10001, v21
	v_mul_u32_u24_e32 v43, 0x10001, v22
	v_mul_u32_u24_e32 v24, 0x10001, v24
	v_mul_u32_u24_e32 v25, 0x10001, v25
	v_pk_fma_f16 v3, v23, v44, v3
	s_wait_dscnt 0x1
	v_pk_fma_f16 v7, v16, v42, v7
	v_pk_fma_f16 v41, v16, v43, v41
	;; [unrolled: 1-line block ×4, first 2 shown]
	ds_load_2addr_b64 v[20:23], v121 offset0:64 offset1:96
	v_pk_fma_f16 v34, v17, v42, v34
	v_pk_fma_f16 v36, v17, v43, v36
	v_pk_fma_f16 v38, v17, v24, v38
	v_pk_fma_f16 v5, v17, v25, v5
	v_pk_fma_f16 v37, v18, v42, v37
	v_pk_fma_f16 v39, v18, v43, v39
	v_pk_fma_f16 v40, v18, v24, v40
	v_pk_fma_f16 v6, v18, v25, v6
	v_and_b32_e32 v17, 0xffff, v26
	v_lshrrev_b32_e32 v18, 16, v26
	v_and_b32_e32 v26, 0xffff, v27
	v_lshrrev_b32_e32 v27, 16, v27
	v_pk_fma_f16 v33, v19, v42, v33
	v_pk_fma_f16 v24, v19, v24, v35
	v_mul_u32_u24_e32 v35, 0x10001, v17
	v_mul_u32_u24_e32 v42, 0x10001, v18
	;; [unrolled: 1-line block ×4, first 2 shown]
	v_pk_fma_f16 v2, v19, v43, v2
	v_pk_fma_f16 v3, v19, v25, v3
	s_wait_dscnt 0x0
	v_pk_fma_f16 v7, v20, v35, v7
	v_pk_fma_f16 v25, v20, v42, v41
	;; [unrolled: 1-line block ×4, first 2 shown]
	ds_load_2addr_b64 v[16:19], v121 offset0:128 offset1:160
	v_pk_fma_f16 v34, v21, v35, v34
	v_pk_fma_f16 v36, v21, v42, v36
	;; [unrolled: 1-line block ×8, first 2 shown]
	v_and_b32_e32 v21, 0xffff, v28
	v_lshrrev_b32_e32 v22, 16, v28
	v_and_b32_e32 v28, 0xffff, v29
	v_lshrrev_b32_e32 v29, 16, v29
	v_pk_fma_f16 v33, v23, v35, v33
	v_pk_fma_f16 v24, v23, v26, v24
	v_mul_u32_u24_e32 v26, 0x10001, v21
	v_mul_u32_u24_e32 v35, 0x10001, v22
	;; [unrolled: 1-line block ×4, first 2 shown]
	v_pk_fma_f16 v2, v23, v42, v2
	v_pk_fma_f16 v3, v23, v27, v3
	s_wait_dscnt 0x0
	v_pk_fma_f16 v7, v16, v26, v7
	v_pk_fma_f16 v41, v16, v35, v25
	;; [unrolled: 1-line block ×4, first 2 shown]
	ds_load_2addr_b64 v[20:23], v121 offset0:192 offset1:224
	v_pk_fma_f16 v34, v17, v26, v34
	v_pk_fma_f16 v36, v17, v35, v36
	;; [unrolled: 1-line block ×10, first 2 shown]
	v_and_b32_e32 v17, 0xffff, v30
	v_dual_lshrrev_b32 v18, 16, v30 :: v_dual_lshrrev_b32 v30, 16, v31
	v_pk_fma_f16 v35, v19, v28, v24
	v_and_b32_e32 v28, 0xffff, v31
	ds_load_b128 v[24:27], v77 offset:416
	v_mul_u32_u24_e32 v31, 0x10001, v17
	v_mul_u32_u24_e32 v42, 0x10001, v18
	;; [unrolled: 1-line block ×4, first 2 shown]
	v_pk_fma_f16 v3, v19, v29, v3
	s_wait_dscnt 0x1
	v_pk_fma_f16 v7, v20, v31, v7
	v_pk_fma_f16 v41, v20, v42, v41
	;; [unrolled: 1-line block ×5, first 2 shown]
	ds_load_2addr_b64 v[16:19], v4 offset1:32
	v_pk_fma_f16 v36, v21, v42, v36
	v_pk_fma_f16 v38, v21, v43, v38
	;; [unrolled: 1-line block ×8, first 2 shown]
	ds_load_b128 v[28:31], v77 offset:432
	s_wait_dscnt 0x2
	v_and_b32_e32 v21, 0xffff, v24
	v_lshrrev_b32_e32 v22, 16, v24
	v_and_b32_e32 v24, 0xffff, v25
	v_lshrrev_b32_e32 v25, 16, v25
	v_pk_fma_f16 v2, v23, v42, v2
	v_pk_fma_f16 v35, v23, v43, v35
	v_mul_u32_u24_e32 v42, 0x10001, v21
	v_mul_u32_u24_e32 v43, 0x10001, v22
	;; [unrolled: 1-line block ×4, first 2 shown]
	v_pk_fma_f16 v3, v23, v44, v3
	s_wait_dscnt 0x1
	v_pk_fma_f16 v7, v16, v42, v7
	v_pk_fma_f16 v41, v16, v43, v41
	v_pk_fma_f16 v32, v16, v24, v32
	v_pk_fma_f16 v16, v16, v25, v20
	ds_load_2addr_b64 v[20:23], v4 offset0:64 offset1:96
	v_pk_fma_f16 v34, v17, v42, v34
	v_pk_fma_f16 v36, v17, v43, v36
	;; [unrolled: 1-line block ×8, first 2 shown]
	v_and_b32_e32 v17, 0xffff, v26
	v_lshrrev_b32_e32 v18, 16, v26
	v_and_b32_e32 v26, 0xffff, v27
	v_lshrrev_b32_e32 v27, 16, v27
	v_pk_fma_f16 v33, v19, v42, v33
	v_pk_fma_f16 v24, v19, v24, v35
	v_mul_u32_u24_e32 v35, 0x10001, v17
	v_mul_u32_u24_e32 v42, 0x10001, v18
	;; [unrolled: 1-line block ×4, first 2 shown]
	v_pk_fma_f16 v2, v19, v43, v2
	v_pk_fma_f16 v3, v19, v25, v3
	s_wait_dscnt 0x0
	v_pk_fma_f16 v7, v20, v35, v7
	v_pk_fma_f16 v25, v20, v42, v41
	;; [unrolled: 1-line block ×4, first 2 shown]
	ds_load_2addr_b64 v[16:19], v4 offset0:128 offset1:160
	v_pk_fma_f16 v34, v21, v35, v34
	v_pk_fma_f16 v36, v21, v42, v36
	;; [unrolled: 1-line block ×10, first 2 shown]
	v_and_b32_e32 v2, 0xffff, v28
	v_lshrrev_b32_e32 v5, 16, v28
	v_and_b32_e32 v28, 0xffff, v29
	v_lshrrev_b32_e32 v29, 16, v29
	v_pk_fma_f16 v24, v23, v26, v24
	v_mul_u32_u24_e32 v26, 0x10001, v2
	v_mul_u32_u24_e32 v35, 0x10001, v5
	v_pk_fma_f16 v27, v23, v27, v3
	ds_load_2addr_b64 v[2:5], v4 offset0:192 offset1:224
	v_mul_u32_u24_e32 v28, 0x10001, v28
	v_mul_u32_u24_e32 v29, 0x10001, v29
	s_wait_dscnt 0x1
	v_pk_fma_f16 v7, v16, v26, v7
	v_pk_fma_f16 v25, v16, v35, v25
	;; [unrolled: 1-line block ×13, first 2 shown]
	v_and_b32_e32 v17, 0xffff, v30
	v_dual_lshrrev_b32 v18, 16, v30 :: v_dual_lshrrev_b32 v30, 16, v31
	v_pk_fma_f16 v28, v19, v28, v24
	v_and_b32_e32 v24, 0xffff, v31
	ds_load_b128 v[20:23], v77 offset:448
	v_pk_fma_f16 v33, v19, v35, v33
	v_mul_u32_u24_e32 v31, 0x10001, v17
	v_mul_u32_u24_e32 v35, 0x10001, v18
	;; [unrolled: 1-line block ×4, first 2 shown]
	v_pk_fma_f16 v29, v19, v29, v27
	s_wait_dscnt 0x1
	v_pk_fma_f16 v7, v2, v31, v7
	v_pk_fma_f16 v43, v2, v35, v25
	;; [unrolled: 1-line block ×4, first 2 shown]
	ds_load_2addr_b64 v[16:19], v1 offset1:32
	v_pk_fma_f16 v34, v3, v31, v34
	v_pk_fma_f16 v36, v3, v35, v36
	;; [unrolled: 1-line block ×9, first 2 shown]
	ds_load_b128 v[24:27], v77 offset:464
	s_wait_dscnt 0x2
	v_and_b32_e32 v3, 0xffff, v20
	v_lshrrev_b32_e32 v4, 16, v20
	v_and_b32_e32 v20, 0xffff, v21
	v_lshrrev_b32_e32 v21, 16, v21
	v_pk_fma_f16 v33, v5, v35, v33
	v_pk_fma_f16 v28, v5, v42, v28
	v_mul_u32_u24_e32 v35, 0x10001, v3
	v_mul_u32_u24_e32 v42, 0x10001, v4
	;; [unrolled: 1-line block ×4, first 2 shown]
	v_pk_fma_f16 v29, v5, v30, v29
	s_wait_dscnt 0x1
	v_pk_fma_f16 v7, v16, v35, v7
	v_pk_fma_f16 v30, v16, v42, v43
	;; [unrolled: 1-line block ×4, first 2 shown]
	ds_load_2addr_b64 v[2:5], v1 offset0:64 offset1:96
	v_pk_fma_f16 v34, v17, v35, v34
	v_pk_fma_f16 v36, v17, v42, v36
	v_pk_fma_f16 v38, v17, v20, v38
	v_pk_fma_f16 v41, v17, v21, v41
	v_pk_fma_f16 v37, v18, v35, v37
	v_pk_fma_f16 v39, v18, v42, v39
	v_pk_fma_f16 v40, v18, v20, v40
	v_pk_fma_f16 v6, v18, v21, v6
	v_and_b32_e32 v17, 0xffff, v22
	v_lshrrev_b32_e32 v18, 16, v22
	v_and_b32_e32 v22, 0xffff, v23
	v_lshrrev_b32_e32 v23, 16, v23
	v_pk_fma_f16 v31, v19, v35, v31
	v_pk_fma_f16 v20, v19, v20, v28
	v_mul_u32_u24_e32 v28, 0x10001, v17
	v_mul_u32_u24_e32 v35, 0x10001, v18
	v_mul_u32_u24_e32 v22, 0x10001, v22
	v_mul_u32_u24_e32 v23, 0x10001, v23
	v_pk_fma_f16 v33, v19, v42, v33
	v_pk_fma_f16 v21, v19, v21, v29
	s_wait_dscnt 0x0
	v_pk_fma_f16 v7, v2, v28, v7
	v_pk_fma_f16 v29, v2, v35, v30
	;; [unrolled: 1-line block ×4, first 2 shown]
	ds_load_2addr_b64 v[16:19], v1 offset0:128 offset1:160
	v_pk_fma_f16 v32, v3, v28, v34
	v_pk_fma_f16 v34, v3, v35, v36
	;; [unrolled: 1-line block ×8, first 2 shown]
	v_and_b32_e32 v3, 0xffff, v24
	v_lshrrev_b32_e32 v4, 16, v24
	v_and_b32_e32 v24, 0xffff, v25
	v_lshrrev_b32_e32 v25, 16, v25
	v_pk_fma_f16 v28, v5, v28, v31
	v_pk_fma_f16 v31, v5, v35, v33
	;; [unrolled: 1-line block ×3, first 2 shown]
	v_mul_u32_u24_e32 v22, 0x10001, v3
	v_mul_u32_u24_e32 v33, 0x10001, v4
	;; [unrolled: 1-line block ×4, first 2 shown]
	v_pk_fma_f16 v35, v5, v23, v21
	s_wait_dscnt 0x0
	v_pk_fma_f16 v7, v16, v22, v7
	v_pk_fma_f16 v29, v16, v33, v29
	;; [unrolled: 1-line block ×4, first 2 shown]
	ds_load_2addr_b64 v[2:5], v1 offset0:192 offset1:224
	v_pk_fma_f16 v32, v17, v22, v32
	v_pk_fma_f16 v34, v17, v33, v34
	;; [unrolled: 1-line block ×10, first 2 shown]
	v_and_b32_e32 v17, 0xffff, v26
	v_dual_lshrrev_b32 v18, 16, v26 :: v_dual_lshrrev_b32 v26, 16, v27
	v_pk_fma_f16 v33, v19, v24, v20
	v_and_b32_e32 v24, 0xffff, v27
	ds_load_b128 v[20:23], v77 offset:480
	v_mul_u32_u24_e32 v27, 0x10001, v17
	v_mul_u32_u24_e32 v40, 0x10001, v18
	;; [unrolled: 1-line block ×4, first 2 shown]
	v_pk_fma_f16 v35, v19, v25, v35
	s_wait_dscnt 0x1
	v_pk_fma_f16 v7, v2, v27, v7
	v_pk_fma_f16 v29, v2, v40, v29
	;; [unrolled: 1-line block ×5, first 2 shown]
	ds_load_2addr_b64 v[16:19], v0 offset1:32
	v_pk_fma_f16 v34, v3, v40, v34
	v_pk_fma_f16 v1, v3, v41, v1
	;; [unrolled: 1-line block ×8, first 2 shown]
	ds_load_b128 v[24:27], v77 offset:496
	s_wait_dscnt 0x2
	v_and_b32_e32 v3, 0xffff, v20
	v_lshrrev_b32_e32 v4, 16, v20
	v_and_b32_e32 v20, 0xffff, v21
	v_lshrrev_b32_e32 v21, 16, v21
	v_pk_fma_f16 v31, v5, v40, v31
	v_pk_fma_f16 v33, v5, v41, v33
	v_mul_u32_u24_e32 v40, 0x10001, v3
	v_mul_u32_u24_e32 v41, 0x10001, v4
	v_mul_u32_u24_e32 v20, 0x10001, v20
	v_mul_u32_u24_e32 v21, 0x10001, v21
	v_pk_fma_f16 v35, v5, v42, v35
	s_wait_dscnt 0x1
	v_pk_fma_f16 v7, v16, v40, v7
	v_pk_fma_f16 v29, v16, v41, v29
	;; [unrolled: 1-line block ×4, first 2 shown]
	ds_load_2addr_b64 v[2:5], v0 offset0:64 offset1:96
	v_pk_fma_f16 v32, v17, v40, v32
	v_pk_fma_f16 v34, v17, v41, v34
	;; [unrolled: 1-line block ×8, first 2 shown]
	v_and_b32_e32 v17, 0xffff, v22
	v_lshrrev_b32_e32 v18, 16, v22
	v_and_b32_e32 v22, 0xffff, v23
	v_lshrrev_b32_e32 v23, 16, v23
	v_pk_fma_f16 v28, v19, v40, v28
	v_pk_fma_f16 v20, v19, v20, v33
	v_mul_u32_u24_e32 v33, 0x10001, v17
	v_mul_u32_u24_e32 v40, 0x10001, v18
	;; [unrolled: 1-line block ×4, first 2 shown]
	v_pk_fma_f16 v31, v19, v41, v31
	v_pk_fma_f16 v21, v19, v21, v35
	s_wait_dscnt 0x0
	v_pk_fma_f16 v7, v2, v33, v7
	v_pk_fma_f16 v29, v2, v40, v29
	;; [unrolled: 1-line block ×4, first 2 shown]
	ds_load_2addr_b64 v[16:19], v0 offset0:128 offset1:160
	v_pk_fma_f16 v32, v3, v33, v32
	v_pk_fma_f16 v34, v3, v40, v34
	v_pk_fma_f16 v1, v3, v22, v1
	v_pk_fma_f16 v3, v3, v23, v36
	v_pk_fma_f16 v35, v4, v33, v37
	v_pk_fma_f16 v36, v4, v40, v38
	v_pk_fma_f16 v37, v4, v22, v39
	v_pk_fma_f16 v4, v4, v23, v6
	v_pk_fma_f16 v6, v5, v33, v28
	v_pk_fma_f16 v28, v5, v40, v31
	v_and_b32_e32 v31, 0xffff, v24
	v_lshrrev_b32_e32 v24, 16, v24
	v_and_b32_e32 v33, 0xffff, v25
	v_lshrrev_b32_e32 v25, 16, v25
	v_pk_fma_f16 v20, v5, v22, v20
	v_mul_u32_u24_e32 v22, 0x10001, v31
	v_mul_u32_u24_e32 v24, 0x10001, v24
	;; [unrolled: 1-line block ×4, first 2 shown]
	v_pk_fma_f16 v5, v5, v23, v21
	s_wait_dscnt 0x0
	v_pk_fma_f16 v7, v16, v22, v7
	v_pk_fma_f16 v21, v16, v24, v29
	;; [unrolled: 1-line block ×8, first 2 shown]
	ds_load_2addr_b64 v[0:3], v0 offset0:192 offset1:224
	s_wait_dscnt 0x0
	s_barrier_signal -1
	s_barrier_wait -1
	s_load_b32 s12, s[6:7], 0x4
	v_pk_fma_f16 v33, v18, v22, v35
	v_pk_fma_f16 v36, v18, v24, v36
	v_pk_fma_f16 v37, v18, v31, v37
	v_pk_fma_f16 v4, v18, v25, v4
	v_pk_fma_f16 v6, v19, v22, v6
	v_and_b32_e32 v18, 0xffff, v26
	v_pk_fma_f16 v22, v19, v24, v28
	v_dual_lshrrev_b32 v24, 16, v26 :: v_dual_lshrrev_b32 v26, 16, v27
	v_and_b32_e32 v27, 0xffff, v27
	v_pk_fma_f16 v20, v19, v31, v20
	v_mul_u32_u24_e32 v18, 0x10001, v18
	s_delay_alu instid0(VALU_DEP_4)
	v_mul_u32_u24_e32 v24, 0x10001, v24
	v_mul_u32_u24_e32 v26, 0x10001, v26
	;; [unrolled: 1-line block ×3, first 2 shown]
	v_pk_fma_f16 v5, v19, v25, v5
	v_pk_fma_f16 v46, v0, v18, v7
	;; [unrolled: 1-line block ×4, first 2 shown]
	s_wait_kmcnt 0x0
	s_lshl_b32 s12, s12, 6
	v_pk_fma_f16 v44, v0, v27, v23
	v_pk_fma_f16 v47, v1, v18, v29
	;; [unrolled: 1-line block ×13, first 2 shown]
	s_add_co_i32 s30, s12, s30
	s_delay_alu instid0(SALU_CYCLE_1)
	s_cmp_lt_i32 s30, s3
	s_cbranch_scc0 .LBB70_63
; %bb.60:                               ;   in Loop: Header=BB70_8 Depth=1
	v_dual_mov_b32 v25, v12 :: v_dual_mov_b32 v26, v13
	v_dual_mov_b32 v27, v14 :: v_dual_mov_b32 v24, v15
	s_branch .LBB70_8
.LBB70_61:                              ;   in Loop: Header=BB70_8 Depth=1
	v_mov_b32_e32 v15, 0
	v_cmp_ngt_f32_e64 s12, 0x3f200000, |v13|
                                        ; implicit-def: $vgpr3
	s_and_saveexec_b32 s13, s12
	s_delay_alu instid0(SALU_CYCLE_1)
	s_xor_b32 s12, exec_lo, s13
	s_cbranch_execz .LBB70_15
	s_branch .LBB70_14
.LBB70_62:
	v_dual_mov_b32 v12, 0xfeffffff :: v_dual_mov_b32 v9, 0
	v_dual_mov_b32 v46, 0 :: v_dual_mov_b32 v10, 0
	;; [unrolled: 1-line block ×3, first 2 shown]
	s_delay_alu instid0(VALU_DEP_3)
	v_dual_mov_b32 v13, v12 :: v_dual_mov_b32 v14, v12
	v_dual_mov_b32 v15, v12 :: v_dual_mov_b32 v8, 0
	;; [unrolled: 1-line block ×8, first 2 shown]
	v_mov_b32_e32 v33, 0
.LBB70_63:
	s_cmp_gt_i32 s2, s30
	s_cbranch_scc1 .LBB70_66
; %bb.64:
	v_mbcnt_lo_u32_b32 v0, -1, 0
	v_mov_b32_e32 v159, 32
	s_delay_alu instid0(VALU_DEP_2)
	v_xor_b32_e32 v164, 16, v0
	v_xor_b32_e32 v163, 8, v0
	;; [unrolled: 1-line block ×5, first 2 shown]
	s_cbranch_execz .LBB70_67
; %bb.65:
	v_mov_b32_e32 v156, v0
	s_branch .LBB70_137
.LBB70_66:
                                        ; implicit-def: $vgpr0
                                        ; implicit-def: $vgpr159
                                        ; implicit-def: $vgpr164
                                        ; implicit-def: $vgpr163
                                        ; implicit-def: $vgpr162
                                        ; implicit-def: $vgpr161
                                        ; implicit-def: $vgpr160
.LBB70_67:
	v_lshl_add_u32 v19, v79, 1, v106
	s_ashr_i32 s31, s30, 31
	s_ashr_i32 s39, s38, 31
	s_mov_b32 s44, 0
	s_mul_u64 s[6:7], s[30:31], s[38:39]
	v_mul_lo_u32 v0, s38, v19
	s_lshl_b64 s[6:7], s[6:7], 2
	v_dual_mov_b32 v2, 0 :: v_dual_lshlrev_b32 v3, 20, v156
	s_add_nc_u64 s[6:7], s[4:5], s[6:7]
	s_mov_b32 s45, s44
	s_mov_b32 s46, s44
	v_dual_mov_b32 v21, 0 :: v_dual_mov_b32 v16, s44
	v_add_nc_u64_e32 v[22:23], src_flat_scratch_base_lo, v[2:3]
	s_sub_co_i32 s39, s2, s30
	s_delay_alu instid0(VALU_DEP_4) | instskip(SKIP_2) | instid1(VALU_DEP_3)
	v_dual_ashrrev_i32 v1, 31, v0 :: v_dual_lshlrev_b32 v20, 2, v78
	v_cmp_gt_i32_e64 s4, s39, v19
	v_dual_mov_b32 v17, s45 :: v_dual_mov_b32 v18, s46
	v_lshl_add_u64 v[4:5], v[0:1], 2, s[6:7]
	s_clause 0x1
	scratch_store_b32 off, v21, off
	scratch_store_b96 off, v[16:18], off offset:4
	s_lshl_b32 s3, s38, 4
	v_add_nc_u64_e32 v[30:31], v[4:5], v[20:21]
	v_dual_add_nc_u32 v6, s3, v0 :: v_dual_mov_b32 v48, v21
	s_delay_alu instid0(VALU_DEP_1) | instskip(NEXT) | instid1(VALU_DEP_3)
	v_dual_ashrrev_i32 v7, 31, v6 :: v_dual_cndmask_b32 v3, v23, v31, s4
	v_cndmask_b32_e64 v2, v22, v30, s4
	v_add_nc_u64_e32 v[30:31], 0x100, v[30:31]
	s_delay_alu instid0(VALU_DEP_3)
	v_lshl_add_u64 v[0:1], v[6:7], 2, s[6:7]
	v_add_nc_u32_e32 v7, 16, v19
	flat_load_b128 v[2:5], v[2:3]
	s_clause 0x1
	scratch_store_b32 off, v21, off
	scratch_store_b96 off, v[16:18], off offset:4
	v_add_nc_u32_e32 v6, s3, v6
	v_add_nc_u64_e32 v[24:25], v[0:1], v[20:21]
	v_cmp_gt_i32_e32 vcc_lo, s39, v7
	v_mad_u32_u24 v0, 0x110, v19, v20
	s_delay_alu instid0(VALU_DEP_4) | instskip(NEXT) | instid1(VALU_DEP_4)
	v_dual_add_nc_u32 v1, 32, v19 :: v_dual_ashrrev_i32 v7, 31, v6
	v_dual_cndmask_b32 v31, v23, v31, s4 :: v_dual_cndmask_b32 v27, v23, v25, vcc_lo
	v_cndmask_b32_e32 v26, v22, v24, vcc_lo
	s_delay_alu instid0(VALU_DEP_3) | instskip(SKIP_2) | instid1(VALU_DEP_1)
	v_cmp_gt_i32_e64 s2, s39, v1
	v_add_nc_u32_e32 v1, 48, v19
	v_add_nc_u64_e32 v[24:25], 0x100, v[24:25]
	v_dual_cndmask_b32 v30, v22, v30, s4 :: v_dual_cndmask_b32 v25, v23, v25, vcc_lo
	s_delay_alu instid0(VALU_DEP_2)
	v_cndmask_b32_e32 v24, v22, v24, vcc_lo
	s_wait_loadcnt_dscnt 0x0
	ds_store_b128 v0, v[2:5]
	flat_load_b128 v[2:5], v[26:27]
	s_wait_xcnt 0x0
	v_lshl_add_u64 v[26:27], v[6:7], 2, s[6:7]
	s_clause 0x1
	scratch_store_b32 off, v21, off
	scratch_store_b96 off, v[16:18], off offset:4
	v_add_nc_u32_e32 v6, s3, v6
	v_cmp_gt_i32_e64 s3, s39, v1
	v_mov_b32_e32 v1, v21
	v_add_nc_u64_e32 v[26:27], v[26:27], v[20:21]
	s_delay_alu instid0(VALU_DEP_1) | instskip(NEXT) | instid1(VALU_DEP_2)
	v_dual_ashrrev_i32 v7, 31, v6 :: v_dual_cndmask_b32 v29, v23, v27, s2
	v_cndmask_b32_e64 v28, v22, v26, s2
	s_delay_alu instid0(VALU_DEP_2)
	v_lshl_add_u64 v[6:7], v[6:7], 2, s[6:7]
	s_wait_loadcnt_dscnt 0x0
	ds_store_b128 v0, v[2:5] offset:4352
	flat_load_b128 v[2:5], v[28:29]
	s_wait_xcnt 0x0
	v_add_nc_u64_e32 v[28:29], v[6:7], v[20:21]
	s_clause 0x1
	scratch_store_b32 off, v21, off
	scratch_store_b96 off, v[16:18], off offset:4
	v_dual_cndmask_b32 v7, v23, v29, s3 :: v_dual_cndmask_b32 v6, v22, v28, s3
	v_add_nc_u64_e32 v[28:29], 0x100, v[28:29]
	s_wait_loadcnt_dscnt 0x0
	ds_store_b128 v0, v[2:5] offset:8704
	flat_load_b128 v[2:5], v[6:7]
	s_wait_xcnt 0x0
	v_dual_mov_b32 v6, v21 :: v_dual_mov_b32 v7, v21
	s_wait_loadcnt_dscnt 0x0
	ds_store_b128 v0, v[2:5] offset:13056
	s_wait_storecnt_dscnt 0x0
	s_barrier_signal -1
	s_barrier_wait -1
	ds_load_b128 v[50:53], v105
	ds_load_b128 v[54:57], v75 offset:17408
	ds_load_b128 v[58:61], v75 offset:17920
	;; [unrolled: 1-line block ×3, first 2 shown]
	v_mov_b32_e32 v4, v21
	ds_load_b128 v[80:83], v75 offset:18944
	ds_load_b128 v[84:87], v105 offset:8704
	v_dual_mov_b32 v2, v21 :: v_dual_mov_b32 v3, v21
	v_mov_b32_e32 v5, v21
	s_wait_dscnt 0x4
	;;#ASMSTART
	v_dot2_f32_f16 v4, v50, v54, v4
	;;#ASMEND
	;;#ASMSTART
	v_dot2_f32_f16 v4, v51, v55, v4
	;;#ASMEND
	;;#ASMSTART
	v_dot2_f32_f16 v4, v52, v56, v4
	;;#ASMEND
	;;#ASMSTART
	v_dot2_f32_f16 v4, v53, v57, v4
	;;#ASMEND
	s_wait_dscnt 0x3
	;;#ASMSTART
	v_dot2_f32_f16 v1, v50, v58, v1
	;;#ASMEND
	;;#ASMSTART
	v_dot2_f32_f16 v1, v51, v59, v1
	;;#ASMEND
	;;#ASMSTART
	v_dot2_f32_f16 v1, v52, v60, v1
	;;#ASMEND
	;;#ASMSTART
	v_dot2_f32_f16 v1, v53, v61, v1
	;;#ASMEND
	;; [unrolled: 13-line block ×5, first 2 shown]
	;;#ASMSTART
	v_dot2_f32_f16 v5, v84, v58, v5
	;;#ASMEND
	;;#ASMSTART
	v_dot2_f32_f16 v5, v85, v59, v5
	;;#ASMEND
	;; [unrolled: 3-line block ×12, first 2 shown]
	ds_load_b128 v[50:53], v105 offset:16
	ds_load_b128 v[54:57], v75 offset:17424
	;; [unrolled: 1-line block ×6, first 2 shown]
	s_wait_dscnt 0x4
	;;#ASMSTART
	v_dot2_f32_f16 v4, v50, v54, v4
	;;#ASMEND
	;;#ASMSTART
	v_dot2_f32_f16 v4, v51, v55, v4
	;;#ASMEND
	;;#ASMSTART
	v_dot2_f32_f16 v4, v52, v56, v4
	;;#ASMEND
	;;#ASMSTART
	v_dot2_f32_f16 v4, v53, v57, v4
	;;#ASMEND
	s_wait_dscnt 0x3
	;;#ASMSTART
	v_dot2_f32_f16 v1, v50, v58, v1
	;;#ASMEND
	;;#ASMSTART
	v_dot2_f32_f16 v1, v51, v59, v1
	;;#ASMEND
	;;#ASMSTART
	v_dot2_f32_f16 v1, v52, v60, v1
	;;#ASMEND
	;;#ASMSTART
	v_dot2_f32_f16 v1, v53, v61, v1
	;;#ASMEND
	;; [unrolled: 13-line block ×5, first 2 shown]
	;;#ASMSTART
	v_dot2_f32_f16 v5, v84, v58, v5
	;;#ASMEND
	;;#ASMSTART
	v_dot2_f32_f16 v5, v85, v59, v5
	;;#ASMEND
	;; [unrolled: 3-line block ×12, first 2 shown]
	ds_load_b128 v[50:53], v105 offset:32
	ds_load_b128 v[54:57], v75 offset:17440
	ds_load_b128 v[58:61], v75 offset:17952
	ds_load_b128 v[62:65], v75 offset:18464
	ds_load_b128 v[80:83], v75 offset:18976
	ds_load_b128 v[84:87], v105 offset:8736
	s_wait_dscnt 0x4
	;;#ASMSTART
	v_dot2_f32_f16 v4, v50, v54, v4
	;;#ASMEND
	;;#ASMSTART
	v_dot2_f32_f16 v4, v51, v55, v4
	;;#ASMEND
	;;#ASMSTART
	v_dot2_f32_f16 v4, v52, v56, v4
	;;#ASMEND
	;;#ASMSTART
	v_dot2_f32_f16 v4, v53, v57, v4
	;;#ASMEND
	s_wait_dscnt 0x3
	;;#ASMSTART
	v_dot2_f32_f16 v1, v50, v58, v1
	;;#ASMEND
	;;#ASMSTART
	v_dot2_f32_f16 v1, v51, v59, v1
	;;#ASMEND
	;;#ASMSTART
	v_dot2_f32_f16 v1, v52, v60, v1
	;;#ASMEND
	;;#ASMSTART
	v_dot2_f32_f16 v1, v53, v61, v1
	;;#ASMEND
	;; [unrolled: 13-line block ×5, first 2 shown]
	;;#ASMSTART
	v_dot2_f32_f16 v5, v84, v58, v5
	;;#ASMEND
	;;#ASMSTART
	v_dot2_f32_f16 v5, v85, v59, v5
	;;#ASMEND
	;; [unrolled: 3-line block ×12, first 2 shown]
	ds_load_b128 v[50:53], v105 offset:48
	ds_load_b128 v[54:57], v75 offset:17456
	;; [unrolled: 1-line block ×6, first 2 shown]
	s_wait_dscnt 0x4
	;;#ASMSTART
	v_dot2_f32_f16 v4, v50, v54, v4
	;;#ASMEND
	;;#ASMSTART
	v_dot2_f32_f16 v4, v51, v55, v4
	;;#ASMEND
	;;#ASMSTART
	v_dot2_f32_f16 v4, v52, v56, v4
	;;#ASMEND
	;;#ASMSTART
	v_dot2_f32_f16 v4, v53, v57, v4
	;;#ASMEND
	s_wait_dscnt 0x3
	;;#ASMSTART
	v_dot2_f32_f16 v1, v50, v58, v1
	;;#ASMEND
	;;#ASMSTART
	v_dot2_f32_f16 v1, v51, v59, v1
	;;#ASMEND
	;;#ASMSTART
	v_dot2_f32_f16 v1, v52, v60, v1
	;;#ASMEND
	;;#ASMSTART
	v_dot2_f32_f16 v1, v53, v61, v1
	;;#ASMEND
	;; [unrolled: 13-line block ×5, first 2 shown]
	;;#ASMSTART
	v_dot2_f32_f16 v5, v84, v58, v5
	;;#ASMEND
	;;#ASMSTART
	v_dot2_f32_f16 v5, v85, v59, v5
	;;#ASMEND
	;; [unrolled: 3-line block ×12, first 2 shown]
	ds_load_b128 v[50:53], v105 offset:64
	ds_load_b128 v[54:57], v75 offset:17472
	;; [unrolled: 1-line block ×6, first 2 shown]
	s_wait_dscnt 0x4
	;;#ASMSTART
	v_dot2_f32_f16 v4, v50, v54, v4
	;;#ASMEND
	;;#ASMSTART
	v_dot2_f32_f16 v4, v51, v55, v4
	;;#ASMEND
	;;#ASMSTART
	v_dot2_f32_f16 v4, v52, v56, v4
	;;#ASMEND
	;;#ASMSTART
	v_dot2_f32_f16 v4, v53, v57, v4
	;;#ASMEND
	s_wait_dscnt 0x3
	;;#ASMSTART
	v_dot2_f32_f16 v1, v50, v58, v1
	;;#ASMEND
	;;#ASMSTART
	v_dot2_f32_f16 v1, v51, v59, v1
	;;#ASMEND
	;;#ASMSTART
	v_dot2_f32_f16 v1, v52, v60, v1
	;;#ASMEND
	;;#ASMSTART
	v_dot2_f32_f16 v1, v53, v61, v1
	;;#ASMEND
	;; [unrolled: 13-line block ×5, first 2 shown]
	;;#ASMSTART
	v_dot2_f32_f16 v5, v84, v58, v5
	;;#ASMEND
	;;#ASMSTART
	v_dot2_f32_f16 v5, v85, v59, v5
	;;#ASMEND
	;; [unrolled: 3-line block ×12, first 2 shown]
	ds_load_b128 v[50:53], v105 offset:80
	ds_load_b128 v[54:57], v75 offset:17488
	;; [unrolled: 1-line block ×6, first 2 shown]
	s_wait_dscnt 0x4
	;;#ASMSTART
	v_dot2_f32_f16 v4, v50, v54, v4
	;;#ASMEND
	;;#ASMSTART
	v_dot2_f32_f16 v4, v51, v55, v4
	;;#ASMEND
	;;#ASMSTART
	v_dot2_f32_f16 v4, v52, v56, v4
	;;#ASMEND
	;;#ASMSTART
	v_dot2_f32_f16 v4, v53, v57, v4
	;;#ASMEND
	s_wait_dscnt 0x3
	;;#ASMSTART
	v_dot2_f32_f16 v1, v50, v58, v1
	;;#ASMEND
	;;#ASMSTART
	v_dot2_f32_f16 v1, v51, v59, v1
	;;#ASMEND
	;;#ASMSTART
	v_dot2_f32_f16 v1, v52, v60, v1
	;;#ASMEND
	;;#ASMSTART
	v_dot2_f32_f16 v1, v53, v61, v1
	;;#ASMEND
	;; [unrolled: 13-line block ×5, first 2 shown]
	;;#ASMSTART
	v_dot2_f32_f16 v5, v84, v58, v5
	;;#ASMEND
	;;#ASMSTART
	v_dot2_f32_f16 v5, v85, v59, v5
	;;#ASMEND
	;; [unrolled: 3-line block ×12, first 2 shown]
	ds_load_b128 v[50:53], v105 offset:96
	ds_load_b128 v[54:57], v75 offset:17504
	;; [unrolled: 1-line block ×6, first 2 shown]
	s_wait_dscnt 0x4
	;;#ASMSTART
	v_dot2_f32_f16 v4, v50, v54, v4
	;;#ASMEND
	;;#ASMSTART
	v_dot2_f32_f16 v4, v51, v55, v4
	;;#ASMEND
	;;#ASMSTART
	v_dot2_f32_f16 v4, v52, v56, v4
	;;#ASMEND
	;;#ASMSTART
	v_dot2_f32_f16 v4, v53, v57, v4
	;;#ASMEND
	s_wait_dscnt 0x3
	;;#ASMSTART
	v_dot2_f32_f16 v1, v50, v58, v1
	;;#ASMEND
	;;#ASMSTART
	v_dot2_f32_f16 v1, v51, v59, v1
	;;#ASMEND
	;;#ASMSTART
	v_dot2_f32_f16 v1, v52, v60, v1
	;;#ASMEND
	;;#ASMSTART
	v_dot2_f32_f16 v1, v53, v61, v1
	;;#ASMEND
	s_wait_dscnt 0x2
	;;#ASMSTART
	v_dot2_f32_f16 v2, v50, v62, v2
	;;#ASMEND
	;;#ASMSTART
	v_dot2_f32_f16 v2, v51, v63, v2
	;;#ASMEND
	;;#ASMSTART
	v_dot2_f32_f16 v2, v52, v64, v2
	;;#ASMEND
	;;#ASMSTART
	v_dot2_f32_f16 v2, v53, v65, v2
	;;#ASMEND
	s_wait_dscnt 0x1
	;;#ASMSTART
	v_dot2_f32_f16 v3, v50, v80, v3
	;;#ASMEND
	;;#ASMSTART
	v_dot2_f32_f16 v3, v51, v81, v3
	;;#ASMEND
	;;#ASMSTART
	v_dot2_f32_f16 v3, v52, v82, v3
	;;#ASMEND
	;;#ASMSTART
	v_dot2_f32_f16 v3, v53, v83, v3
	;;#ASMEND
	s_wait_dscnt 0x0
	;;#ASMSTART
	v_dot2_f32_f16 v48, v84, v54, v48
	;;#ASMEND
	;;#ASMSTART
	v_dot2_f32_f16 v48, v85, v55, v48
	;;#ASMEND
	;;#ASMSTART
	v_dot2_f32_f16 v48, v86, v56, v48
	;;#ASMEND
	;;#ASMSTART
	v_dot2_f32_f16 v48, v87, v57, v48
	;;#ASMEND
	;;#ASMSTART
	v_dot2_f32_f16 v5, v84, v58, v5
	;;#ASMEND
	;;#ASMSTART
	v_dot2_f32_f16 v5, v85, v59, v5
	;;#ASMEND
	;; [unrolled: 3-line block ×12, first 2 shown]
	ds_load_b128 v[50:53], v105 offset:112
	ds_load_b128 v[54:57], v75 offset:17520
	;; [unrolled: 1-line block ×6, first 2 shown]
	s_wait_dscnt 0x4
	;;#ASMSTART
	v_dot2_f32_f16 v4, v50, v54, v4
	;;#ASMEND
	;;#ASMSTART
	v_dot2_f32_f16 v4, v51, v55, v4
	;;#ASMEND
	;;#ASMSTART
	v_dot2_f32_f16 v4, v52, v56, v4
	;;#ASMEND
	;;#ASMSTART
	v_dot2_f32_f16 v4, v53, v57, v4
	;;#ASMEND
	s_wait_dscnt 0x3
	;;#ASMSTART
	v_dot2_f32_f16 v1, v50, v58, v1
	;;#ASMEND
	;;#ASMSTART
	v_dot2_f32_f16 v1, v51, v59, v1
	;;#ASMEND
	;;#ASMSTART
	v_dot2_f32_f16 v1, v52, v60, v1
	;;#ASMEND
	;;#ASMSTART
	v_dot2_f32_f16 v1, v53, v61, v1
	;;#ASMEND
	;; [unrolled: 13-line block ×5, first 2 shown]
	;;#ASMSTART
	v_dot2_f32_f16 v5, v84, v58, v5
	;;#ASMEND
	;;#ASMSTART
	v_dot2_f32_f16 v5, v85, v59, v5
	;;#ASMEND
	;; [unrolled: 3-line block ×12, first 2 shown]
	ds_load_b128 v[50:53], v105 offset:128
	ds_load_b128 v[54:57], v75 offset:17536
	;; [unrolled: 1-line block ×6, first 2 shown]
	s_wait_dscnt 0x4
	;;#ASMSTART
	v_dot2_f32_f16 v4, v50, v54, v4
	;;#ASMEND
	;;#ASMSTART
	v_dot2_f32_f16 v4, v51, v55, v4
	;;#ASMEND
	;;#ASMSTART
	v_dot2_f32_f16 v4, v52, v56, v4
	;;#ASMEND
	;;#ASMSTART
	v_dot2_f32_f16 v4, v53, v57, v4
	;;#ASMEND
	s_wait_dscnt 0x3
	;;#ASMSTART
	v_dot2_f32_f16 v1, v50, v58, v1
	;;#ASMEND
	;;#ASMSTART
	v_dot2_f32_f16 v1, v51, v59, v1
	;;#ASMEND
	;;#ASMSTART
	v_dot2_f32_f16 v1, v52, v60, v1
	;;#ASMEND
	;;#ASMSTART
	v_dot2_f32_f16 v1, v53, v61, v1
	;;#ASMEND
	;; [unrolled: 13-line block ×5, first 2 shown]
	;;#ASMSTART
	v_dot2_f32_f16 v5, v84, v58, v5
	;;#ASMEND
	;;#ASMSTART
	v_dot2_f32_f16 v5, v85, v59, v5
	;;#ASMEND
	;; [unrolled: 3-line block ×12, first 2 shown]
	ds_load_b128 v[50:53], v105 offset:144
	ds_load_b128 v[54:57], v75 offset:17552
	;; [unrolled: 1-line block ×6, first 2 shown]
	s_wait_dscnt 0x4
	;;#ASMSTART
	v_dot2_f32_f16 v4, v50, v54, v4
	;;#ASMEND
	;;#ASMSTART
	v_dot2_f32_f16 v4, v51, v55, v4
	;;#ASMEND
	;;#ASMSTART
	v_dot2_f32_f16 v4, v52, v56, v4
	;;#ASMEND
	;;#ASMSTART
	v_dot2_f32_f16 v4, v53, v57, v4
	;;#ASMEND
	s_wait_dscnt 0x3
	;;#ASMSTART
	v_dot2_f32_f16 v1, v50, v58, v1
	;;#ASMEND
	;;#ASMSTART
	v_dot2_f32_f16 v1, v51, v59, v1
	;;#ASMEND
	;;#ASMSTART
	v_dot2_f32_f16 v1, v52, v60, v1
	;;#ASMEND
	;;#ASMSTART
	v_dot2_f32_f16 v1, v53, v61, v1
	;;#ASMEND
	;; [unrolled: 13-line block ×5, first 2 shown]
	;;#ASMSTART
	v_dot2_f32_f16 v5, v84, v58, v5
	;;#ASMEND
	;;#ASMSTART
	v_dot2_f32_f16 v5, v85, v59, v5
	;;#ASMEND
	;; [unrolled: 3-line block ×12, first 2 shown]
	ds_load_b128 v[50:53], v105 offset:160
	ds_load_b128 v[54:57], v75 offset:17568
	;; [unrolled: 1-line block ×6, first 2 shown]
	s_wait_dscnt 0x4
	;;#ASMSTART
	v_dot2_f32_f16 v4, v50, v54, v4
	;;#ASMEND
	;;#ASMSTART
	v_dot2_f32_f16 v4, v51, v55, v4
	;;#ASMEND
	;;#ASMSTART
	v_dot2_f32_f16 v4, v52, v56, v4
	;;#ASMEND
	;;#ASMSTART
	v_dot2_f32_f16 v4, v53, v57, v4
	;;#ASMEND
	s_wait_dscnt 0x3
	;;#ASMSTART
	v_dot2_f32_f16 v1, v50, v58, v1
	;;#ASMEND
	;;#ASMSTART
	v_dot2_f32_f16 v1, v51, v59, v1
	;;#ASMEND
	;;#ASMSTART
	v_dot2_f32_f16 v1, v52, v60, v1
	;;#ASMEND
	;;#ASMSTART
	v_dot2_f32_f16 v1, v53, v61, v1
	;;#ASMEND
	;; [unrolled: 13-line block ×5, first 2 shown]
	;;#ASMSTART
	v_dot2_f32_f16 v5, v84, v58, v5
	;;#ASMEND
	;;#ASMSTART
	v_dot2_f32_f16 v5, v85, v59, v5
	;;#ASMEND
	;; [unrolled: 3-line block ×12, first 2 shown]
	ds_load_b128 v[50:53], v105 offset:176
	ds_load_b128 v[54:57], v75 offset:17584
	;; [unrolled: 1-line block ×6, first 2 shown]
	s_wait_dscnt 0x4
	;;#ASMSTART
	v_dot2_f32_f16 v4, v50, v54, v4
	;;#ASMEND
	;;#ASMSTART
	v_dot2_f32_f16 v4, v51, v55, v4
	;;#ASMEND
	;;#ASMSTART
	v_dot2_f32_f16 v4, v52, v56, v4
	;;#ASMEND
	;;#ASMSTART
	v_dot2_f32_f16 v4, v53, v57, v4
	;;#ASMEND
	s_wait_dscnt 0x3
	;;#ASMSTART
	v_dot2_f32_f16 v1, v50, v58, v1
	;;#ASMEND
	;;#ASMSTART
	v_dot2_f32_f16 v1, v51, v59, v1
	;;#ASMEND
	;;#ASMSTART
	v_dot2_f32_f16 v1, v52, v60, v1
	;;#ASMEND
	;;#ASMSTART
	v_dot2_f32_f16 v1, v53, v61, v1
	;;#ASMEND
	;; [unrolled: 13-line block ×5, first 2 shown]
	;;#ASMSTART
	v_dot2_f32_f16 v5, v84, v58, v5
	;;#ASMEND
	;;#ASMSTART
	v_dot2_f32_f16 v5, v85, v59, v5
	;;#ASMEND
	;; [unrolled: 3-line block ×12, first 2 shown]
	ds_load_b128 v[50:53], v105 offset:192
	ds_load_b128 v[54:57], v75 offset:17600
	;; [unrolled: 1-line block ×6, first 2 shown]
	s_wait_dscnt 0x4
	;;#ASMSTART
	v_dot2_f32_f16 v4, v50, v54, v4
	;;#ASMEND
	;;#ASMSTART
	v_dot2_f32_f16 v4, v51, v55, v4
	;;#ASMEND
	;;#ASMSTART
	v_dot2_f32_f16 v4, v52, v56, v4
	;;#ASMEND
	;;#ASMSTART
	v_dot2_f32_f16 v4, v53, v57, v4
	;;#ASMEND
	s_wait_dscnt 0x3
	;;#ASMSTART
	v_dot2_f32_f16 v1, v50, v58, v1
	;;#ASMEND
	;;#ASMSTART
	v_dot2_f32_f16 v1, v51, v59, v1
	;;#ASMEND
	;;#ASMSTART
	v_dot2_f32_f16 v1, v52, v60, v1
	;;#ASMEND
	;;#ASMSTART
	v_dot2_f32_f16 v1, v53, v61, v1
	;;#ASMEND
	;; [unrolled: 13-line block ×5, first 2 shown]
	;;#ASMSTART
	v_dot2_f32_f16 v5, v84, v58, v5
	;;#ASMEND
	;;#ASMSTART
	v_dot2_f32_f16 v5, v85, v59, v5
	;;#ASMEND
	;; [unrolled: 3-line block ×12, first 2 shown]
	ds_load_b128 v[50:53], v105 offset:208
	ds_load_b128 v[54:57], v75 offset:17616
	;; [unrolled: 1-line block ×6, first 2 shown]
	s_wait_dscnt 0x4
	;;#ASMSTART
	v_dot2_f32_f16 v4, v50, v54, v4
	;;#ASMEND
	;;#ASMSTART
	v_dot2_f32_f16 v4, v51, v55, v4
	;;#ASMEND
	;;#ASMSTART
	v_dot2_f32_f16 v4, v52, v56, v4
	;;#ASMEND
	;;#ASMSTART
	v_dot2_f32_f16 v4, v53, v57, v4
	;;#ASMEND
	s_wait_dscnt 0x3
	;;#ASMSTART
	v_dot2_f32_f16 v1, v50, v58, v1
	;;#ASMEND
	;;#ASMSTART
	v_dot2_f32_f16 v1, v51, v59, v1
	;;#ASMEND
	;;#ASMSTART
	v_dot2_f32_f16 v1, v52, v60, v1
	;;#ASMEND
	;;#ASMSTART
	v_dot2_f32_f16 v1, v53, v61, v1
	;;#ASMEND
	;; [unrolled: 13-line block ×5, first 2 shown]
	;;#ASMSTART
	v_dot2_f32_f16 v5, v84, v58, v5
	;;#ASMEND
	;;#ASMSTART
	v_dot2_f32_f16 v5, v85, v59, v5
	;;#ASMEND
	;; [unrolled: 3-line block ×12, first 2 shown]
	ds_load_b128 v[50:53], v105 offset:224
	ds_load_b128 v[54:57], v75 offset:17632
	;; [unrolled: 1-line block ×6, first 2 shown]
	s_wait_dscnt 0x4
	;;#ASMSTART
	v_dot2_f32_f16 v4, v50, v54, v4
	;;#ASMEND
	;;#ASMSTART
	v_dot2_f32_f16 v4, v51, v55, v4
	;;#ASMEND
	;;#ASMSTART
	v_dot2_f32_f16 v4, v52, v56, v4
	;;#ASMEND
	;;#ASMSTART
	v_dot2_f32_f16 v4, v53, v57, v4
	;;#ASMEND
	s_wait_dscnt 0x3
	;;#ASMSTART
	v_dot2_f32_f16 v1, v50, v58, v1
	;;#ASMEND
	;;#ASMSTART
	v_dot2_f32_f16 v1, v51, v59, v1
	;;#ASMEND
	;;#ASMSTART
	v_dot2_f32_f16 v1, v52, v60, v1
	;;#ASMEND
	;;#ASMSTART
	v_dot2_f32_f16 v1, v53, v61, v1
	;;#ASMEND
	;; [unrolled: 13-line block ×5, first 2 shown]
	;;#ASMSTART
	v_dot2_f32_f16 v5, v84, v58, v5
	;;#ASMEND
	;;#ASMSTART
	v_dot2_f32_f16 v5, v85, v59, v5
	;;#ASMEND
	;; [unrolled: 3-line block ×12, first 2 shown]
	ds_load_b128 v[50:53], v105 offset:240
	ds_load_b128 v[54:57], v75 offset:17648
	;; [unrolled: 1-line block ×6, first 2 shown]
	s_wait_dscnt 0x4
	;;#ASMSTART
	v_dot2_f32_f16 v4, v50, v54, v4
	;;#ASMEND
	;;#ASMSTART
	v_dot2_f32_f16 v4, v51, v55, v4
	;;#ASMEND
	;;#ASMSTART
	v_dot2_f32_f16 v4, v52, v56, v4
	;;#ASMEND
	;;#ASMSTART
	v_dot2_f32_f16 v4, v53, v57, v4
	;;#ASMEND
	s_wait_dscnt 0x3
	;;#ASMSTART
	v_dot2_f32_f16 v1, v50, v58, v1
	;;#ASMEND
	;;#ASMSTART
	v_dot2_f32_f16 v1, v51, v59, v1
	;;#ASMEND
	;;#ASMSTART
	v_dot2_f32_f16 v1, v52, v60, v1
	;;#ASMEND
	;;#ASMSTART
	v_dot2_f32_f16 v1, v53, v61, v1
	;;#ASMEND
	;; [unrolled: 13-line block ×5, first 2 shown]
	;;#ASMSTART
	v_dot2_f32_f16 v5, v84, v58, v5
	;;#ASMEND
	;;#ASMSTART
	v_dot2_f32_f16 v5, v85, v59, v5
	;;#ASMEND
	;; [unrolled: 3-line block ×12, first 2 shown]
	s_barrier_signal -1
	s_barrier_wait -1
	s_clause 0x1
	scratch_store_b32 off, v21, off
	scratch_store_b96 off, v[16:18], off offset:4
	flat_load_b128 v[50:53], v[30:31]
	s_clause 0x1
	scratch_store_b32 off, v21, off
	scratch_store_b96 off, v[16:18], off offset:4
	s_wait_loadcnt_dscnt 0x0
	ds_store_b128 v0, v[50:53]
	flat_load_b128 v[50:53], v[24:25]
	s_wait_xcnt 0x0
	v_add_nc_u64_e32 v[24:25], 0x100, v[26:27]
	s_clause 0x1
	scratch_store_b32 off, v21, off
	scratch_store_b96 off, v[16:18], off offset:4
	v_dual_cndmask_b32 v25, v23, v25, s2 :: v_dual_cndmask_b32 v24, v22, v24, s2
	v_dual_cndmask_b32 v23, v23, v29, s3 :: v_dual_cndmask_b32 v22, v22, v28, s3
	s_wait_loadcnt_dscnt 0x0
	ds_store_b128 v0, v[50:53] offset:4352
	flat_load_b128 v[24:27], v[24:25]
	s_clause 0x1
	scratch_store_b32 off, v21, off
	scratch_store_b96 off, v[16:18], off offset:4
	s_wait_loadcnt_dscnt 0x0
	ds_store_b128 v0, v[24:27] offset:8704
	flat_load_b128 v[16:19], v[22:23]
	s_wait_loadcnt_dscnt 0x0
	ds_store_b128 v0, v[16:19] offset:13056
	s_wait_storecnt_dscnt 0x0
	s_barrier_signal -1
	s_barrier_wait -1
	ds_load_b128 v[16:19], v105
	s_wait_xcnt 0x0
	ds_load_b128 v[20:23], v75 offset:17664
	ds_load_b128 v[24:27], v75 offset:18176
	;; [unrolled: 1-line block ×5, first 2 shown]
	s_wait_dscnt 0x4
	;;#ASMSTART
	v_dot2_f32_f16 v4, v16, v20, v4
	;;#ASMEND
	;;#ASMSTART
	v_dot2_f32_f16 v4, v17, v21, v4
	;;#ASMEND
	;;#ASMSTART
	v_dot2_f32_f16 v4, v18, v22, v4
	;;#ASMEND
	;;#ASMSTART
	v_dot2_f32_f16 v4, v19, v23, v4
	;;#ASMEND
	s_wait_dscnt 0x3
	;;#ASMSTART
	v_dot2_f32_f16 v1, v16, v24, v1
	;;#ASMEND
	;;#ASMSTART
	v_dot2_f32_f16 v1, v17, v25, v1
	;;#ASMEND
	;;#ASMSTART
	v_dot2_f32_f16 v1, v18, v26, v1
	;;#ASMEND
	;;#ASMSTART
	v_dot2_f32_f16 v1, v19, v27, v1
	;;#ASMEND
	;; [unrolled: 13-line block ×5, first 2 shown]
	;;#ASMSTART
	v_dot2_f32_f16 v5, v54, v24, v5
	;;#ASMEND
	;;#ASMSTART
	v_dot2_f32_f16 v5, v55, v25, v5
	;;#ASMEND
	;; [unrolled: 3-line block ×12, first 2 shown]
	ds_load_b128 v[16:19], v105 offset:16
	ds_load_b128 v[20:23], v75 offset:17680
	;; [unrolled: 1-line block ×6, first 2 shown]
	s_wait_dscnt 0x4
	;;#ASMSTART
	v_dot2_f32_f16 v4, v16, v20, v4
	;;#ASMEND
	;;#ASMSTART
	v_dot2_f32_f16 v4, v17, v21, v4
	;;#ASMEND
	;;#ASMSTART
	v_dot2_f32_f16 v4, v18, v22, v4
	;;#ASMEND
	;;#ASMSTART
	v_dot2_f32_f16 v4, v19, v23, v4
	;;#ASMEND
	s_wait_dscnt 0x3
	;;#ASMSTART
	v_dot2_f32_f16 v1, v16, v24, v1
	;;#ASMEND
	;;#ASMSTART
	v_dot2_f32_f16 v1, v17, v25, v1
	;;#ASMEND
	;;#ASMSTART
	v_dot2_f32_f16 v1, v18, v26, v1
	;;#ASMEND
	;;#ASMSTART
	v_dot2_f32_f16 v1, v19, v27, v1
	;;#ASMEND
	;; [unrolled: 13-line block ×5, first 2 shown]
	;;#ASMSTART
	v_dot2_f32_f16 v5, v54, v24, v5
	;;#ASMEND
	;;#ASMSTART
	v_dot2_f32_f16 v5, v55, v25, v5
	;;#ASMEND
	;; [unrolled: 3-line block ×12, first 2 shown]
	ds_load_b128 v[16:19], v105 offset:32
	ds_load_b128 v[20:23], v75 offset:17696
	;; [unrolled: 1-line block ×6, first 2 shown]
	s_wait_dscnt 0x4
	;;#ASMSTART
	v_dot2_f32_f16 v4, v16, v20, v4
	;;#ASMEND
	;;#ASMSTART
	v_dot2_f32_f16 v4, v17, v21, v4
	;;#ASMEND
	;;#ASMSTART
	v_dot2_f32_f16 v4, v18, v22, v4
	;;#ASMEND
	;;#ASMSTART
	v_dot2_f32_f16 v4, v19, v23, v4
	;;#ASMEND
	s_wait_dscnt 0x3
	;;#ASMSTART
	v_dot2_f32_f16 v1, v16, v24, v1
	;;#ASMEND
	;;#ASMSTART
	v_dot2_f32_f16 v1, v17, v25, v1
	;;#ASMEND
	;;#ASMSTART
	v_dot2_f32_f16 v1, v18, v26, v1
	;;#ASMEND
	;;#ASMSTART
	v_dot2_f32_f16 v1, v19, v27, v1
	;;#ASMEND
	;; [unrolled: 13-line block ×5, first 2 shown]
	;;#ASMSTART
	v_dot2_f32_f16 v5, v54, v24, v5
	;;#ASMEND
	;;#ASMSTART
	v_dot2_f32_f16 v5, v55, v25, v5
	;;#ASMEND
	;; [unrolled: 3-line block ×12, first 2 shown]
	ds_load_b128 v[16:19], v105 offset:48
	ds_load_b128 v[20:23], v75 offset:17712
	;; [unrolled: 1-line block ×6, first 2 shown]
	s_wait_dscnt 0x4
	;;#ASMSTART
	v_dot2_f32_f16 v4, v16, v20, v4
	;;#ASMEND
	;;#ASMSTART
	v_dot2_f32_f16 v4, v17, v21, v4
	;;#ASMEND
	;;#ASMSTART
	v_dot2_f32_f16 v4, v18, v22, v4
	;;#ASMEND
	;;#ASMSTART
	v_dot2_f32_f16 v4, v19, v23, v4
	;;#ASMEND
	s_wait_dscnt 0x3
	;;#ASMSTART
	v_dot2_f32_f16 v1, v16, v24, v1
	;;#ASMEND
	;;#ASMSTART
	v_dot2_f32_f16 v1, v17, v25, v1
	;;#ASMEND
	;;#ASMSTART
	v_dot2_f32_f16 v1, v18, v26, v1
	;;#ASMEND
	;;#ASMSTART
	v_dot2_f32_f16 v1, v19, v27, v1
	;;#ASMEND
	;; [unrolled: 13-line block ×5, first 2 shown]
	;;#ASMSTART
	v_dot2_f32_f16 v5, v54, v24, v5
	;;#ASMEND
	;;#ASMSTART
	v_dot2_f32_f16 v5, v55, v25, v5
	;;#ASMEND
	;; [unrolled: 3-line block ×12, first 2 shown]
	ds_load_b128 v[16:19], v105 offset:64
	ds_load_b128 v[20:23], v75 offset:17728
	;; [unrolled: 1-line block ×6, first 2 shown]
	s_wait_dscnt 0x4
	;;#ASMSTART
	v_dot2_f32_f16 v4, v16, v20, v4
	;;#ASMEND
	;;#ASMSTART
	v_dot2_f32_f16 v4, v17, v21, v4
	;;#ASMEND
	;;#ASMSTART
	v_dot2_f32_f16 v4, v18, v22, v4
	;;#ASMEND
	;;#ASMSTART
	v_dot2_f32_f16 v4, v19, v23, v4
	;;#ASMEND
	s_wait_dscnt 0x3
	;;#ASMSTART
	v_dot2_f32_f16 v1, v16, v24, v1
	;;#ASMEND
	;;#ASMSTART
	v_dot2_f32_f16 v1, v17, v25, v1
	;;#ASMEND
	;;#ASMSTART
	v_dot2_f32_f16 v1, v18, v26, v1
	;;#ASMEND
	;;#ASMSTART
	v_dot2_f32_f16 v1, v19, v27, v1
	;;#ASMEND
	;; [unrolled: 13-line block ×5, first 2 shown]
	;;#ASMSTART
	v_dot2_f32_f16 v5, v54, v24, v5
	;;#ASMEND
	;;#ASMSTART
	v_dot2_f32_f16 v5, v55, v25, v5
	;;#ASMEND
	;; [unrolled: 3-line block ×12, first 2 shown]
	ds_load_b128 v[16:19], v105 offset:80
	ds_load_b128 v[20:23], v75 offset:17744
	;; [unrolled: 1-line block ×6, first 2 shown]
	s_wait_dscnt 0x4
	;;#ASMSTART
	v_dot2_f32_f16 v4, v16, v20, v4
	;;#ASMEND
	;;#ASMSTART
	v_dot2_f32_f16 v4, v17, v21, v4
	;;#ASMEND
	;;#ASMSTART
	v_dot2_f32_f16 v4, v18, v22, v4
	;;#ASMEND
	;;#ASMSTART
	v_dot2_f32_f16 v4, v19, v23, v4
	;;#ASMEND
	s_wait_dscnt 0x3
	;;#ASMSTART
	v_dot2_f32_f16 v1, v16, v24, v1
	;;#ASMEND
	;;#ASMSTART
	v_dot2_f32_f16 v1, v17, v25, v1
	;;#ASMEND
	;;#ASMSTART
	v_dot2_f32_f16 v1, v18, v26, v1
	;;#ASMEND
	;;#ASMSTART
	v_dot2_f32_f16 v1, v19, v27, v1
	;;#ASMEND
	;; [unrolled: 13-line block ×5, first 2 shown]
	;;#ASMSTART
	v_dot2_f32_f16 v5, v54, v24, v5
	;;#ASMEND
	;;#ASMSTART
	v_dot2_f32_f16 v5, v55, v25, v5
	;;#ASMEND
	;; [unrolled: 3-line block ×12, first 2 shown]
	ds_load_b128 v[16:19], v105 offset:96
	ds_load_b128 v[20:23], v75 offset:17760
	;; [unrolled: 1-line block ×6, first 2 shown]
	s_wait_dscnt 0x4
	;;#ASMSTART
	v_dot2_f32_f16 v4, v16, v20, v4
	;;#ASMEND
	;;#ASMSTART
	v_dot2_f32_f16 v4, v17, v21, v4
	;;#ASMEND
	;;#ASMSTART
	v_dot2_f32_f16 v4, v18, v22, v4
	;;#ASMEND
	;;#ASMSTART
	v_dot2_f32_f16 v4, v19, v23, v4
	;;#ASMEND
	s_wait_dscnt 0x3
	;;#ASMSTART
	v_dot2_f32_f16 v1, v16, v24, v1
	;;#ASMEND
	;;#ASMSTART
	v_dot2_f32_f16 v1, v17, v25, v1
	;;#ASMEND
	;;#ASMSTART
	v_dot2_f32_f16 v1, v18, v26, v1
	;;#ASMEND
	;;#ASMSTART
	v_dot2_f32_f16 v1, v19, v27, v1
	;;#ASMEND
	;; [unrolled: 13-line block ×5, first 2 shown]
	;;#ASMSTART
	v_dot2_f32_f16 v5, v54, v24, v5
	;;#ASMEND
	;;#ASMSTART
	v_dot2_f32_f16 v5, v55, v25, v5
	;;#ASMEND
	;;#ASMSTART
	v_dot2_f32_f16 v5, v56, v26, v5
	;;#ASMEND
	;;#ASMSTART
	v_dot2_f32_f16 v5, v57, v27, v5
	;;#ASMEND
	;;#ASMSTART
	v_dot2_f32_f16 v6, v54, v28, v6
	;;#ASMEND
	;;#ASMSTART
	v_dot2_f32_f16 v6, v55, v29, v6
	;;#ASMEND
	;;#ASMSTART
	v_dot2_f32_f16 v6, v56, v30, v6
	;;#ASMEND
	;;#ASMSTART
	v_dot2_f32_f16 v6, v57, v31, v6
	;;#ASMEND
	;;#ASMSTART
	v_dot2_f32_f16 v7, v54, v50, v7
	;;#ASMEND
	;;#ASMSTART
	v_dot2_f32_f16 v7, v55, v51, v7
	;;#ASMEND
	;;#ASMSTART
	v_dot2_f32_f16 v7, v56, v52, v7
	;;#ASMEND
	;;#ASMSTART
	v_dot2_f32_f16 v7, v57, v53, v7
	;;#ASMEND
	ds_load_b128 v[16:19], v105 offset:112
	ds_load_b128 v[20:23], v75 offset:17776
	;; [unrolled: 1-line block ×6, first 2 shown]
	s_wait_dscnt 0x4
	;;#ASMSTART
	v_dot2_f32_f16 v4, v16, v20, v4
	;;#ASMEND
	;;#ASMSTART
	v_dot2_f32_f16 v4, v17, v21, v4
	;;#ASMEND
	;;#ASMSTART
	v_dot2_f32_f16 v4, v18, v22, v4
	;;#ASMEND
	;;#ASMSTART
	v_dot2_f32_f16 v4, v19, v23, v4
	;;#ASMEND
	s_wait_dscnt 0x3
	;;#ASMSTART
	v_dot2_f32_f16 v1, v16, v24, v1
	;;#ASMEND
	;;#ASMSTART
	v_dot2_f32_f16 v1, v17, v25, v1
	;;#ASMEND
	;;#ASMSTART
	v_dot2_f32_f16 v1, v18, v26, v1
	;;#ASMEND
	;;#ASMSTART
	v_dot2_f32_f16 v1, v19, v27, v1
	;;#ASMEND
	;; [unrolled: 13-line block ×5, first 2 shown]
	;;#ASMSTART
	v_dot2_f32_f16 v5, v54, v24, v5
	;;#ASMEND
	;;#ASMSTART
	v_dot2_f32_f16 v5, v55, v25, v5
	;;#ASMEND
	;; [unrolled: 3-line block ×12, first 2 shown]
	ds_load_b128 v[16:19], v105 offset:128
	ds_load_b128 v[20:23], v75 offset:17792
	;; [unrolled: 1-line block ×6, first 2 shown]
	s_wait_dscnt 0x4
	;;#ASMSTART
	v_dot2_f32_f16 v4, v16, v20, v4
	;;#ASMEND
	;;#ASMSTART
	v_dot2_f32_f16 v4, v17, v21, v4
	;;#ASMEND
	;;#ASMSTART
	v_dot2_f32_f16 v4, v18, v22, v4
	;;#ASMEND
	;;#ASMSTART
	v_dot2_f32_f16 v4, v19, v23, v4
	;;#ASMEND
	s_wait_dscnt 0x3
	;;#ASMSTART
	v_dot2_f32_f16 v1, v16, v24, v1
	;;#ASMEND
	;;#ASMSTART
	v_dot2_f32_f16 v1, v17, v25, v1
	;;#ASMEND
	;;#ASMSTART
	v_dot2_f32_f16 v1, v18, v26, v1
	;;#ASMEND
	;;#ASMSTART
	v_dot2_f32_f16 v1, v19, v27, v1
	;;#ASMEND
	;; [unrolled: 13-line block ×5, first 2 shown]
	;;#ASMSTART
	v_dot2_f32_f16 v5, v54, v24, v5
	;;#ASMEND
	;;#ASMSTART
	v_dot2_f32_f16 v5, v55, v25, v5
	;;#ASMEND
	;; [unrolled: 3-line block ×12, first 2 shown]
	ds_load_b128 v[16:19], v105 offset:144
	ds_load_b128 v[20:23], v75 offset:17808
	ds_load_b128 v[24:27], v75 offset:18320
	ds_load_b128 v[28:31], v75 offset:18832
	ds_load_b128 v[50:53], v75 offset:19344
	ds_load_b128 v[54:57], v105 offset:8848
	s_wait_dscnt 0x4
	;;#ASMSTART
	v_dot2_f32_f16 v4, v16, v20, v4
	;;#ASMEND
	;;#ASMSTART
	v_dot2_f32_f16 v4, v17, v21, v4
	;;#ASMEND
	;;#ASMSTART
	v_dot2_f32_f16 v4, v18, v22, v4
	;;#ASMEND
	;;#ASMSTART
	v_dot2_f32_f16 v4, v19, v23, v4
	;;#ASMEND
	s_wait_dscnt 0x3
	;;#ASMSTART
	v_dot2_f32_f16 v1, v16, v24, v1
	;;#ASMEND
	;;#ASMSTART
	v_dot2_f32_f16 v1, v17, v25, v1
	;;#ASMEND
	;;#ASMSTART
	v_dot2_f32_f16 v1, v18, v26, v1
	;;#ASMEND
	;;#ASMSTART
	v_dot2_f32_f16 v1, v19, v27, v1
	;;#ASMEND
	;; [unrolled: 13-line block ×5, first 2 shown]
	;;#ASMSTART
	v_dot2_f32_f16 v5, v54, v24, v5
	;;#ASMEND
	;;#ASMSTART
	v_dot2_f32_f16 v5, v55, v25, v5
	;;#ASMEND
	;;#ASMSTART
	v_dot2_f32_f16 v5, v56, v26, v5
	;;#ASMEND
	;;#ASMSTART
	v_dot2_f32_f16 v5, v57, v27, v5
	;;#ASMEND
	;;#ASMSTART
	v_dot2_f32_f16 v6, v54, v28, v6
	;;#ASMEND
	;;#ASMSTART
	v_dot2_f32_f16 v6, v55, v29, v6
	;;#ASMEND
	;;#ASMSTART
	v_dot2_f32_f16 v6, v56, v30, v6
	;;#ASMEND
	;;#ASMSTART
	v_dot2_f32_f16 v6, v57, v31, v6
	;;#ASMEND
	;;#ASMSTART
	v_dot2_f32_f16 v7, v54, v50, v7
	;;#ASMEND
	;;#ASMSTART
	v_dot2_f32_f16 v7, v55, v51, v7
	;;#ASMEND
	;;#ASMSTART
	v_dot2_f32_f16 v7, v56, v52, v7
	;;#ASMEND
	;;#ASMSTART
	v_dot2_f32_f16 v7, v57, v53, v7
	;;#ASMEND
	ds_load_b128 v[16:19], v105 offset:160
	ds_load_b128 v[20:23], v75 offset:17824
	;; [unrolled: 1-line block ×6, first 2 shown]
	s_wait_dscnt 0x4
	;;#ASMSTART
	v_dot2_f32_f16 v4, v16, v20, v4
	;;#ASMEND
	;;#ASMSTART
	v_dot2_f32_f16 v4, v17, v21, v4
	;;#ASMEND
	;;#ASMSTART
	v_dot2_f32_f16 v4, v18, v22, v4
	;;#ASMEND
	;;#ASMSTART
	v_dot2_f32_f16 v4, v19, v23, v4
	;;#ASMEND
	s_wait_dscnt 0x3
	;;#ASMSTART
	v_dot2_f32_f16 v1, v16, v24, v1
	;;#ASMEND
	;;#ASMSTART
	v_dot2_f32_f16 v1, v17, v25, v1
	;;#ASMEND
	;;#ASMSTART
	v_dot2_f32_f16 v1, v18, v26, v1
	;;#ASMEND
	;;#ASMSTART
	v_dot2_f32_f16 v1, v19, v27, v1
	;;#ASMEND
	;; [unrolled: 13-line block ×5, first 2 shown]
	;;#ASMSTART
	v_dot2_f32_f16 v5, v54, v24, v5
	;;#ASMEND
	;;#ASMSTART
	v_dot2_f32_f16 v5, v55, v25, v5
	;;#ASMEND
	;; [unrolled: 3-line block ×12, first 2 shown]
	ds_load_b128 v[16:19], v105 offset:176
	ds_load_b128 v[20:23], v75 offset:17840
	;; [unrolled: 1-line block ×6, first 2 shown]
	s_wait_dscnt 0x4
	;;#ASMSTART
	v_dot2_f32_f16 v4, v16, v20, v4
	;;#ASMEND
	;;#ASMSTART
	v_dot2_f32_f16 v4, v17, v21, v4
	;;#ASMEND
	;;#ASMSTART
	v_dot2_f32_f16 v4, v18, v22, v4
	;;#ASMEND
	;;#ASMSTART
	v_dot2_f32_f16 v4, v19, v23, v4
	;;#ASMEND
	s_wait_dscnt 0x3
	;;#ASMSTART
	v_dot2_f32_f16 v1, v16, v24, v1
	;;#ASMEND
	;;#ASMSTART
	v_dot2_f32_f16 v1, v17, v25, v1
	;;#ASMEND
	;;#ASMSTART
	v_dot2_f32_f16 v1, v18, v26, v1
	;;#ASMEND
	;;#ASMSTART
	v_dot2_f32_f16 v1, v19, v27, v1
	;;#ASMEND
	;; [unrolled: 13-line block ×5, first 2 shown]
	;;#ASMSTART
	v_dot2_f32_f16 v5, v54, v24, v5
	;;#ASMEND
	;;#ASMSTART
	v_dot2_f32_f16 v5, v55, v25, v5
	;;#ASMEND
	;; [unrolled: 3-line block ×12, first 2 shown]
	ds_load_b128 v[16:19], v105 offset:192
	ds_load_b128 v[20:23], v75 offset:17856
	;; [unrolled: 1-line block ×6, first 2 shown]
	s_wait_dscnt 0x4
	;;#ASMSTART
	v_dot2_f32_f16 v4, v16, v20, v4
	;;#ASMEND
	;;#ASMSTART
	v_dot2_f32_f16 v4, v17, v21, v4
	;;#ASMEND
	;;#ASMSTART
	v_dot2_f32_f16 v4, v18, v22, v4
	;;#ASMEND
	;;#ASMSTART
	v_dot2_f32_f16 v4, v19, v23, v4
	;;#ASMEND
	s_wait_dscnt 0x3
	;;#ASMSTART
	v_dot2_f32_f16 v1, v16, v24, v1
	;;#ASMEND
	;;#ASMSTART
	v_dot2_f32_f16 v1, v17, v25, v1
	;;#ASMEND
	;;#ASMSTART
	v_dot2_f32_f16 v1, v18, v26, v1
	;;#ASMEND
	;;#ASMSTART
	v_dot2_f32_f16 v1, v19, v27, v1
	;;#ASMEND
	;; [unrolled: 13-line block ×5, first 2 shown]
	;;#ASMSTART
	v_dot2_f32_f16 v5, v54, v24, v5
	;;#ASMEND
	;;#ASMSTART
	v_dot2_f32_f16 v5, v55, v25, v5
	;;#ASMEND
	;;#ASMSTART
	v_dot2_f32_f16 v5, v56, v26, v5
	;;#ASMEND
	;;#ASMSTART
	v_dot2_f32_f16 v5, v57, v27, v5
	;;#ASMEND
	;;#ASMSTART
	v_dot2_f32_f16 v6, v54, v28, v6
	;;#ASMEND
	;;#ASMSTART
	v_dot2_f32_f16 v6, v55, v29, v6
	;;#ASMEND
	;;#ASMSTART
	v_dot2_f32_f16 v6, v56, v30, v6
	;;#ASMEND
	;;#ASMSTART
	v_dot2_f32_f16 v6, v57, v31, v6
	;;#ASMEND
	;;#ASMSTART
	v_dot2_f32_f16 v7, v54, v50, v7
	;;#ASMEND
	;;#ASMSTART
	v_dot2_f32_f16 v7, v55, v51, v7
	;;#ASMEND
	;;#ASMSTART
	v_dot2_f32_f16 v7, v56, v52, v7
	;;#ASMEND
	;;#ASMSTART
	v_dot2_f32_f16 v7, v57, v53, v7
	;;#ASMEND
	ds_load_b128 v[16:19], v105 offset:208
	ds_load_b128 v[20:23], v75 offset:17872
	;; [unrolled: 1-line block ×6, first 2 shown]
	s_wait_dscnt 0x4
	;;#ASMSTART
	v_dot2_f32_f16 v4, v16, v20, v4
	;;#ASMEND
	;;#ASMSTART
	v_dot2_f32_f16 v4, v17, v21, v4
	;;#ASMEND
	;;#ASMSTART
	v_dot2_f32_f16 v4, v18, v22, v4
	;;#ASMEND
	;;#ASMSTART
	v_dot2_f32_f16 v4, v19, v23, v4
	;;#ASMEND
	s_wait_dscnt 0x3
	;;#ASMSTART
	v_dot2_f32_f16 v1, v16, v24, v1
	;;#ASMEND
	;;#ASMSTART
	v_dot2_f32_f16 v1, v17, v25, v1
	;;#ASMEND
	;;#ASMSTART
	v_dot2_f32_f16 v1, v18, v26, v1
	;;#ASMEND
	;;#ASMSTART
	v_dot2_f32_f16 v1, v19, v27, v1
	;;#ASMEND
	;; [unrolled: 13-line block ×5, first 2 shown]
	;;#ASMSTART
	v_dot2_f32_f16 v5, v54, v24, v5
	;;#ASMEND
	;;#ASMSTART
	v_dot2_f32_f16 v5, v55, v25, v5
	;;#ASMEND
	;; [unrolled: 3-line block ×12, first 2 shown]
	ds_load_b128 v[16:19], v105 offset:224
	ds_load_b128 v[20:23], v75 offset:17888
	;; [unrolled: 1-line block ×6, first 2 shown]
	s_wait_dscnt 0x4
	;;#ASMSTART
	v_dot2_f32_f16 v4, v16, v20, v4
	;;#ASMEND
	;;#ASMSTART
	v_dot2_f32_f16 v4, v17, v21, v4
	;;#ASMEND
	;;#ASMSTART
	v_dot2_f32_f16 v4, v18, v22, v4
	;;#ASMEND
	;;#ASMSTART
	v_dot2_f32_f16 v4, v19, v23, v4
	;;#ASMEND
	s_wait_dscnt 0x3
	;;#ASMSTART
	v_dot2_f32_f16 v1, v16, v24, v1
	;;#ASMEND
	;;#ASMSTART
	v_dot2_f32_f16 v1, v17, v25, v1
	;;#ASMEND
	;;#ASMSTART
	v_dot2_f32_f16 v1, v18, v26, v1
	;;#ASMEND
	;;#ASMSTART
	v_dot2_f32_f16 v1, v19, v27, v1
	;;#ASMEND
	;; [unrolled: 13-line block ×5, first 2 shown]
	;;#ASMSTART
	v_dot2_f32_f16 v5, v54, v24, v5
	;;#ASMEND
	;;#ASMSTART
	v_dot2_f32_f16 v5, v55, v25, v5
	;;#ASMEND
	;; [unrolled: 3-line block ×12, first 2 shown]
	ds_load_b128 v[16:19], v105 offset:240
	ds_load_b128 v[20:23], v75 offset:17904
	;; [unrolled: 1-line block ×6, first 2 shown]
	s_wait_dscnt 0x4
	;;#ASMSTART
	v_dot2_f32_f16 v4, v16, v20, v4
	;;#ASMEND
	;;#ASMSTART
	v_dot2_f32_f16 v4, v17, v21, v4
	;;#ASMEND
	;;#ASMSTART
	v_dot2_f32_f16 v4, v18, v22, v4
	;;#ASMEND
	;;#ASMSTART
	v_dot2_f32_f16 v4, v19, v23, v4
	;;#ASMEND
	s_wait_dscnt 0x3
	;;#ASMSTART
	v_dot2_f32_f16 v1, v16, v24, v1
	;;#ASMEND
	;;#ASMSTART
	v_dot2_f32_f16 v1, v17, v25, v1
	;;#ASMEND
	;;#ASMSTART
	v_dot2_f32_f16 v1, v18, v26, v1
	;;#ASMEND
	;;#ASMSTART
	v_dot2_f32_f16 v1, v19, v27, v1
	;;#ASMEND
	;; [unrolled: 13-line block ×5, first 2 shown]
	;;#ASMSTART
	v_dot2_f32_f16 v5, v54, v24, v5
	;;#ASMEND
	;;#ASMSTART
	v_dot2_f32_f16 v5, v55, v25, v5
	;;#ASMEND
	;; [unrolled: 3-line block ×5, first 2 shown]
	v_cmp_ngt_f32_e64 s2, 0x3f200000, |v4|
	;;#ASMSTART
	v_dot2_f32_f16 v6, v55, v29, v6
	;;#ASMEND
	;;#ASMSTART
	v_dot2_f32_f16 v6, v56, v30, v6
	;;#ASMEND
	;; [unrolled: 3-line block ×7, first 2 shown]
                                        ; implicit-def: $vgpr0
	s_and_saveexec_b32 s3, s2
	s_delay_alu instid0(SALU_CYCLE_1)
	s_xor_b32 s2, exec_lo, s3
	s_cbranch_execz .LBB70_69
; %bb.68:
	v_add_f32_e64 v0, |v4|, |v4|
	s_delay_alu instid0(VALU_DEP_1) | instskip(SKIP_1) | instid1(VALU_DEP_2)
	v_mul_f32_e32 v16, 0x3fb8aa3b, v0
	v_cmp_ngt_f32_e32 vcc_lo, 0xc2ce8ed0, v0
	v_rndne_f32_e32 v17, v16
	v_fma_f32 v18, 0x3fb8aa3b, v0, -v16
	s_delay_alu instid0(VALU_DEP_2) | instskip(NEXT) | instid1(VALU_DEP_2)
	v_sub_f32_e32 v16, v16, v17
	v_fmamk_f32 v18, v0, 0x32a5705f, v18
	v_cvt_i32_f32_e32 v17, v17
	s_delay_alu instid0(VALU_DEP_2) | instskip(NEXT) | instid1(VALU_DEP_1)
	v_add_f32_e32 v16, v16, v18
	v_exp_f32_e32 v16, v16
	v_nop
	s_delay_alu instid0(TRANS32_DEP_1) | instskip(NEXT) | instid1(VALU_DEP_1)
	v_ldexp_f32 v16, v16, v17
	v_cndmask_b32_e32 v16, 0, v16, vcc_lo
	v_cmp_nlt_f32_e32 vcc_lo, 0x42b17218, v0
	s_delay_alu instid0(VALU_DEP_2) | instskip(NEXT) | instid1(VALU_DEP_1)
	v_cndmask_b32_e32 v0, 0x7f800000, v16, vcc_lo
	v_add_f32_e32 v0, 1.0, v0
	s_delay_alu instid0(VALU_DEP_1) | instskip(SKIP_1) | instid1(TRANS32_DEP_1)
	v_rcp_f32_e32 v0, v0
	v_nop
	v_fma_f32 v0, v0, -2.0, 1.0
.LBB70_69:
	s_and_not1_saveexec_b32 s2, s2
	s_cbranch_execz .LBB70_71
; %bb.70:
	v_mul_f32_e32 v0, v4, v4
	s_mov_b32 s3, 0xbbbac73d
	s_delay_alu instid0(VALU_DEP_1) | instid1(SALU_CYCLE_1)
	v_fmaak_f32 v16, s3, v0, 0x3ca908c9
	s_delay_alu instid0(VALU_DEP_1) | instskip(NEXT) | instid1(VALU_DEP_1)
	v_fmaak_f32 v16, v0, v16, 0xbd5c1c4e
	v_fmaak_f32 v16, v0, v16, 0x3e088382
	s_delay_alu instid0(VALU_DEP_1) | instskip(NEXT) | instid1(VALU_DEP_1)
	v_fmaak_f32 v16, v0, v16, 0xbeaaaa99
	v_mul_f32_e64 v16, |v4|, v16
	s_delay_alu instid0(VALU_DEP_1)
	v_fma_f32 v0, v0, v16, |v4|
.LBB70_71:
	s_or_b32 exec_lo, exec_lo, s2
	v_mad_u32 v20, v74, s14, s30
	s_delay_alu instid0(VALU_DEP_2)
	v_bfi_b32 v0, 0x7fffffff, v0, v4
	s_cmp_lg_u64 s[36:37], 0
	v_mov_b64_e32 v[18:19], v[14:15]
	s_cselect_b32 s4, -1, 0
	v_mov_b64_e32 v[16:17], v[12:13]
	v_cmp_gt_i32_e64 s2, s39, v136
	v_mul_f32_e32 v0, s15, v0
	v_cndmask_b32_e64 v26, 0, 1, s4
	s_and_saveexec_b32 s3, s2
	s_cbranch_execz .LBB70_76
; %bb.72:
	s_and_not1_b32 vcc_lo, exec_lo, s4
	s_cbranch_vccnz .LBB70_74
; %bb.73:
	v_add_nc_u32_e32 v4, v20, v136
	global_load_u16 v4, v4, s[36:37] scale_offset
	s_wait_loadcnt 0x0
	v_cvt_f32_f16_e32 v4, v4
	s_delay_alu instid0(VALU_DEP_1)
	v_mul_f32_e32 v4, v104, v4
	s_branch .LBB70_75
.LBB70_74:
	v_mov_b32_e32 v4, 0
.LBB70_75:
	s_delay_alu instid0(VALU_DEP_1) | instskip(SKIP_1) | instid1(VALU_DEP_2)
	v_add_f32_e32 v0, v0, v4
	v_max_num_f32_e32 v16, v12, v12
	v_add_f32_e32 v4, 0x40051340, v0
	s_delay_alu instid0(VALU_DEP_1) | instskip(SKIP_2) | instid1(VALU_DEP_3)
	v_max_num_f32_e32 v4, v16, v4
	v_mov_b64_e32 v[18:19], v[14:15]
	v_mov_b64_e32 v[16:17], v[12:13]
	v_mov_b32_e32 v16, v4
.LBB70_76:
	s_or_b32 exec_lo, exec_lo, s3
	v_cmp_ngt_f32_e64 s3, 0x3f200000, |v48|
                                        ; implicit-def: $vgpr4
	s_and_saveexec_b32 s4, s3
	s_delay_alu instid0(SALU_CYCLE_1)
	s_xor_b32 s3, exec_lo, s4
	s_cbranch_execz .LBB70_78
; %bb.77:
	v_add_f32_e64 v4, |v48|, |v48|
	s_delay_alu instid0(VALU_DEP_1) | instskip(SKIP_1) | instid1(VALU_DEP_2)
	v_mul_f32_e32 v21, 0x3fb8aa3b, v4
	v_cmp_ngt_f32_e32 vcc_lo, 0xc2ce8ed0, v4
	v_rndne_f32_e32 v22, v21
	v_fma_f32 v23, 0x3fb8aa3b, v4, -v21
	s_delay_alu instid0(VALU_DEP_2) | instskip(NEXT) | instid1(VALU_DEP_2)
	v_sub_f32_e32 v21, v21, v22
	v_fmamk_f32 v23, v4, 0x32a5705f, v23
	v_cvt_i32_f32_e32 v22, v22
	s_delay_alu instid0(VALU_DEP_2) | instskip(NEXT) | instid1(VALU_DEP_1)
	v_add_f32_e32 v21, v21, v23
	v_exp_f32_e32 v21, v21
	v_nop
	s_delay_alu instid0(TRANS32_DEP_1) | instskip(NEXT) | instid1(VALU_DEP_1)
	v_ldexp_f32 v21, v21, v22
	v_cndmask_b32_e32 v21, 0, v21, vcc_lo
	v_cmp_nlt_f32_e32 vcc_lo, 0x42b17218, v4
	s_delay_alu instid0(VALU_DEP_2) | instskip(NEXT) | instid1(VALU_DEP_1)
	v_cndmask_b32_e32 v4, 0x7f800000, v21, vcc_lo
	v_add_f32_e32 v4, 1.0, v4
	s_delay_alu instid0(VALU_DEP_1) | instskip(SKIP_1) | instid1(TRANS32_DEP_1)
	v_rcp_f32_e32 v4, v4
	v_nop
	v_fma_f32 v4, v4, -2.0, 1.0
.LBB70_78:
	s_and_not1_saveexec_b32 s3, s3
	s_cbranch_execz .LBB70_80
; %bb.79:
	v_mul_f32_e32 v4, v48, v48
	s_mov_b32 s4, 0xbbbac73d
	s_delay_alu instid0(VALU_DEP_1) | instid1(SALU_CYCLE_1)
	v_fmaak_f32 v21, s4, v4, 0x3ca908c9
	s_delay_alu instid0(VALU_DEP_1) | instskip(NEXT) | instid1(VALU_DEP_1)
	v_fmaak_f32 v21, v4, v21, 0xbd5c1c4e
	v_fmaak_f32 v21, v4, v21, 0x3e088382
	s_delay_alu instid0(VALU_DEP_1) | instskip(NEXT) | instid1(VALU_DEP_1)
	v_fmaak_f32 v21, v4, v21, 0xbeaaaa99
	v_mul_f32_e64 v21, |v48|, v21
	s_delay_alu instid0(VALU_DEP_1)
	v_fma_f32 v4, v4, v21, |v48|
.LBB70_80:
	s_or_b32 exec_lo, exec_lo, s3
	s_delay_alu instid0(VALU_DEP_1) | instskip(SKIP_1) | instid1(VALU_DEP_2)
	v_bfi_b32 v4, 0x7fffffff, v4, v48
	v_add_nc_u32_e32 v22, 32, v136
	v_mul_f32_e32 v4, s15, v4
	s_delay_alu instid0(VALU_DEP_2)
	v_cmp_gt_i32_e64 s3, s39, v22
	s_and_saveexec_b32 s4, s3
	s_cbranch_execz .LBB70_85
; %bb.81:
	v_cmp_ne_u32_e32 vcc_lo, 1, v26
	s_cbranch_vccnz .LBB70_83
; %bb.82:
	v_dual_ashrrev_i32 v21, 31, v20 :: v_dual_mov_b32 v137, 0
	s_delay_alu instid0(VALU_DEP_1) | instskip(NEXT) | instid1(VALU_DEP_1)
	v_add_nc_u64_e32 v[20:21], v[20:21], v[136:137]
	v_lshl_add_u64 v[20:21], v[20:21], 1, s[36:37]
	global_load_u16 v20, v[20:21], off offset:64
	s_wait_loadcnt 0x0
	v_cvt_f32_f16_e32 v20, v20
	s_delay_alu instid0(VALU_DEP_1)
	v_mul_f32_e32 v20, v104, v20
	s_branch .LBB70_84
.LBB70_83:
	v_mov_b32_e32 v20, 0
.LBB70_84:
	s_delay_alu instid0(VALU_DEP_1) | instskip(SKIP_1) | instid1(VALU_DEP_2)
	v_add_f32_e32 v4, v4, v20
	v_max_num_f32_e32 v16, v16, v16
	v_add_f32_e32 v20, 0x40051340, v4
	s_delay_alu instid0(VALU_DEP_1)
	v_max_num_f32_e32 v16, v16, v20
.LBB70_85:
	s_or_b32 exec_lo, exec_lo, s4
	v_xor_b32_e32 v161, 2, v156
	v_xor_b32_e32 v162, 4, v156
	;; [unrolled: 1-line block ×5, first 2 shown]
	v_cmp_ngt_f32_e64 s4, 0x3f200000, |v1|
	v_mov_b32_e32 v159, 32
	s_delay_alu instid0(VALU_DEP_4) | instskip(SKIP_4) | instid1(VALU_DEP_2)
	v_cmp_gt_i32_e32 vcc_lo, 32, v164
	v_cndmask_b32_e32 v20, v156, v164, vcc_lo
	v_cmp_gt_i32_e32 vcc_lo, 32, v163
	v_cndmask_b32_e32 v21, v156, v163, vcc_lo
	v_cmp_gt_i32_e32 vcc_lo, 32, v162
	v_dual_lshlrev_b32 v28, 2, v21 :: v_dual_lshlrev_b32 v27, 2, v20
	v_cndmask_b32_e32 v21, v156, v162, vcc_lo
	v_cmp_gt_i32_e32 vcc_lo, 32, v161
	ds_bpermute_b32 v20, v27, v16
	v_dual_max_num_f32 v16, v16, v16 :: v_dual_lshlrev_b32 v25, 2, v21
	v_cndmask_b32_e32 v21, v156, v161, vcc_lo
	v_cmp_gt_i32_e32 vcc_lo, 32, v160
	s_delay_alu instid0(VALU_DEP_2) | instskip(NEXT) | instid1(VALU_DEP_1)
	v_dual_cndmask_b32 v21, v156, v160 :: v_dual_lshlrev_b32 v24, 2, v21
	v_lshlrev_b32_e32 v23, 2, v21
                                        ; implicit-def: $vgpr21
	s_wait_dscnt 0x0
	v_max_num_f32_e32 v20, v20, v20
	s_delay_alu instid0(VALU_DEP_1) | instskip(SKIP_3) | instid1(VALU_DEP_1)
	v_max_num_f32_e32 v16, v16, v20
	ds_bpermute_b32 v20, v28, v16
	s_wait_dscnt 0x0
	v_max_num_f32_e32 v20, v20, v20
	v_max_num_f32_e32 v16, v16, v20
	ds_bpermute_b32 v20, v25, v16
	s_wait_dscnt 0x0
	v_max_num_f32_e32 v20, v20, v20
	s_delay_alu instid0(VALU_DEP_1) | instskip(SKIP_3) | instid1(VALU_DEP_1)
	v_max_num_f32_e32 v16, v16, v20
	ds_bpermute_b32 v20, v24, v16
	s_wait_dscnt 0x0
	v_max_num_f32_e32 v20, v20, v20
	v_max_num_f32_e32 v16, v16, v20
	ds_bpermute_b32 v20, v23, v16
	s_and_saveexec_b32 s5, s4
	s_delay_alu instid0(SALU_CYCLE_1)
	s_xor_b32 s4, exec_lo, s5
	s_cbranch_execz .LBB70_87
; %bb.86:
	v_add_f32_e64 v21, |v1|, |v1|
	s_delay_alu instid0(VALU_DEP_1) | instskip(SKIP_1) | instid1(VALU_DEP_2)
	v_mul_f32_e32 v29, 0x3fb8aa3b, v21
	v_cmp_ngt_f32_e32 vcc_lo, 0xc2ce8ed0, v21
	v_rndne_f32_e32 v30, v29
	v_fma_f32 v31, 0x3fb8aa3b, v21, -v29
	s_delay_alu instid0(VALU_DEP_2) | instskip(NEXT) | instid1(VALU_DEP_2)
	v_sub_f32_e32 v29, v29, v30
	v_fmamk_f32 v31, v21, 0x32a5705f, v31
	v_cvt_i32_f32_e32 v30, v30
	s_delay_alu instid0(VALU_DEP_2) | instskip(NEXT) | instid1(VALU_DEP_1)
	v_add_f32_e32 v29, v29, v31
	v_exp_f32_e32 v29, v29
	v_nop
	s_delay_alu instid0(TRANS32_DEP_1) | instskip(NEXT) | instid1(VALU_DEP_1)
	v_ldexp_f32 v29, v29, v30
	v_cndmask_b32_e32 v29, 0, v29, vcc_lo
	v_cmp_nlt_f32_e32 vcc_lo, 0x42b17218, v21
	s_delay_alu instid0(VALU_DEP_2) | instskip(NEXT) | instid1(VALU_DEP_1)
	v_cndmask_b32_e32 v21, 0x7f800000, v29, vcc_lo
	v_add_f32_e32 v21, 1.0, v21
	s_delay_alu instid0(VALU_DEP_1) | instskip(SKIP_1) | instid1(TRANS32_DEP_1)
	v_rcp_f32_e32 v21, v21
	v_nop
	v_fma_f32 v21, v21, -2.0, 1.0
.LBB70_87:
	s_and_not1_saveexec_b32 s4, s4
	s_cbranch_execz .LBB70_89
; %bb.88:
	v_mul_f32_e32 v21, v1, v1
	s_mov_b32 s5, 0xbbbac73d
	s_delay_alu instid0(VALU_DEP_1) | instid1(SALU_CYCLE_1)
	v_fmaak_f32 v29, s5, v21, 0x3ca908c9
	s_delay_alu instid0(VALU_DEP_1) | instskip(NEXT) | instid1(VALU_DEP_1)
	v_fmaak_f32 v29, v21, v29, 0xbd5c1c4e
	v_fmaak_f32 v29, v21, v29, 0x3e088382
	s_delay_alu instid0(VALU_DEP_1) | instskip(NEXT) | instid1(VALU_DEP_1)
	v_fmaak_f32 v29, v21, v29, 0xbeaaaa99
	v_mul_f32_e64 v29, |v1|, v29
	s_delay_alu instid0(VALU_DEP_1)
	v_fma_f32 v21, v21, v29, |v1|
.LBB70_89:
	s_or_b32 exec_lo, exec_lo, s4
	v_mov_b32_e32 v77, 0
	s_delay_alu instid0(VALU_DEP_2) | instskip(SKIP_1) | instid1(VALU_DEP_3)
	v_bfi_b32 v1, 0x7fffffff, v21, v1
	v_max_num_f32_e32 v16, v16, v16
	v_mul_u64_e32 v[30:31], s[8:9], v[76:77]
	s_wait_dscnt 0x0
	s_delay_alu instid0(VALU_DEP_3) | instskip(NEXT) | instid1(VALU_DEP_1)
	v_dual_mul_f32 v1, s15, v1 :: v_dual_max_num_f32 v30, v20, v20
	v_max_num_f32_e32 v16, v16, v30
	s_delay_alu instid0(VALU_DEP_3) | instskip(NEXT) | instid1(VALU_DEP_1)
	v_add_nc_u32_e32 v29, v76, v31
	v_lshrrev_b32_e32 v29, s25, v29
	s_delay_alu instid0(VALU_DEP_1) | instskip(NEXT) | instid1(VALU_DEP_1)
	v_mul_lo_u32 v29, v29, s26
	v_sub_nc_u32_e32 v29, v76, v29
	s_delay_alu instid0(VALU_DEP_1)
	v_mad_u32 v20, v29, s14, s30
	s_and_saveexec_b32 s4, s2
	s_cbranch_execz .LBB70_93
; %bb.90:
	v_cmp_ne_u32_e32 vcc_lo, 1, v26
	s_cbranch_vccnz .LBB70_92
; %bb.91:
	s_delay_alu instid0(VALU_DEP_2) | instskip(SKIP_3) | instid1(VALU_DEP_1)
	v_add_nc_u32_e32 v21, v20, v136
	global_load_u16 v21, v21, s[36:37] scale_offset
	s_wait_loadcnt 0x0
	v_cvt_f32_f16_e32 v21, v21
	v_mul_f32_e32 v77, v104, v21
.LBB70_92:
	s_delay_alu instid0(VALU_DEP_1) | instskip(SKIP_1) | instid1(VALU_DEP_2)
	v_add_f32_e32 v1, v1, v77
	v_max_num_f32_e32 v17, v17, v17
	v_add_f32_e32 v21, 0x40051340, v1
	s_delay_alu instid0(VALU_DEP_1)
	v_max_num_f32_e32 v17, v17, v21
.LBB70_93:
	s_or_b32 exec_lo, exec_lo, s4
	v_cmp_ngt_f32_e64 s4, 0x3f200000, |v5|
                                        ; implicit-def: $vgpr21
	s_and_saveexec_b32 s5, s4
	s_delay_alu instid0(SALU_CYCLE_1)
	s_xor_b32 s4, exec_lo, s5
	s_cbranch_execz .LBB70_95
; %bb.94:
	v_add_f32_e64 v21, |v5|, |v5|
	s_delay_alu instid0(VALU_DEP_1) | instskip(SKIP_1) | instid1(VALU_DEP_2)
	v_mul_f32_e32 v29, 0x3fb8aa3b, v21
	v_cmp_ngt_f32_e32 vcc_lo, 0xc2ce8ed0, v21
	v_rndne_f32_e32 v30, v29
	v_fma_f32 v31, 0x3fb8aa3b, v21, -v29
	s_delay_alu instid0(VALU_DEP_2) | instskip(NEXT) | instid1(VALU_DEP_2)
	v_sub_f32_e32 v29, v29, v30
	v_fmamk_f32 v31, v21, 0x32a5705f, v31
	v_cvt_i32_f32_e32 v30, v30
	s_delay_alu instid0(VALU_DEP_2) | instskip(NEXT) | instid1(VALU_DEP_1)
	v_add_f32_e32 v29, v29, v31
	v_exp_f32_e32 v29, v29
	v_nop
	s_delay_alu instid0(TRANS32_DEP_1) | instskip(NEXT) | instid1(VALU_DEP_1)
	v_ldexp_f32 v29, v29, v30
	v_cndmask_b32_e32 v29, 0, v29, vcc_lo
	v_cmp_nlt_f32_e32 vcc_lo, 0x42b17218, v21
	s_delay_alu instid0(VALU_DEP_2) | instskip(NEXT) | instid1(VALU_DEP_1)
	v_cndmask_b32_e32 v21, 0x7f800000, v29, vcc_lo
	v_add_f32_e32 v21, 1.0, v21
	s_delay_alu instid0(VALU_DEP_1) | instskip(SKIP_1) | instid1(TRANS32_DEP_1)
	v_rcp_f32_e32 v21, v21
	v_nop
	v_fma_f32 v21, v21, -2.0, 1.0
.LBB70_95:
	s_and_not1_saveexec_b32 s4, s4
	s_cbranch_execz .LBB70_97
; %bb.96:
	v_mul_f32_e32 v21, v5, v5
	s_mov_b32 s5, 0xbbbac73d
	s_delay_alu instid0(VALU_DEP_1) | instid1(SALU_CYCLE_1)
	v_fmaak_f32 v29, s5, v21, 0x3ca908c9
	s_delay_alu instid0(VALU_DEP_1) | instskip(NEXT) | instid1(VALU_DEP_1)
	v_fmaak_f32 v29, v21, v29, 0xbd5c1c4e
	v_fmaak_f32 v29, v21, v29, 0x3e088382
	s_delay_alu instid0(VALU_DEP_1) | instskip(NEXT) | instid1(VALU_DEP_1)
	v_fmaak_f32 v29, v21, v29, 0xbeaaaa99
	v_mul_f32_e64 v29, |v5|, v29
	s_delay_alu instid0(VALU_DEP_1)
	v_fma_f32 v21, v21, v29, |v5|
.LBB70_97:
	s_or_b32 exec_lo, exec_lo, s4
	s_delay_alu instid0(VALU_DEP_1) | instskip(NEXT) | instid1(VALU_DEP_1)
	v_bfi_b32 v5, 0x7fffffff, v21, v5
	v_mul_f32_e32 v5, s15, v5
	s_and_saveexec_b32 s4, s3
	s_cbranch_execz .LBB70_102
; %bb.98:
	v_cmp_ne_u32_e32 vcc_lo, 1, v26
	s_cbranch_vccnz .LBB70_100
; %bb.99:
	v_dual_ashrrev_i32 v21, 31, v20 :: v_dual_mov_b32 v137, 0
	s_delay_alu instid0(VALU_DEP_1) | instskip(NEXT) | instid1(VALU_DEP_1)
	v_add_nc_u64_e32 v[20:21], v[20:21], v[136:137]
	v_lshl_add_u64 v[20:21], v[20:21], 1, s[36:37]
	global_load_u16 v20, v[20:21], off offset:64
	s_wait_loadcnt 0x0
	v_cvt_f32_f16_e32 v20, v20
	s_delay_alu instid0(VALU_DEP_1)
	v_mul_f32_e32 v20, v104, v20
	s_branch .LBB70_101
.LBB70_100:
	v_mov_b32_e32 v20, 0
.LBB70_101:
	s_delay_alu instid0(VALU_DEP_1) | instskip(SKIP_1) | instid1(VALU_DEP_2)
	v_add_f32_e32 v5, v5, v20
	v_max_num_f32_e32 v17, v17, v17
	v_add_f32_e32 v20, 0x40051340, v5
	s_delay_alu instid0(VALU_DEP_1)
	v_max_num_f32_e32 v17, v17, v20
.LBB70_102:
	s_or_b32 exec_lo, exec_lo, s4
	ds_bpermute_b32 v20, v27, v17
	v_cmp_ngt_f32_e64 s4, 0x3f200000, |v2|
                                        ; implicit-def: $vgpr21
	s_wait_dscnt 0x0
	v_dual_max_num_f32 v17, v17, v17 :: v_dual_max_num_f32 v20, v20, v20
	s_delay_alu instid0(VALU_DEP_1) | instskip(SKIP_3) | instid1(VALU_DEP_1)
	v_max_num_f32_e32 v17, v17, v20
	ds_bpermute_b32 v20, v28, v17
	s_wait_dscnt 0x0
	v_max_num_f32_e32 v20, v20, v20
	v_max_num_f32_e32 v17, v17, v20
	ds_bpermute_b32 v20, v25, v17
	s_wait_dscnt 0x0
	v_max_num_f32_e32 v20, v20, v20
	s_delay_alu instid0(VALU_DEP_1) | instskip(SKIP_3) | instid1(VALU_DEP_1)
	v_max_num_f32_e32 v17, v17, v20
	ds_bpermute_b32 v20, v24, v17
	s_wait_dscnt 0x0
	v_max_num_f32_e32 v20, v20, v20
	v_max_num_f32_e32 v17, v17, v20
	ds_bpermute_b32 v20, v23, v17
	s_and_saveexec_b32 s5, s4
	s_delay_alu instid0(SALU_CYCLE_1)
	s_xor_b32 s4, exec_lo, s5
	s_cbranch_execz .LBB70_104
; %bb.103:
	v_add_f32_e64 v21, |v2|, |v2|
	s_delay_alu instid0(VALU_DEP_1) | instskip(SKIP_1) | instid1(VALU_DEP_2)
	v_mul_f32_e32 v29, 0x3fb8aa3b, v21
	v_cmp_ngt_f32_e32 vcc_lo, 0xc2ce8ed0, v21
	v_rndne_f32_e32 v30, v29
	v_fma_f32 v31, 0x3fb8aa3b, v21, -v29
	s_delay_alu instid0(VALU_DEP_2) | instskip(NEXT) | instid1(VALU_DEP_2)
	v_sub_f32_e32 v29, v29, v30
	v_fmamk_f32 v31, v21, 0x32a5705f, v31
	v_cvt_i32_f32_e32 v30, v30
	s_delay_alu instid0(VALU_DEP_2) | instskip(NEXT) | instid1(VALU_DEP_1)
	v_add_f32_e32 v29, v29, v31
	v_exp_f32_e32 v29, v29
	v_nop
	s_delay_alu instid0(TRANS32_DEP_1) | instskip(NEXT) | instid1(VALU_DEP_1)
	v_ldexp_f32 v29, v29, v30
	v_cndmask_b32_e32 v29, 0, v29, vcc_lo
	v_cmp_nlt_f32_e32 vcc_lo, 0x42b17218, v21
	s_delay_alu instid0(VALU_DEP_2) | instskip(NEXT) | instid1(VALU_DEP_1)
	v_cndmask_b32_e32 v21, 0x7f800000, v29, vcc_lo
	v_add_f32_e32 v21, 1.0, v21
	s_delay_alu instid0(VALU_DEP_1) | instskip(SKIP_1) | instid1(TRANS32_DEP_1)
	v_rcp_f32_e32 v21, v21
	v_nop
	v_fma_f32 v21, v21, -2.0, 1.0
.LBB70_104:
	s_and_not1_saveexec_b32 s4, s4
	s_cbranch_execz .LBB70_106
; %bb.105:
	v_mul_f32_e32 v21, v2, v2
	s_mov_b32 s5, 0xbbbac73d
	s_delay_alu instid0(VALU_DEP_1) | instid1(SALU_CYCLE_1)
	v_fmaak_f32 v29, s5, v21, 0x3ca908c9
	s_delay_alu instid0(VALU_DEP_1) | instskip(NEXT) | instid1(VALU_DEP_1)
	v_fmaak_f32 v29, v21, v29, 0xbd5c1c4e
	v_fmaak_f32 v29, v21, v29, 0x3e088382
	s_delay_alu instid0(VALU_DEP_1) | instskip(NEXT) | instid1(VALU_DEP_1)
	v_fmaak_f32 v29, v21, v29, 0xbeaaaa99
	v_mul_f32_e64 v29, |v2|, v29
	s_delay_alu instid0(VALU_DEP_1)
	v_fma_f32 v21, v21, v29, |v2|
.LBB70_106:
	s_or_b32 exec_lo, exec_lo, s4
	v_mov_b32_e32 v73, 0
	s_delay_alu instid0(VALU_DEP_2) | instskip(SKIP_1) | instid1(VALU_DEP_3)
	v_bfi_b32 v2, 0x7fffffff, v21, v2
	v_max_num_f32_e32 v17, v17, v17
	v_mul_u64_e32 v[30:31], s[8:9], v[72:73]
	s_wait_dscnt 0x0
	s_delay_alu instid0(VALU_DEP_3) | instskip(NEXT) | instid1(VALU_DEP_1)
	v_dual_mul_f32 v2, s15, v2 :: v_dual_max_num_f32 v30, v20, v20
	v_dual_max_num_f32 v17, v17, v30 :: v_dual_add_nc_u32 v29, v72, v31
	s_delay_alu instid0(VALU_DEP_1) | instskip(NEXT) | instid1(VALU_DEP_1)
	v_lshrrev_b32_e32 v29, s25, v29
	v_mul_lo_u32 v29, v29, s26
	s_delay_alu instid0(VALU_DEP_1) | instskip(NEXT) | instid1(VALU_DEP_1)
	v_sub_nc_u32_e32 v29, v72, v29
	v_mad_u32 v20, v29, s14, s30
	s_and_saveexec_b32 s4, s2
	s_cbranch_execz .LBB70_110
; %bb.107:
	v_cmp_ne_u32_e32 vcc_lo, 1, v26
	s_cbranch_vccnz .LBB70_109
; %bb.108:
	s_delay_alu instid0(VALU_DEP_2) | instskip(SKIP_3) | instid1(VALU_DEP_1)
	v_add_nc_u32_e32 v21, v20, v136
	global_load_u16 v21, v21, s[36:37] scale_offset
	s_wait_loadcnt 0x0
	v_cvt_f32_f16_e32 v21, v21
	v_mul_f32_e32 v73, v104, v21
.LBB70_109:
	s_delay_alu instid0(VALU_DEP_1) | instskip(SKIP_1) | instid1(VALU_DEP_2)
	v_add_f32_e32 v2, v2, v73
	v_max_num_f32_e32 v18, v18, v18
	v_add_f32_e32 v21, 0x40051340, v2
	s_delay_alu instid0(VALU_DEP_1)
	v_max_num_f32_e32 v18, v18, v21
.LBB70_110:
	s_or_b32 exec_lo, exec_lo, s4
	v_cmp_ngt_f32_e64 s4, 0x3f200000, |v6|
                                        ; implicit-def: $vgpr21
	s_and_saveexec_b32 s5, s4
	s_delay_alu instid0(SALU_CYCLE_1)
	s_xor_b32 s4, exec_lo, s5
	s_cbranch_execz .LBB70_112
; %bb.111:
	v_add_f32_e64 v21, |v6|, |v6|
	s_delay_alu instid0(VALU_DEP_1) | instskip(SKIP_1) | instid1(VALU_DEP_2)
	v_mul_f32_e32 v29, 0x3fb8aa3b, v21
	v_cmp_ngt_f32_e32 vcc_lo, 0xc2ce8ed0, v21
	v_rndne_f32_e32 v30, v29
	v_fma_f32 v31, 0x3fb8aa3b, v21, -v29
	s_delay_alu instid0(VALU_DEP_2) | instskip(NEXT) | instid1(VALU_DEP_2)
	v_sub_f32_e32 v29, v29, v30
	v_fmamk_f32 v31, v21, 0x32a5705f, v31
	v_cvt_i32_f32_e32 v30, v30
	s_delay_alu instid0(VALU_DEP_2) | instskip(NEXT) | instid1(VALU_DEP_1)
	v_add_f32_e32 v29, v29, v31
	v_exp_f32_e32 v29, v29
	v_nop
	s_delay_alu instid0(TRANS32_DEP_1) | instskip(NEXT) | instid1(VALU_DEP_1)
	v_ldexp_f32 v29, v29, v30
	v_cndmask_b32_e32 v29, 0, v29, vcc_lo
	v_cmp_nlt_f32_e32 vcc_lo, 0x42b17218, v21
	s_delay_alu instid0(VALU_DEP_2) | instskip(NEXT) | instid1(VALU_DEP_1)
	v_cndmask_b32_e32 v21, 0x7f800000, v29, vcc_lo
	v_add_f32_e32 v21, 1.0, v21
	s_delay_alu instid0(VALU_DEP_1) | instskip(SKIP_1) | instid1(TRANS32_DEP_1)
	v_rcp_f32_e32 v21, v21
	v_nop
	v_fma_f32 v21, v21, -2.0, 1.0
.LBB70_112:
	s_and_not1_saveexec_b32 s4, s4
	s_cbranch_execz .LBB70_114
; %bb.113:
	v_mul_f32_e32 v21, v6, v6
	s_mov_b32 s5, 0xbbbac73d
	s_delay_alu instid0(VALU_DEP_1) | instid1(SALU_CYCLE_1)
	v_fmaak_f32 v29, s5, v21, 0x3ca908c9
	s_delay_alu instid0(VALU_DEP_1) | instskip(NEXT) | instid1(VALU_DEP_1)
	v_fmaak_f32 v29, v21, v29, 0xbd5c1c4e
	v_fmaak_f32 v29, v21, v29, 0x3e088382
	s_delay_alu instid0(VALU_DEP_1) | instskip(NEXT) | instid1(VALU_DEP_1)
	v_fmaak_f32 v29, v21, v29, 0xbeaaaa99
	v_mul_f32_e64 v29, |v6|, v29
	s_delay_alu instid0(VALU_DEP_1)
	v_fma_f32 v21, v21, v29, |v6|
.LBB70_114:
	s_or_b32 exec_lo, exec_lo, s4
	s_delay_alu instid0(VALU_DEP_1) | instskip(NEXT) | instid1(VALU_DEP_1)
	v_bfi_b32 v6, 0x7fffffff, v21, v6
	v_mul_f32_e32 v6, s15, v6
	s_and_saveexec_b32 s4, s3
	s_cbranch_execz .LBB70_119
; %bb.115:
	v_cmp_ne_u32_e32 vcc_lo, 1, v26
	s_cbranch_vccnz .LBB70_117
; %bb.116:
	v_dual_ashrrev_i32 v21, 31, v20 :: v_dual_mov_b32 v137, 0
	s_delay_alu instid0(VALU_DEP_1) | instskip(NEXT) | instid1(VALU_DEP_1)
	v_add_nc_u64_e32 v[20:21], v[20:21], v[136:137]
	v_lshl_add_u64 v[20:21], v[20:21], 1, s[36:37]
	global_load_u16 v20, v[20:21], off offset:64
	s_wait_loadcnt 0x0
	v_cvt_f32_f16_e32 v20, v20
	s_delay_alu instid0(VALU_DEP_1)
	v_mul_f32_e32 v20, v104, v20
	s_branch .LBB70_118
.LBB70_117:
	v_mov_b32_e32 v20, 0
.LBB70_118:
	s_delay_alu instid0(VALU_DEP_1) | instskip(SKIP_1) | instid1(VALU_DEP_2)
	v_add_f32_e32 v6, v6, v20
	v_max_num_f32_e32 v18, v18, v18
	v_add_f32_e32 v20, 0x40051340, v6
	s_delay_alu instid0(VALU_DEP_1)
	v_max_num_f32_e32 v18, v18, v20
.LBB70_119:
	s_or_b32 exec_lo, exec_lo, s4
	ds_bpermute_b32 v20, v27, v18
	v_cmp_ngt_f32_e64 s4, 0x3f200000, |v3|
                                        ; implicit-def: $vgpr21
	s_wait_dscnt 0x0
	v_dual_max_num_f32 v18, v18, v18 :: v_dual_max_num_f32 v20, v20, v20
	s_delay_alu instid0(VALU_DEP_1) | instskip(SKIP_3) | instid1(VALU_DEP_1)
	v_max_num_f32_e32 v18, v18, v20
	ds_bpermute_b32 v20, v28, v18
	s_wait_dscnt 0x0
	v_max_num_f32_e32 v20, v20, v20
	v_max_num_f32_e32 v18, v18, v20
	ds_bpermute_b32 v20, v25, v18
	s_wait_dscnt 0x0
	v_max_num_f32_e32 v20, v20, v20
	s_delay_alu instid0(VALU_DEP_1) | instskip(SKIP_3) | instid1(VALU_DEP_1)
	v_max_num_f32_e32 v18, v18, v20
	ds_bpermute_b32 v20, v24, v18
	s_wait_dscnt 0x0
	v_max_num_f32_e32 v20, v20, v20
	v_max_num_f32_e32 v18, v18, v20
	ds_bpermute_b32 v20, v23, v18
	s_and_saveexec_b32 s5, s4
	s_delay_alu instid0(SALU_CYCLE_1)
	s_xor_b32 s4, exec_lo, s5
	s_cbranch_execz .LBB70_121
; %bb.120:
	v_add_f32_e64 v21, |v3|, |v3|
	s_delay_alu instid0(VALU_DEP_1) | instskip(SKIP_1) | instid1(VALU_DEP_2)
	v_mul_f32_e32 v29, 0x3fb8aa3b, v21
	v_cmp_ngt_f32_e32 vcc_lo, 0xc2ce8ed0, v21
	v_rndne_f32_e32 v30, v29
	v_fma_f32 v31, 0x3fb8aa3b, v21, -v29
	s_delay_alu instid0(VALU_DEP_2) | instskip(NEXT) | instid1(VALU_DEP_2)
	v_sub_f32_e32 v29, v29, v30
	v_fmamk_f32 v31, v21, 0x32a5705f, v31
	v_cvt_i32_f32_e32 v30, v30
	s_delay_alu instid0(VALU_DEP_2) | instskip(NEXT) | instid1(VALU_DEP_1)
	v_add_f32_e32 v29, v29, v31
	v_exp_f32_e32 v29, v29
	v_nop
	s_delay_alu instid0(TRANS32_DEP_1) | instskip(NEXT) | instid1(VALU_DEP_1)
	v_ldexp_f32 v29, v29, v30
	v_cndmask_b32_e32 v29, 0, v29, vcc_lo
	v_cmp_nlt_f32_e32 vcc_lo, 0x42b17218, v21
	s_delay_alu instid0(VALU_DEP_2) | instskip(NEXT) | instid1(VALU_DEP_1)
	v_cndmask_b32_e32 v21, 0x7f800000, v29, vcc_lo
	v_add_f32_e32 v21, 1.0, v21
	s_delay_alu instid0(VALU_DEP_1) | instskip(SKIP_1) | instid1(TRANS32_DEP_1)
	v_rcp_f32_e32 v21, v21
	v_nop
	v_fma_f32 v21, v21, -2.0, 1.0
.LBB70_121:
	s_and_not1_saveexec_b32 s4, s4
	s_cbranch_execz .LBB70_123
; %bb.122:
	v_mul_f32_e32 v21, v3, v3
	s_mov_b32 s5, 0xbbbac73d
	s_delay_alu instid0(VALU_DEP_1) | instid1(SALU_CYCLE_1)
	v_fmaak_f32 v29, s5, v21, 0x3ca908c9
	s_delay_alu instid0(VALU_DEP_1) | instskip(NEXT) | instid1(VALU_DEP_1)
	v_fmaak_f32 v29, v21, v29, 0xbd5c1c4e
	v_fmaak_f32 v29, v21, v29, 0x3e088382
	s_delay_alu instid0(VALU_DEP_1) | instskip(NEXT) | instid1(VALU_DEP_1)
	v_fmaak_f32 v29, v21, v29, 0xbeaaaa99
	v_mul_f32_e64 v29, |v3|, v29
	s_delay_alu instid0(VALU_DEP_1)
	v_fma_f32 v21, v21, v29, |v3|
.LBB70_123:
	s_or_b32 exec_lo, exec_lo, s4
	v_mov_b32_e32 v71, 0
	s_delay_alu instid0(VALU_DEP_2) | instskip(SKIP_1) | instid1(VALU_DEP_3)
	v_bfi_b32 v3, 0x7fffffff, v21, v3
	v_max_num_f32_e32 v18, v18, v18
	v_mul_u64_e32 v[30:31], s[8:9], v[70:71]
	s_wait_dscnt 0x0
	s_delay_alu instid0(VALU_DEP_3) | instskip(NEXT) | instid1(VALU_DEP_1)
	v_dual_max_num_f32 v30, v20, v20 :: v_dual_mul_f32 v3, s15, v3
	v_max_num_f32_e32 v18, v18, v30
	s_delay_alu instid0(VALU_DEP_3) | instskip(NEXT) | instid1(VALU_DEP_1)
	v_add_nc_u32_e32 v29, v70, v31
	v_lshrrev_b32_e32 v29, s25, v29
	s_delay_alu instid0(VALU_DEP_1) | instskip(NEXT) | instid1(VALU_DEP_1)
	v_mul_lo_u32 v29, v29, s26
	v_sub_nc_u32_e32 v29, v70, v29
	s_delay_alu instid0(VALU_DEP_1)
	v_mad_u32 v20, v29, s14, s30
	s_and_saveexec_b32 s4, s2
	s_cbranch_execz .LBB70_127
; %bb.124:
	v_cmp_ne_u32_e32 vcc_lo, 1, v26
	s_cbranch_vccnz .LBB70_126
; %bb.125:
	s_delay_alu instid0(VALU_DEP_2) | instskip(SKIP_3) | instid1(VALU_DEP_1)
	v_add_nc_u32_e32 v21, v20, v136
	global_load_u16 v21, v21, s[36:37] scale_offset
	s_wait_loadcnt 0x0
	v_cvt_f32_f16_e32 v21, v21
	v_mul_f32_e32 v71, v104, v21
.LBB70_126:
	s_delay_alu instid0(VALU_DEP_1) | instskip(SKIP_1) | instid1(VALU_DEP_2)
	v_add_f32_e32 v3, v3, v71
	v_max_num_f32_e32 v19, v19, v19
	v_add_f32_e32 v21, 0x40051340, v3
	s_delay_alu instid0(VALU_DEP_1)
	v_max_num_f32_e32 v19, v19, v21
.LBB70_127:
	s_or_b32 exec_lo, exec_lo, s4
	v_cmp_ngt_f32_e64 s2, 0x3f200000, |v7|
                                        ; implicit-def: $vgpr21
	s_and_saveexec_b32 s4, s2
	s_delay_alu instid0(SALU_CYCLE_1)
	s_xor_b32 s2, exec_lo, s4
	s_cbranch_execz .LBB70_129
; %bb.128:
	v_add_f32_e64 v21, |v7|, |v7|
	s_delay_alu instid0(VALU_DEP_1) | instskip(SKIP_1) | instid1(VALU_DEP_2)
	v_mul_f32_e32 v29, 0x3fb8aa3b, v21
	v_cmp_ngt_f32_e32 vcc_lo, 0xc2ce8ed0, v21
	v_rndne_f32_e32 v30, v29
	v_fma_f32 v31, 0x3fb8aa3b, v21, -v29
	s_delay_alu instid0(VALU_DEP_2) | instskip(NEXT) | instid1(VALU_DEP_2)
	v_sub_f32_e32 v29, v29, v30
	v_fmamk_f32 v31, v21, 0x32a5705f, v31
	v_cvt_i32_f32_e32 v30, v30
	s_delay_alu instid0(VALU_DEP_2) | instskip(NEXT) | instid1(VALU_DEP_1)
	v_add_f32_e32 v29, v29, v31
	v_exp_f32_e32 v29, v29
	v_nop
	s_delay_alu instid0(TRANS32_DEP_1) | instskip(NEXT) | instid1(VALU_DEP_1)
	v_ldexp_f32 v29, v29, v30
	v_cndmask_b32_e32 v29, 0, v29, vcc_lo
	v_cmp_nlt_f32_e32 vcc_lo, 0x42b17218, v21
	s_delay_alu instid0(VALU_DEP_2) | instskip(NEXT) | instid1(VALU_DEP_1)
	v_cndmask_b32_e32 v21, 0x7f800000, v29, vcc_lo
	v_add_f32_e32 v21, 1.0, v21
	s_delay_alu instid0(VALU_DEP_1) | instskip(SKIP_1) | instid1(TRANS32_DEP_1)
	v_rcp_f32_e32 v21, v21
	v_nop
	v_fma_f32 v21, v21, -2.0, 1.0
.LBB70_129:
	s_and_not1_saveexec_b32 s2, s2
	s_cbranch_execz .LBB70_131
; %bb.130:
	v_mul_f32_e32 v21, v7, v7
	s_mov_b32 s4, 0xbbbac73d
	s_delay_alu instid0(VALU_DEP_1) | instid1(SALU_CYCLE_1)
	v_fmaak_f32 v29, s4, v21, 0x3ca908c9
	s_delay_alu instid0(VALU_DEP_1) | instskip(NEXT) | instid1(VALU_DEP_1)
	v_fmaak_f32 v29, v21, v29, 0xbd5c1c4e
	v_fmaak_f32 v29, v21, v29, 0x3e088382
	s_delay_alu instid0(VALU_DEP_1) | instskip(NEXT) | instid1(VALU_DEP_1)
	v_fmaak_f32 v29, v21, v29, 0xbeaaaa99
	v_mul_f32_e64 v29, |v7|, v29
	s_delay_alu instid0(VALU_DEP_1)
	v_fma_f32 v21, v21, v29, |v7|
.LBB70_131:
	s_or_b32 exec_lo, exec_lo, s2
	s_delay_alu instid0(VALU_DEP_1) | instskip(NEXT) | instid1(VALU_DEP_1)
	v_bfi_b32 v7, 0x7fffffff, v21, v7
	v_mul_f32_e32 v7, s15, v7
	s_and_saveexec_b32 s2, s3
	s_cbranch_execz .LBB70_136
; %bb.132:
	v_cmp_ne_u32_e32 vcc_lo, 1, v26
	s_cbranch_vccnz .LBB70_134
; %bb.133:
	v_dual_ashrrev_i32 v21, 31, v20 :: v_dual_mov_b32 v137, 0
	s_delay_alu instid0(VALU_DEP_1) | instskip(NEXT) | instid1(VALU_DEP_1)
	v_add_nc_u64_e32 v[20:21], v[20:21], v[136:137]
	v_lshl_add_u64 v[20:21], v[20:21], 1, s[36:37]
	global_load_u16 v20, v[20:21], off offset:64
	s_wait_loadcnt 0x0
	v_cvt_f32_f16_e32 v20, v20
	s_delay_alu instid0(VALU_DEP_1)
	v_mul_f32_e32 v20, v104, v20
	s_branch .LBB70_135
.LBB70_134:
	v_mov_b32_e32 v20, 0
.LBB70_135:
	s_delay_alu instid0(VALU_DEP_1) | instskip(SKIP_1) | instid1(VALU_DEP_2)
	v_add_f32_e32 v7, v7, v20
	v_max_num_f32_e32 v19, v19, v19
	v_add_f32_e32 v20, 0x40051340, v7
	s_delay_alu instid0(VALU_DEP_1)
	v_max_num_f32_e32 v19, v19, v20
.LBB70_136:
	s_or_b32 exec_lo, exec_lo, s2
	ds_bpermute_b32 v20, v27, v19
	v_dual_max_num_f32 v19, v19, v19 :: v_dual_sub_f32 v26, v0, v16
	v_dual_sub_f32 v29, v5, v17 :: v_dual_sub_f32 v27, v4, v16
	v_sub_f32_e32 v2, v2, v18
	v_mbcnt_lo_u32_b32 v5, -1, 0
	s_mov_b32 s4, 0
	v_cmp_gt_u32_e64 s3, s39, v22
	s_mov_b32 s6, s4
	s_mov_b32 s5, s4
	s_delay_alu instid0(SALU_CYCLE_1)
	v_dual_mov_b32 v134, s6 :: v_dual_mov_b32 v133, s5
	v_mov_b32_e32 v132, s4
	v_cmp_ngt_f32_e64 s4, 0xc2ce8ed0, v26
	v_cmp_nlt_f32_e64 s10, 0x42b17218, v26
	v_dual_mul_f32 v48, 0x3fb8aa3b, v29 :: v_dual_mul_f32 v49, 0x3fb8aa3b, v2
	s_ashr_i32 s29, s28, 31
	v_cmp_ngt_f32_e64 s7, 0xc2ce8ed0, v29
	s_wait_dscnt 0x0
	v_max_num_f32_e32 v20, v20, v20
	v_fma_f32 v57, 0x3fb8aa3b, v29, -v48
	v_rndne_f32_e32 v58, v48
	v_fma_f32 v59, 0x3fb8aa3b, v2, -v49
	v_rndne_f32_e32 v60, v49
	v_max_num_f32_e32 v19, v19, v20
	s_mul_u64 s[8:9], s[30:31], s[28:29]
	v_cmp_nlt_f32_e64 s13, 0x42b17218, v29
	s_lshl_b64 s[24:25], s[8:9], 2
	v_cmp_ngt_f32_e64 s8, 0xc2ce8ed0, v2
	ds_bpermute_b32 v20, v28, v19
	v_sub_f32_e32 v28, v1, v17
	v_mul_f32_e32 v30, 0x3fb8aa3b, v27
	v_cmp_nlt_f32_e64 s14, 0x42b17218, v2
	v_fmac_f32_e32 v57, 0x32a5705f, v29
	v_cmp_ngt_f32_e64 s5, 0xc2ce8ed0, v27
	v_mul_f32_e32 v31, 0x3fb8aa3b, v28
	v_rndne_f32_e32 v54, v30
	v_fma_f32 v53, 0x3fb8aa3b, v27, -v30
	v_cmp_ngt_f32_e64 s6, 0xc2ce8ed0, v28
	v_cmp_nlt_f32_e64 s12, 0x42b17218, v28
	v_fma_f32 v55, 0x3fb8aa3b, v28, -v31
	v_rndne_f32_e32 v56, v31
	v_fmac_f32_e32 v53, 0x32a5705f, v27
	v_cmp_nlt_f32_e64 s11, 0x42b17218, v27
	v_cvt_i32_f32_e32 v27, v54
	v_dual_ashrrev_i32 v69, 31, v68 :: v_dual_mov_b32 v139, 0
	s_add_nc_u64 s[24:25], s[18:19], s[24:25]
	v_cmp_gt_i32_e32 vcc_lo, s39, v79
	s_wait_dscnt 0x0
	v_dual_max_num_f32 v0, v20, v20 :: v_dual_sub_f32 v6, v6, v18
	v_add_nc_u32_e32 v1, 0x8400, v157
	v_lshlrev_b64_e32 v[20:21], 2, v[68:69]
	v_cmp_gt_u32_e64 s2, s39, v136
	s_delay_alu instid0(VALU_DEP_4)
	v_max_num_f32_e32 v4, v19, v0
	v_mul_f32_e32 v50, 0x3fb8aa3b, v6
	v_lshl_add_u32 v52, v22, 3, v1
	v_cmp_ngt_f32_e64 s9, 0xc2ce8ed0, v6
	v_cmp_nlt_f32_e64 s15, 0x42b17218, v6
	ds_bpermute_b32 v19, v25, v4
	v_dual_add_nc_u32 v51, v1, v158 :: v_dual_lshlrev_b32 v1, 20, v5
	v_mul_f32_e32 v25, 0x3fb8aa3b, v26
	v_fma_f32 v61, 0x3fb8aa3b, v6, -v50
	v_rndne_f32_e32 v62, v50
	v_fmac_f32_e32 v55, 0x32a5705f, v28
	v_sub_f32_e32 v28, v31, v56
	v_fma_f32 v22, 0x3fb8aa3b, v26, -v25
	v_cvt_i32_f32_e32 v31, v58
	v_dual_mov_b32 v0, 0 :: v_dual_lshlrev_b32 v138, 2, v148
	s_wait_dscnt 0x0
	s_barrier_signal -1
	s_barrier_wait -1
	s_delay_alu instid0(VALU_DEP_1) | instskip(SKIP_4) | instid1(VALU_DEP_1)
	v_add_nc_u64_e32 v[0:1], src_flat_scratch_base_lo, v[0:1]
	s_clause 0x1
	scratch_store_b32 off, v139, off
	scratch_store_b96 off, v[132:134], off offset:4
	v_dual_sub_f32 v13, v13, v17 :: v_dual_max_num_f32 v5, v19, v19
	v_max_num_f32_e32 v19, v4, v5
	ds_bpermute_b32 v4, v24, v19
	v_rndne_f32_e32 v24, v25
	v_fmac_f32_e32 v22, 0x32a5705f, v26
	v_sub_f32_e32 v26, v30, v54
	v_sub_f32_e32 v29, v48, v58
	v_cvt_i32_f32_e32 v30, v56
	v_sub_f32_e32 v25, v25, v24
	v_cvt_i32_f32_e32 v24, v24
	v_cvt_i32_f32_e32 v48, v60
	s_delay_alu instid0(VALU_DEP_3)
	v_dual_add_f32 v22, v25, v22 :: v_dual_add_f32 v25, v26, v53
	v_fmac_f32_e32 v61, 0x32a5705f, v6
	v_sub_f32_e32 v6, v50, v62
	v_dual_fmac_f32 v59, 0x32a5705f, v2 :: v_dual_add_f32 v26, v28, v55
	v_sub_f32_e32 v2, v49, v60
	v_add_f32_e32 v28, v29, v57
	v_exp_f32_e32 v25, v25
	s_wait_dscnt 0x0
	v_max_num_f32_e32 v63, v4, v4
	v_exp_f32_e32 v26, v26
	v_add_f32_e32 v2, v2, v59
	v_exp_f32_e32 v22, v22
	v_exp_f32_e32 v28, v28
	v_max_num_f32_e32 v19, v19, v63
	v_cvt_i32_f32_e32 v49, v62
	v_add_nc_u64_e32 v[4:5], s[24:25], v[20:21]
	v_exp_f32_e32 v2, v2
	v_add_nc_u32_e32 v53, 24, v79
	ds_bpermute_b32 v23, v23, v19
	v_add_f32_e32 v6, v6, v61
	v_ldexp_f32 v22, v22, v24
	v_ldexp_f32 v24, v26, v30
	v_add_nc_u64_e32 v[4:5], v[4:5], v[138:139]
	v_ldexp_f32 v2, v2, v48
	v_dual_sub_f32 v50, v12, v16 :: v_dual_sub_f32 v12, v14, v18
	s_delay_alu instid0(VALU_DEP_4) | instskip(NEXT) | instid1(VALU_DEP_3)
	v_dual_cndmask_b32 v22, 0, v22, s4 :: v_dual_cndmask_b32 v24, 0, v24, s6
	v_cndmask_b32_e64 v2, 0, v2, s8
	s_delay_alu instid0(VALU_DEP_3) | instskip(SKIP_1) | instid1(VALU_DEP_4)
	v_mul_f32_e32 v14, 0x3fb8aa3b, v50
	v_lshl_add_u32 v174, v53, 9, v138
	v_cndmask_b32_e64 v22, 0x7f800000, v22, s10
	v_cndmask_b32_e64 v24, 0x7f800000, v24, s12
	;; [unrolled: 1-line block ×3, first 2 shown]
	v_cmp_nlt_f32_e64 s8, 0x42b17218, v50
	s_wait_dscnt 0x0
	s_delay_alu instid0(VALU_DEP_3) | instskip(SKIP_1) | instid1(VALU_DEP_1)
	v_dual_cndmask_b32 v48, 0, v24, s2 :: v_dual_max_num_f32 v23, v23, v23
	v_exp_f32_e32 v6, v6
	v_max_num_f32_e32 v19, v19, v23
	v_ldexp_f32 v23, v25, v27
	v_ldexp_f32 v25, v28, v31
	s_delay_alu instid0(TRANS32_DEP_1) | instskip(NEXT) | instid1(VALU_DEP_4)
	v_ldexp_f32 v6, v6, v49
	v_sub_f32_e32 v7, v7, v19
	s_delay_alu instid0(VALU_DEP_3) | instskip(NEXT) | instid1(VALU_DEP_3)
	v_dual_sub_f32 v3, v3, v19 :: v_dual_cndmask_b32 v25, 0, v25, s7
	v_dual_cndmask_b32 v6, 0, v6, s9 :: v_dual_cndmask_b32 v23, 0, v23, s5
	s_delay_alu instid0(VALU_DEP_3)
	v_mul_f32_e32 v27, 0x3fb8aa3b, v7
	v_cmp_ngt_f32_e64 s5, 0xc2ce8ed0, v7
	v_cmp_nlt_f32_e64 s7, 0x42b17218, v7
	v_cmp_ngt_f32_e64 s4, 0xc2ce8ed0, v3
	v_cndmask_b32_e64 v23, 0x7f800000, v23, s11
	v_fma_f32 v30, 0x3fb8aa3b, v7, -v27
	v_rndne_f32_e32 v31, v27
	v_cmp_nlt_f32_e64 s6, 0x42b17218, v3
	v_cndmask_b32_e64 v25, 0x7f800000, v25, s13
	v_cndmask_b32_e64 v6, 0x7f800000, v6, s15
	v_fmac_f32_e32 v30, 0x32a5705f, v7
	v_sub_f32_e32 v27, v27, v31
	v_mul_f32_e32 v26, 0x3fb8aa3b, v3
	v_cndmask_b32_e64 v49, 0, v25, s3
	v_cmp_nlt_f32_e64 s9, 0x42b17218, v13
	s_delay_alu instid0(VALU_DEP_4) | instskip(NEXT) | instid1(VALU_DEP_4)
	v_add_f32_e32 v27, v27, v30
	v_fma_f32 v28, 0x3fb8aa3b, v3, -v26
	v_rndne_f32_e32 v29, v26
	s_delay_alu instid0(VALU_DEP_3) | instskip(NEXT) | instid1(VALU_DEP_2)
	v_exp_f32_e32 v27, v27
	v_fmac_f32_e32 v28, 0x32a5705f, v3
	s_delay_alu instid0(VALU_DEP_2) | instskip(NEXT) | instid1(VALU_DEP_1)
	v_sub_f32_e32 v26, v26, v29
	v_add_f32_e32 v26, v26, v28
	v_cvt_i32_f32_e32 v28, v29
	v_cvt_i32_f32_e32 v29, v31
	v_cndmask_b32_e64 v31, 0, v23, s3
	s_delay_alu instid0(VALU_DEP_2) | instskip(SKIP_1) | instid1(VALU_DEP_2)
	v_ldexp_f32 v27, v27, v29
	v_dual_cndmask_b32 v29, 0, v2, s2 :: v_dual_cndmask_b32 v2, v0, v4, vcc_lo
	v_cndmask_b32_e64 v7, 0, v27, s5
	v_exp_f32_e32 v26, v26
	v_cmp_ngt_f32_e64 s5, 0xc2ce8ed0, v50
	s_delay_alu instid0(VALU_DEP_2) | instskip(SKIP_1) | instid1(TRANS32_DEP_1)
	v_cndmask_b32_e64 v7, 0x7f800000, v7, s7
	v_cmp_ngt_f32_e64 s7, 0xc2ce8ed0, v12
	v_ldexp_f32 v26, v26, v28
	s_delay_alu instid0(VALU_DEP_3) | instskip(SKIP_1) | instid1(VALU_DEP_3)
	v_dual_cndmask_b32 v28, 0, v22, s2 :: v_dual_cndmask_b32 v27, 0, v7, s3
	v_cvt_pk_f16_f32 v22, v31, v49
	v_cndmask_b32_e64 v3, 0, v26, s4
	s_sub_co_i32 s4, s39, 32
	s_delay_alu instid0(VALU_DEP_1) | instskip(SKIP_3) | instid1(VALU_DEP_4)
	v_cndmask_b32_e64 v3, 0x7f800000, v3, s6
	v_cndmask_b32_e64 v30, 0, v6, s3
	v_cvt_pk_f16_f32 v6, v28, v48
	v_cmp_ngt_f32_e64 s6, 0xc2ce8ed0, v13
	v_dual_cndmask_b32 v26, 0, v3, s2 :: v_dual_cndmask_b32 v3, v1, v5, vcc_lo
	s_delay_alu instid0(VALU_DEP_4) | instskip(SKIP_1) | instid1(VALU_DEP_2)
	v_cvt_pk_f16_f32 v23, v30, v27
	s_lshl_b32 s2, s28, 3
	v_cvt_pk_f16_f32 v7, v29, v26
	ds_store_b64 v51, v[6:7]
	ds_store_b64 v52, v[22:23]
	flat_load_b128 v[4:7], v[2:3]
	v_dual_add_nc_u32 v22, s2, v68 :: v_dual_add_nc_u32 v51, 8, v79
	s_clause 0x1
	scratch_store_b32 off, v139, off
	scratch_store_b96 off, v[132:134], off offset:4
	v_dual_add_nc_u32 v52, 16, v79 :: v_dual_ashrrev_i32 v23, 31, v22
	v_cmp_gt_i32_e32 vcc_lo, s39, v51
	v_lshl_add_u32 v173, v51, 9, v138
	s_delay_alu instid0(VALU_DEP_3) | instskip(SKIP_2) | instid1(VALU_DEP_1)
	v_lshl_add_u32 v171, v52, 9, v138
	s_wait_xcnt 0x2
	v_lshlrev_b64_e32 v[2:3], 2, v[22:23]
	v_add_nc_u64_e32 v[24:25], s[24:25], v[2:3]
	s_delay_alu instid0(VALU_DEP_1) | instskip(NEXT) | instid1(VALU_DEP_1)
	v_add_nc_u64_e32 v[24:25], v[24:25], v[138:139]
	v_dual_add_nc_u32 v172, v157, v138 :: v_dual_cndmask_b32 v24, v0, v24, vcc_lo
	s_delay_alu instid0(VALU_DEP_2)
	v_cndmask_b32_e32 v25, v1, v25, vcc_lo
	v_cmp_gt_i32_e32 vcc_lo, s39, v52
	s_wait_loadcnt_dscnt 0x0
	ds_store_b128 v172, v[4:7]
	flat_load_b128 v[4:7], v[24:25]
	s_wait_xcnt 0x0
	v_add_nc_u32_e32 v24, s2, v22
	s_clause 0x1
	scratch_store_b32 off, v139, off
	scratch_store_b96 off, v[132:134], off offset:4
	v_ashrrev_i32_e32 v25, 31, v24
	s_delay_alu instid0(VALU_DEP_1) | instskip(SKIP_2) | instid1(SALU_CYCLE_1)
	v_lshlrev_b64_e32 v[22:23], 2, v[24:25]
	v_add_nc_u32_e32 v24, s2, v24
	s_or_b32 s2, s30, 32
	s_ashr_i32 s3, s2, 31
	s_delay_alu instid0(SALU_CYCLE_1) | instskip(NEXT) | instid1(VALU_DEP_2)
	s_mul_u64 s[10:11], s[2:3], s[28:29]
	v_add_nc_u64_e32 v[54:55], s[24:25], v[22:23]
	s_lshl_b64 s[12:13], s[10:11], 2
	v_cmp_gt_i32_e64 s2, s4, v51
	s_add_nc_u64 s[12:13], s[18:19], s[12:13]
	v_cmp_gt_i32_e64 s3, s4, v52
	v_add_nc_u64_e32 v[20:21], s[12:13], v[20:21]
	v_cmp_nlt_f32_e64 s10, 0x42b17218, v12
	v_add_nc_u64_e32 v[54:55], v[54:55], v[138:139]
	v_add_nc_u64_e32 v[2:3], s[12:13], v[2:3]
	s_delay_alu instid0(VALU_DEP_2) | instskip(SKIP_2) | instid1(VALU_DEP_4)
	v_dual_cndmask_b32 v55, v1, v55 :: v_dual_cndmask_b32 v54, v0, v54
	v_cmp_gt_i32_e32 vcc_lo, s39, v53
	v_ashrrev_i32_e32 v25, 31, v24
	v_add_nc_u64_e32 v[2:3], v[2:3], v[138:139]
	s_delay_alu instid0(VALU_DEP_2) | instskip(NEXT) | instid1(VALU_DEP_2)
	v_lshlrev_b64_e32 v[24:25], 2, v[24:25]
	v_dual_cndmask_b32 v147, v1, v3, s2 :: v_dual_cndmask_b32 v146, v0, v2, s2
	s_wait_loadcnt_dscnt 0x0
	ds_store_b128 v173, v[4:7]
	flat_load_b128 v[4:7], v[54:55]
	s_wait_xcnt 0x0
	v_add_nc_u64_e32 v[54:55], s[24:25], v[24:25]
	s_clause 0x1
	scratch_store_b32 off, v139, off
	scratch_store_b96 off, v[132:134], off offset:4
	v_add_nc_u64_e32 v[54:55], v[54:55], v[138:139]
	s_delay_alu instid0(VALU_DEP_1)
	v_dual_cndmask_b32 v55, v1, v55 :: v_dual_cndmask_b32 v54, v0, v54
	v_cmp_gt_i32_e32 vcc_lo, s4, v79
	v_cmp_gt_i32_e64 s4, s4, v53
	s_wait_loadcnt_dscnt 0x0
	ds_store_b128 v171, v[4:7]
	flat_load_b128 v[4:7], v[54:55]
	s_wait_xcnt 0x0
	v_mul_f32_e32 v55, 0x3fb8aa3b, v12
	v_fma_f32 v51, 0x3fb8aa3b, v50, -v14
	v_rndne_f32_e32 v52, v14
	v_add_nc_u32_e32 v167, 0x1000, v158
	s_delay_alu instid0(VALU_DEP_4) | instskip(SKIP_3) | instid1(VALU_DEP_4)
	v_rndne_f32_e32 v58, v55
	v_mul_f32_e32 v54, 0x3fb8aa3b, v13
	v_fma_f32 v57, 0x3fb8aa3b, v12, -v55
	v_dual_fmac_f32 v51, 0x32a5705f, v50 :: v_dual_sub_f32 v14, v14, v52
	v_sub_f32_e32 v55, v55, v58
	s_delay_alu instid0(VALU_DEP_4)
	v_fma_f32 v53, 0x3fb8aa3b, v13, -v54
	v_rndne_f32_e32 v56, v54
	v_fmac_f32_e32 v57, 0x32a5705f, v12
	v_add_nc_u32_e32 v169, 0x2000, v158
	v_cvt_i32_f32_e32 v50, v52
	v_fmac_f32_e32 v53, 0x32a5705f, v13
	v_add_nc_u64_e32 v[12:13], v[20:21], v[138:139]
	v_dual_sub_f32 v52, v54, v56 :: v_dual_add_nc_u32 v165, 0x3000, v158
	v_dual_add_f32 v14, v14, v51 :: v_dual_add_nc_u32 v137, 0x3800, v158
	v_add_nc_u64_e32 v[20:21], s[12:13], v[22:23]
	s_delay_alu instid0(VALU_DEP_4)
	v_dual_cndmask_b32 v145, v1, v13 :: v_dual_add_nc_u32 v170, 0x1800, v158
	v_cndmask_b32_e32 v144, v0, v12, vcc_lo
	v_dual_add_f32 v51, v52, v53 :: v_dual_add_nc_u32 v166, 0x800, v158
	v_add_f32_e32 v52, v55, v57
	v_exp_f32_e32 v22, v14
	v_add_nc_u64_e32 v[12:13], s[12:13], v[24:25]
	v_cvt_i32_f32_e32 v54, v56
	v_exp_f32_e32 v23, v51
	v_exp_f32_e32 v51, v52
	v_nop
	v_sub_f32_e32 v52, v15, v19
	v_add_nc_u64_e32 v[14:15], v[20:21], v[138:139]
	v_ldexp_f32 v21, v22, v50
	v_cvt_i32_f32_e32 v56, v58
	v_add_nc_u64_e32 v[2:3], v[12:13], v[138:139]
	v_mul_f32_e32 v20, 0x3fb8aa3b, v52
	v_ldexp_f32 v22, v23, v54
	v_cndmask_b32_e64 v12, 0, v21, s5
	v_ldexp_f32 v23, v51, v56
	v_cndmask_b32_e64 v143, v1, v15, s3
	v_rndne_f32_e32 v25, v20
	v_add_nc_u32_e32 v168, 0x2800, v158
	v_fma_f32 v24, 0x3fb8aa3b, v52, -v20
	v_dual_cndmask_b32 v21, 0, v23, s7 :: v_dual_cndmask_b32 v142, v0, v14, s3
	s_delay_alu instid0(VALU_DEP_4) | instskip(SKIP_2) | instid1(VALU_DEP_4)
	v_dual_sub_f32 v13, v20, v25 :: v_dual_cndmask_b32 v20, 0, v22, s6
	v_cndmask_b32_e64 v12, 0x7f800000, v12, s8
	v_cndmask_b32_e64 v140, v0, v2, s4
	;; [unrolled: 1-line block ×3, first 2 shown]
	v_cmp_ngt_f32_e32 vcc_lo, 0xc2ce8ed0, v52
	v_cndmask_b32_e64 v14, 0x7f800000, v20, s9
	v_fmac_f32_e32 v24, 0x32a5705f, v52
	v_cvt_f16_f32_e32 v2, v12
	v_cndmask_b32_e64 v141, v1, v3, s4
	v_cvt_i32_f32_e32 v0, v25
	v_cvt_f16_f32_e32 v3, v14
	v_cmp_nlt_f32_e64 s2, 0x42b17218, v52
	v_and_b32_e32 v21, 0xffff, v2
	v_add_f32_e32 v2, v29, v30
	v_add_f32_e32 v13, v13, v24
	v_and_b32_e32 v3, 0xffff, v3
	s_delay_alu instid0(VALU_DEP_4) | instskip(NEXT) | instid1(VALU_DEP_4)
	v_mul_u32_u24_e32 v52, 0x10001, v21
	v_fmac_f32_e32 v2, v10, v15
	s_delay_alu instid0(VALU_DEP_4) | instskip(NEXT) | instid1(VALU_DEP_3)
	v_exp_f32_e32 v1, v13
	v_mul_u32_u24_e32 v53, 0x10001, v3
	v_cvt_f16_f32_e32 v13, v15
	v_pk_mul_f16 v59, v43, v52
	v_pk_mul_f16 v104, v42, v52
	;; [unrolled: 1-line block ×4, first 2 shown]
	v_ldexp_f32 v20, v1, v0
	v_add_f32_e32 v0, v28, v31
	v_add_f32_e32 v1, v48, v49
	v_and_b32_e32 v13, 0xffff, v13
	v_pk_mul_f16 v106, v40, v53
	v_cndmask_b32_e32 v20, 0, v20, vcc_lo
	s_delay_alu instid0(VALU_DEP_4) | instskip(NEXT) | instid1(VALU_DEP_4)
	v_dual_fmac_f32 v0, v8, v12 :: v_dual_fmac_f32 v1, v9, v14
	v_mul_u32_u24_e32 v58, 0x10001, v13
	v_pk_mul_f16 v39, v39, v53
	s_delay_alu instid0(VALU_DEP_4) | instskip(NEXT) | instid1(VALU_DEP_3)
	v_cndmask_b32_e64 v8, 0x7f800000, v20, s2
	v_pk_mul_f16 v38, v38, v58
	v_pk_mul_f16 v37, v37, v58
	s_delay_alu instid0(VALU_DEP_3) | instskip(SKIP_1) | instid1(VALU_DEP_2)
	v_cvt_f16_f32_e32 v3, v8
	v_pk_mul_f16 v36, v36, v58
	v_and_b32_e32 v9, 0xffff, v3
	v_add_f32_e32 v3, v26, v27
	s_delay_alu instid0(VALU_DEP_2) | instskip(NEXT) | instid1(VALU_DEP_2)
	v_mul_u32_u24_e32 v9, 0x10001, v9
	v_fmac_f32_e32 v3, v11, v8
	s_delay_alu instid0(VALU_DEP_2)
	v_pk_mul_f16 v35, v35, v9
	v_pk_mul_f16 v34, v34, v9
	;; [unrolled: 1-line block ×4, first 2 shown]
	s_wait_loadcnt_dscnt 0x0
	ds_store_b128 v174, v[4:7]
	s_wait_storecnt_dscnt 0x0
	s_barrier_signal -1
	s_barrier_wait -1
	ds_load_2addr_b64 v[24:27], v158 offset1:32
	ds_load_b128 v[20:23], v157 offset:33792
	ds_load_b128 v[48:51], v157 offset:33808
	;; [unrolled: 1-line block ×4, first 2 shown]
	ds_load_2addr_b64 v[100:103], v158 offset0:64 offset1:96
	ds_load_2addr_b64 v[176:179], v158 offset0:128 offset1:160
	;; [unrolled: 1-line block ×3, first 2 shown]
	ds_load_2addr_b64 v[184:187], v166 offset1:32
	ds_load_2addr_b64 v[128:131], v166 offset0:64 offset1:96
	ds_load_2addr_b64 v[124:127], v166 offset0:128 offset1:160
	;; [unrolled: 1-line block ×3, first 2 shown]
	ds_load_2addr_b64 v[116:119], v167 offset1:32
	ds_load_2addr_b64 v[112:115], v167 offset0:64 offset1:96
	ds_load_2addr_b64 v[108:111], v167 offset0:128 offset1:160
	ds_load_b128 v[84:87], v157 offset:33856
	ds_load_b128 v[60:63], v157 offset:33872
	ds_load_2addr_b64 v[96:99], v167 offset0:192 offset1:224
	ds_load_2addr_b64 v[92:95], v170 offset1:32
	ds_load_2addr_b64 v[80:83], v170 offset0:64 offset1:96
	ds_load_2addr_b64 v[12:15], v170 offset0:128 offset1:160
	ds_load_b128 v[64:67], v157 offset:33888
	ds_load_b128 v[68:71], v157 offset:33904
	ds_load_2addr_b64 v[40:43], v170 offset0:192 offset1:224
	ds_load_2addr_b64 v[28:31], v169 offset1:32
	ds_load_2addr_b64 v[8:11], v169 offset0:64 offset1:96
	ds_load_2addr_b64 v[4:7], v169 offset0:128 offset1:160
	ds_load_b128 v[72:75], v157 offset:33920
	ds_load_b128 v[88:91], v157 offset:33936
	s_wait_dscnt 0x1b
	v_lshrrev_b32_e32 v107, 16, v20
	v_and_b32_e32 v20, 0xffff, v20
	v_lshrrev_b32_e32 v138, 16, v21
	v_and_b32_e32 v175, 0xffff, v21
	v_dual_lshrrev_b32 v188, 16, v22 :: v_dual_lshrrev_b32 v189, 16, v23
	s_delay_alu instid0(VALU_DEP_4)
	v_mul_u32_u24_e32 v192, 0x10001, v20
	v_mul_u32_u24_e32 v107, 0x10001, v107
	v_and_b32_e32 v190, 0xffff, v22
	v_mul_u32_u24_e32 v175, 0x10001, v175
	v_mul_u32_u24_e32 v138, 0x10001, v138
	v_pk_fma_f16 v47, v25, v192, v47
	v_pk_fma_f16 v59, v26, v192, v59
	;; [unrolled: 1-line block ×3, first 2 shown]
	v_pk_mul_f16 v192, v24, v192
	v_pk_fma_f16 v105, v25, v107, v105
	v_pk_fma_f16 v106, v26, v107, v106
	;; [unrolled: 1-line block ×3, first 2 shown]
	v_pk_mul_f16 v107, v24, v107
	v_and_b32_e32 v191, 0xffff, v23
	v_pk_fma_f16 v194, v25, v175, v38
	v_pk_fma_f16 v195, v26, v175, v37
	;; [unrolled: 1-line block ×3, first 2 shown]
	v_pk_mul_f16 v175, v24, v175
	v_pk_fma_f16 v197, v24, v138, v35
	v_pk_fma_f16 v198, v25, v138, v34
	;; [unrolled: 1-line block ×5, first 2 shown]
	v_mul_u32_u24_e32 v52, 0x10001, v189
	v_pk_fma_f16 v45, v45, v53, v107
	v_mul_u32_u24_e32 v53, 0x10001, v190
	v_pk_fma_f16 v44, v44, v58, v175
	s_wait_dscnt 0x1a
	v_lshrrev_b32_e32 v107, 16, v49
	s_wait_dscnt 0x17
	v_pk_fma_f16 v58, v100, v52, v197
	v_pk_fma_f16 v175, v101, v52, v198
	v_pk_fma_f16 v189, v102, v52, v199
	v_pk_fma_f16 v52, v103, v52, v138
	v_mul_u32_u24_e32 v138, 0x10001, v188
	v_mul_u32_u24_e32 v188, 0x10001, v191
	v_pk_fma_f16 v47, v101, v53, v47
	v_pk_fma_f16 v59, v102, v53, v59
	;; [unrolled: 1-line block ×4, first 2 shown]
	v_and_b32_e32 v53, 0xffff, v48
	v_lshrrev_b32_e32 v48, 16, v48
	v_and_b32_e32 v49, 0xffff, v49
	v_mul_u32_u24_e32 v191, 0x10001, v107
	v_pk_fma_f16 v192, v101, v138, v105
	v_pk_fma_f16 v101, v101, v188, v194
	;; [unrolled: 1-line block ×8, first 2 shown]
	v_mul_u32_u24_e32 v53, 0x10001, v53
	v_lshrrev_b32_e32 v188, 16, v51
	v_mul_u32_u24_e32 v48, 0x10001, v48
	v_mul_u32_u24_e32 v49, 0x10001, v49
	s_wait_dscnt 0x16
	v_pk_fma_f16 v58, v176, v191, v58
	v_pk_fma_f16 v138, v177, v191, v175
	;; [unrolled: 1-line block ×16, first 2 shown]
	v_and_b32_e32 v176, 0xffff, v50
	v_lshrrev_b32_e32 v50, 16, v50
	v_mul_u32_u24_e32 v188, 0x10001, v188
	v_and_b32_e32 v51, 0xffff, v51
	s_wait_dscnt 0x7
	v_lshrrev_b32_e32 v194, 16, v64
	v_mul_u32_u24_e32 v176, 0x10001, v176
	v_mul_u32_u24_e32 v50, 0x10001, v50
	v_pk_fma_f16 v58, v180, v188, v58
	v_pk_fma_f16 v138, v181, v188, v138
	;; [unrolled: 1-line block ×4, first 2 shown]
	v_lshrrev_b32_e32 v188, 16, v55
	v_pk_fma_f16 v189, v181, v176, v189
	v_pk_fma_f16 v59, v182, v176, v59
	;; [unrolled: 1-line block ×4, first 2 shown]
	v_and_b32_e32 v176, 0xffff, v54
	v_mul_u32_u24_e32 v51, 0x10001, v51
	v_lshrrev_b32_e32 v54, 16, v54
	v_mul_u32_u24_e32 v188, 0x10001, v188
	v_and_b32_e32 v55, 0xffff, v55
	v_pk_fma_f16 v191, v181, v50, v191
	v_pk_fma_f16 v192, v182, v50, v192
	;; [unrolled: 1-line block ×8, first 2 shown]
	v_mul_u32_u24_e32 v176, 0x10001, v176
	v_pk_fma_f16 v183, v187, v188, v52
	v_mul_u32_u24_e32 v52, 0x10001, v54
	v_mul_u32_u24_e32 v54, 0x10001, v55
	v_pk_fma_f16 v182, v184, v188, v58
	v_pk_fma_f16 v138, v185, v188, v138
	v_pk_fma_f16 v175, v186, v188, v175
	v_lshrrev_b32_e32 v58, 16, v57
	v_pk_fma_f16 v188, v185, v176, v189
	v_pk_fma_f16 v189, v186, v176, v59
	v_pk_fma_f16 v190, v187, v176, v190
	v_pk_fma_f16 v192, v186, v52, v192
	v_pk_fma_f16 v193, v187, v52, v193
	v_pk_fma_f16 v178, v186, v54, v178
	v_pk_fma_f16 v179, v187, v54, v179
	v_pk_fma_f16 v176, v184, v176, v53
	v_pk_fma_f16 v181, v184, v52, v181
	v_pk_fma_f16 v180, v184, v54, v180
	v_and_b32_e32 v184, 0xffff, v56
	v_lshrrev_b32_e32 v186, 16, v56
	v_and_b32_e32 v187, 0xffff, v57
	v_pk_fma_f16 v191, v185, v52, v191
	v_pk_fma_f16 v177, v185, v54, v177
	v_mul_u32_u24_e32 v185, 0x10001, v58
	v_mul_u32_u24_e32 v184, 0x10001, v184
	;; [unrolled: 1-line block ×4, first 2 shown]
	ds_load_b128 v[104:107], v157 offset:33952
	ds_load_b128 v[100:103], v157 offset:33968
	v_pk_fma_f16 v182, v128, v185, v182
	v_pk_fma_f16 v138, v129, v185, v138
	;; [unrolled: 1-line block ×4, first 2 shown]
	v_lshrrev_b32_e32 v185, 16, v76
	v_pk_fma_f16 v188, v129, v184, v188
	v_pk_fma_f16 v189, v130, v184, v189
	;; [unrolled: 1-line block ×4, first 2 shown]
	v_lshrrev_b32_e32 v184, 16, v77
	v_pk_fma_f16 v191, v129, v186, v191
	v_pk_fma_f16 v192, v130, v186, v192
	;; [unrolled: 1-line block ×4, first 2 shown]
	v_and_b32_e32 v186, 0xffff, v76
	v_pk_fma_f16 v129, v129, v187, v177
	v_and_b32_e32 v177, 0xffff, v77
	v_pk_fma_f16 v130, v130, v187, v178
	v_pk_fma_f16 v131, v131, v187, v179
	v_pk_fma_f16 v128, v128, v187, v180
	v_dual_lshrrev_b32 v178, 16, v78 :: v_dual_lshrrev_b32 v179, 16, v79
	v_mul_u32_u24_e32 v180, 0x10001, v184
	v_and_b32_e32 v184, 0xffff, v78
	v_and_b32_e32 v187, 0xffff, v79
	v_mul_u32_u24_e32 v186, 0x10001, v186
	v_mul_u32_u24_e32 v185, 0x10001, v185
	v_mul_u32_u24_e32 v177, 0x10001, v177
	v_pk_fma_f16 v182, v124, v180, v182
	v_pk_fma_f16 v138, v125, v180, v138
	;; [unrolled: 1-line block ×4, first 2 shown]
	v_lshrrev_b32_e32 v183, 16, v84
	v_pk_fma_f16 v188, v125, v186, v188
	v_pk_fma_f16 v189, v126, v186, v189
	;; [unrolled: 1-line block ×4, first 2 shown]
	v_lshrrev_b32_e32 v186, 16, v85
	v_pk_fma_f16 v193, v127, v185, v193
	v_pk_fma_f16 v127, v127, v177, v131
	v_mul_u32_u24_e32 v131, 0x10001, v179
	v_mul_u32_u24_e32 v184, 0x10001, v184
	v_mul_u32_u24_e32 v178, 0x10001, v178
	v_mul_u32_u24_e32 v187, 0x10001, v187
	v_pk_fma_f16 v191, v125, v185, v191
	v_pk_fma_f16 v192, v126, v185, v192
	;; [unrolled: 1-line block ×3, first 2 shown]
	v_and_b32_e32 v185, 0xffff, v84
	v_pk_fma_f16 v126, v126, v177, v130
	v_pk_fma_f16 v124, v124, v177, v128
	v_and_b32_e32 v128, 0xffff, v85
	v_pk_fma_f16 v182, v120, v131, v182
	v_pk_fma_f16 v138, v121, v131, v138
	v_pk_fma_f16 v175, v122, v131, v175
	v_pk_fma_f16 v131, v123, v131, v180
	v_pk_fma_f16 v190, v123, v184, v190
	v_pk_fma_f16 v193, v123, v178, v193
	v_pk_fma_f16 v123, v123, v187, v127
	v_mul_u32_u24_e32 v127, 0x10001, v186
	v_pk_fma_f16 v125, v125, v177, v129
	v_dual_lshrrev_b32 v129, 16, v86 :: v_dual_lshrrev_b32 v130, 16, v87
	v_and_b32_e32 v177, 0xffff, v86
	v_pk_fma_f16 v188, v121, v184, v188
	v_pk_fma_f16 v189, v122, v184, v189
	;; [unrolled: 1-line block ×8, first 2 shown]
	v_mul_u32_u24_e32 v185, 0x10001, v185
	v_pk_fma_f16 v182, v116, v127, v182
	v_pk_fma_f16 v138, v117, v127, v138
	;; [unrolled: 1-line block ×4, first 2 shown]
	v_mul_u32_u24_e32 v131, 0x10001, v183
	v_mul_u32_u24_e32 v128, 0x10001, v128
	v_and_b32_e32 v179, 0xffff, v87
	v_pk_fma_f16 v121, v121, v187, v125
	v_pk_fma_f16 v183, v117, v185, v188
	;; [unrolled: 1-line block ×11, first 2 shown]
	v_mul_u32_u24_e32 v120, 0x10001, v130
	v_mul_u32_u24_e32 v122, 0x10001, v177
	v_dual_lshrrev_b32 v180, 16, v60 :: v_dual_lshrrev_b32 v184, 16, v61
	v_and_b32_e32 v181, 0xffff, v60
	v_and_b32_e32 v124, 0xffff, v61
	v_pk_fma_f16 v117, v117, v128, v121
	v_pk_fma_f16 v119, v119, v128, v123
	;; [unrolled: 1-line block ×6, first 2 shown]
	v_mul_u32_u24_e32 v123, 0x10001, v129
	v_pk_fma_f16 v127, v113, v122, v183
	v_pk_fma_f16 v129, v114, v122, v188
	;; [unrolled: 1-line block ×4, first 2 shown]
	v_mul_u32_u24_e32 v176, 0x10001, v179
	v_dual_lshrrev_b32 v125, 16, v62 :: v_dual_lshrrev_b32 v126, 16, v63
	v_and_b32_e32 v186, 0xffff, v62
	v_pk_fma_f16 v179, v113, v123, v190
	v_pk_fma_f16 v182, v114, v123, v191
	;; [unrolled: 1-line block ×8, first 2 shown]
	v_mul_u32_u24_e32 v116, 0x10001, v184
	v_mul_u32_u24_e32 v117, 0x10001, v181
	;; [unrolled: 1-line block ×4, first 2 shown]
	v_and_b32_e32 v187, 0xffff, v63
	v_lshrrev_b32_e32 v185, 16, v65
	v_pk_fma_f16 v130, v108, v116, v130
	v_pk_fma_f16 v138, v109, v116, v138
	;; [unrolled: 1-line block ×15, first 2 shown]
	v_mul_u32_u24_e32 v124, 0x10001, v126
	v_mul_u32_u24_e32 v126, 0x10001, v186
	v_and_b32_e32 v178, 0xffff, v64
	v_and_b32_e32 v128, 0xffff, v65
	v_pk_fma_f16 v179, v109, v118, v179
	v_pk_fma_f16 v130, v96, v124, v130
	;; [unrolled: 1-line block ×5, first 2 shown]
	v_mul_u32_u24_e32 v124, 0x10001, v125
	v_pk_fma_f16 v127, v97, v126, v127
	v_pk_fma_f16 v129, v98, v126, v129
	;; [unrolled: 1-line block ×4, first 2 shown]
	v_mul_u32_u24_e32 v125, 0x10001, v187
	v_mul_u32_u24_e32 v126, 0x10001, v185
	v_dual_lshrrev_b32 v195, 16, v66 :: v_dual_lshrrev_b32 v193, 16, v67
	v_and_b32_e32 v196, 0xffff, v66
	v_pk_fma_f16 v179, v97, v124, v179
	v_pk_fma_f16 v183, v97, v125, v183
	v_mul_u32_u24_e32 v178, 0x10001, v178
	v_pk_fma_f16 v185, v92, v126, v130
	v_mul_u32_u24_e32 v130, 0x10001, v194
	v_mul_u32_u24_e32 v128, 0x10001, v128
	v_and_b32_e32 v197, 0xffff, v67
	v_pk_fma_f16 v180, v98, v124, v180
	v_pk_fma_f16 v181, v99, v124, v181
	;; [unrolled: 1-line block ×13, first 2 shown]
	v_mul_u32_u24_e32 v179, 0x10001, v193
	v_mul_u32_u24_e32 v183, 0x10001, v196
	s_wait_dscnt 0x8
	v_dual_lshrrev_b32 v121, 16, v68 :: v_dual_lshrrev_b32 v198, 16, v69
	v_and_b32_e32 v131, 0xffff, v68
	v_and_b32_e32 v123, 0xffff, v69
	v_pk_fma_f16 v138, v93, v126, v138
	v_pk_fma_f16 v186, v95, v126, v186
	;; [unrolled: 1-line block ×9, first 2 shown]
	v_mul_u32_u24_e32 v175, 0x10001, v195
	v_pk_fma_f16 v181, v83, v183, v177
	v_mul_u32_u24_e32 v177, 0x10001, v197
	s_wait_dscnt 0x1
	v_dual_lshrrev_b32 v126, 16, v104 :: v_dual_lshrrev_b32 v127, 16, v105
	v_and_b32_e32 v129, 0xffff, v105
	v_dual_lshrrev_b32 v128, 16, v106 :: v_dual_lshrrev_b32 v105, 16, v107
	v_and_b32_e32 v130, 0xffff, v106
	v_and_b32_e32 v106, 0xffff, v107
	v_pk_fma_f16 v190, v80, v179, v185
	v_pk_fma_f16 v191, v81, v179, v138
	;; [unrolled: 1-line block ×3, first 2 shown]
	s_wait_dscnt 0x0
	v_dual_lshrrev_b32 v107, 16, v100 :: v_dual_lshrrev_b32 v138, 16, v101
	v_pk_fma_f16 v179, v81, v183, v188
	v_pk_fma_f16 v180, v82, v183, v194
	;; [unrolled: 1-line block ×11, first 2 shown]
	v_and_b32_e32 v176, 0xffff, v101
	v_dual_lshrrev_b32 v175, 16, v102 :: v_dual_lshrrev_b32 v101, 16, v103
	v_and_b32_e32 v177, 0xffff, v102
	v_and_b32_e32 v102, 0xffff, v103
	v_mul_u32_u24_e32 v103, 0x10001, v198
	v_mul_u32_u24_e32 v131, 0x10001, v131
	;; [unrolled: 1-line block ×4, first 2 shown]
	ds_load_2addr_b64 v[20:23], v169 offset0:192 offset1:224
	ds_load_2addr_b64 v[36:39], v168 offset1:32
	ds_load_2addr_b64 v[32:35], v168 offset0:64 offset1:96
	ds_load_2addr_b64 v[24:27], v168 offset0:128 offset1:160
	;; [unrolled: 1-line block ×3, first 2 shown]
	ds_load_2addr_b64 v[48:51], v165 offset1:32
	ds_load_2addr_b64 v[52:55], v165 offset0:64 offset1:96
	ds_load_2addr_b64 v[56:59], v165 offset0:128 offset1:160
	ds_load_b128 v[76:79], v157 offset:33984
	ds_load_b128 v[84:87], v157 offset:34000
	ds_load_2addr_b64 v[60:63], v165 offset0:192 offset1:224
	ds_load_2addr_b64 v[64:67], v137 offset1:32
	v_dual_lshrrev_b32 v113, 16, v70 :: v_dual_lshrrev_b32 v112, 16, v71
	v_and_b32_e32 v115, 0xffff, v70
	v_and_b32_e32 v114, 0xffff, v71
	ds_load_2addr_b64 v[68:71], v137 offset0:64 offset1:96
	v_dual_lshrrev_b32 v116, 16, v72 :: v_dual_lshrrev_b32 v117, 16, v73
	v_and_b32_e32 v118, 0xffff, v72
	v_and_b32_e32 v110, 0xffff, v73
	v_dual_lshrrev_b32 v109, 16, v74 :: v_dual_lshrrev_b32 v108, 16, v75
	v_and_b32_e32 v111, 0xffff, v74
	v_and_b32_e32 v119, 0xffff, v75
	ds_load_2addr_b64 v[72:75], v137 offset0:128 offset1:160
	v_dual_lshrrev_b32 v120, 16, v88 :: v_dual_lshrrev_b32 v122, 16, v89
	v_and_b32_e32 v124, 0xffff, v88
	v_and_b32_e32 v98, 0xffff, v89
	v_dual_lshrrev_b32 v96, 16, v90 :: v_dual_lshrrev_b32 v97, 16, v91
	v_and_b32_e32 v125, 0xffff, v90
	v_and_b32_e32 v99, 0xffff, v91
	ds_load_b128 v[88:91], v157 offset:34016
	ds_load_b128 v[92:95], v157 offset:34032
	ds_load_2addr_b64 v[80:83], v137 offset0:192 offset1:224
	s_wait_dscnt 0x0
	s_barrier_signal -1
	s_barrier_wait -1
	s_clause 0x1
	scratch_store_b32 off, v139, off
	scratch_store_b96 off, v[132:134], off offset:4
	v_pk_fma_f16 v190, v12, v103, v190
	v_pk_fma_f16 v191, v13, v103, v191
	;; [unrolled: 1-line block ×16, first 2 shown]
	flat_load_b128 v[12:15], v[144:145]
	s_clause 0x1
	scratch_store_b32 off, v139, off
	scratch_store_b96 off, v[132:134], off offset:4
	v_dual_lshrrev_b32 v193, 16, v76 :: v_dual_lshrrev_b32 v178, 16, v77
	v_and_b32_e32 v182, 0xffff, v76
	v_and_b32_e32 v186, 0xffff, v77
	v_dual_lshrrev_b32 v194, 16, v78 :: v_dual_lshrrev_b32 v195, 16, v79
	v_and_b32_e32 v196, 0xffff, v78
	v_and_b32_e32 v197, 0xffff, v79
	v_mul_u32_u24_e32 v115, 0x10001, v115
	v_mul_u32_u24_e32 v113, 0x10001, v113
	v_mul_u32_u24_e32 v114, 0x10001, v114
	v_mul_u32_u24_e32 v112, 0x10001, v112
	v_mul_u32_u24_e32 v118, 0x10001, v118
	v_mul_u32_u24_e32 v116, 0x10001, v116
	v_mul_u32_u24_e32 v110, 0x10001, v110
	v_mul_u32_u24_e32 v117, 0x10001, v117
	v_pk_fma_f16 v179, v41, v115, v179
	v_pk_fma_f16 v183, v41, v113, v183
	;; [unrolled: 1-line block ×6, first 2 shown]
	v_mul_u32_u24_e32 v111, 0x10001, v111
	v_mul_u32_u24_e32 v109, 0x10001, v109
	;; [unrolled: 1-line block ×8, first 2 shown]
	v_and_b32_e32 v104, 0xffff, v104
	v_mul_u32_u24_e32 v125, 0x10001, v125
	v_mul_u32_u24_e32 v96, 0x10001, v96
	;; [unrolled: 1-line block ×5, first 2 shown]
	v_and_b32_e32 v100, 0xffff, v100
	v_mul_u32_u24_e32 v106, 0x10001, v106
	v_mul_u32_u24_e32 v105, 0x10001, v105
	;; [unrolled: 1-line block ×6, first 2 shown]
	s_wait_xcnt 0x2
	v_dual_lshrrev_b32 v144, 16, v84 :: v_dual_lshrrev_b32 v145, 16, v85
	v_and_b32_e32 v84, 0xffff, v84
	v_and_b32_e32 v85, 0xffff, v85
	v_lshrrev_b32_e32 v198, 16, v87
	v_and_b32_e32 v87, 0xffff, v87
	v_dual_lshrrev_b32 v200, 16, v92 :: v_dual_lshrrev_b32 v201, 16, v93
	v_mul_u32_u24_e32 v84, 0x10001, v84
	v_mul_u32_u24_e32 v85, 0x10001, v85
	s_delay_alu instid0(VALU_DEP_4)
	v_mul_u32_u24_e32 v87, 0x10001, v87
	v_and_b32_e32 v92, 0xffff, v92
	v_and_b32_e32 v93, 0xffff, v93
	v_dual_lshrrev_b32 v202, 16, v94 :: v_dual_lshrrev_b32 v203, 16, v95
	v_and_b32_e32 v94, 0xffff, v94
	v_and_b32_e32 v95, 0xffff, v95
	v_mul_u32_u24_e32 v92, 0x10001, v92
	v_mul_u32_u24_e32 v93, 0x10001, v93
	v_lshrrev_b32_e32 v199, 16, v91
	v_and_b32_e32 v91, 0xffff, v91
	v_mul_u32_u24_e32 v94, 0x10001, v94
	v_mul_u32_u24_e32 v95, 0x10001, v95
	s_delay_alu instid0(VALU_DEP_3)
	v_mul_u32_u24_e32 v91, 0x10001, v91
	s_wait_loadcnt_dscnt 0x0
	ds_store_b128 v172, v[12:15]
	flat_load_b128 v[12:15], v[146:147]
	v_lshrrev_b32_e32 v172, 16, v86
	v_and_b32_e32 v86, 0xffff, v86
	s_wait_xcnt 0x0
	v_dual_lshrrev_b32 v146, 16, v88 :: v_dual_lshrrev_b32 v147, 16, v89
	v_and_b32_e32 v88, 0xffff, v88
	v_and_b32_e32 v89, 0xffff, v89
	v_mul_u32_u24_e32 v86, 0x10001, v86
	s_delay_alu instid0(VALU_DEP_4)
	v_mul_u32_u24_e32 v146, 0x10001, v146
	v_mul_u32_u24_e32 v147, 0x10001, v147
	;; [unrolled: 1-line block ×4, first 2 shown]
	s_wait_loadcnt_dscnt 0x0
	ds_store_b128 v173, v[12:15]
	s_clause 0x1
	scratch_store_b32 off, v139, off
	scratch_store_b96 off, v[132:134], off offset:4
	flat_load_b128 v[76:79], v[142:143]
	s_clause 0x1
	scratch_store_b96 off, v[132:134], off offset:4
	scratch_store_b32 off, v139, off
	v_mov_b64_e32 v[12:13], v[16:17]
	v_mov_b64_e32 v[14:15], v[18:19]
	s_wait_xcnt 0x1
	v_mul_u32_u24_e32 v132, 0x10001, v182
	v_mul_u32_u24_e32 v134, 0x10001, v186
	v_pk_fma_f16 v182, v40, v112, v190
	v_pk_fma_f16 v186, v41, v114, v187
	;; [unrolled: 1-line block ×78, first 2 shown]
	v_mul_u32_u24_e32 v133, 0x10001, v193
	s_wait_xcnt 0x0
	v_mul_u32_u24_e32 v139, 0x10001, v196
	v_mul_u32_u24_e32 v142, 0x10001, v195
	;; [unrolled: 1-line block ×5, first 2 shown]
	v_lshrrev_b32_e32 v173, 16, v90
	v_and_b32_e32 v90, 0xffff, v90
	s_delay_alu instid0(VALU_DEP_2) | instskip(NEXT) | instid1(VALU_DEP_2)
	v_mul_u32_u24_e32 v172, 0x10001, v173
	v_mul_u32_u24_e32 v90, 0x10001, v90
	;; [unrolled: 1-line block ×3, first 2 shown]
	s_wait_loadcnt_dscnt 0x0
	ds_store_b128 v171, v[76:79]
	flat_load_b128 v[16:19], v[140:141]
	v_mul_u32_u24_e32 v76, 0x10001, v126
	v_mul_u32_u24_e32 v77, 0x10001, v129
	;; [unrolled: 1-line block ×5, first 2 shown]
	v_pk_fma_f16 v28, v37, v76, v40
	v_pk_fma_f16 v31, v37, v77, v43
	v_pk_fma_f16 v8, v36, v78, v8
	v_pk_fma_f16 v5, v37, v78, v5
	v_pk_fma_f16 v21, v38, v76, v21
	v_pk_fma_f16 v29, v38, v77, v29
	v_pk_fma_f16 v6, v38, v78, v6
	v_pk_fma_f16 v22, v39, v76, v22
	v_pk_fma_f16 v30, v39, v77, v30
	v_pk_fma_f16 v7, v39, v78, v7
	v_pk_fma_f16 v23, v36, v76, v23
	v_pk_fma_f16 v4, v36, v77, v4
	v_mul_u32_u24_e32 v127, 0x10001, v176
	v_mul_u32_u24_e32 v128, 0x10001, v138
	v_pk_fma_f16 v8, v32, v105, v8
	v_pk_fma_f16 v20, v33, v79, v20
	;; [unrolled: 1-line block ×16, first 2 shown]
	v_mul_u32_u24_e32 v129, 0x10001, v177
	v_mul_u32_u24_e32 v130, 0x10001, v175
	v_pk_fma_f16 v8, v24, v128, v8
	v_pk_fma_f16 v20, v25, v100, v20
	v_pk_fma_f16 v28, v25, v107, v28
	v_pk_fma_f16 v31, v25, v127, v31
	v_pk_fma_f16 v5, v25, v128, v5
	v_pk_fma_f16 v9, v26, v100, v9
	v_pk_fma_f16 v21, v26, v107, v21
	v_pk_fma_f16 v25, v26, v127, v29
	v_pk_fma_f16 v6, v26, v128, v6
	v_pk_fma_f16 v10, v27, v100, v10
	v_pk_fma_f16 v22, v27, v107, v22
	v_pk_fma_f16 v26, v27, v127, v30
	v_pk_fma_f16 v7, v27, v128, v7
	v_pk_fma_f16 v11, v24, v100, v11
	v_pk_fma_f16 v23, v24, v107, v23
	v_pk_fma_f16 v4, v24, v127, v4
	v_mul_u32_u24_e32 v138, 0x10001, v178
	v_pk_fma_f16 v8, v44, v101, v8
	v_pk_fma_f16 v20, v45, v129, v20
	;; [unrolled: 1-line block ×16, first 2 shown]
	s_wait_xcnt 0x0
	v_mul_u32_u24_e32 v140, 0x10001, v194
	v_mul_u32_u24_e32 v141, 0x10001, v197
	v_pk_fma_f16 v8, v48, v138, v8
	v_pk_fma_f16 v20, v49, v132, v20
	;; [unrolled: 1-line block ×32, first 2 shown]
	v_mul_u32_u24_e32 v171, 0x10001, v198
	v_pk_fma_f16 v8, v56, v144, v8
	v_pk_fma_f16 v20, v57, v84, v20
	;; [unrolled: 1-line block ×48, first 2 shown]
	v_mul_u32_u24_e32 v175, 0x10001, v200
	v_mul_u32_u24_e32 v176, 0x10001, v201
	v_pk_fma_f16 v8, v68, v173, v8
	v_pk_fma_f16 v20, v69, v90, v20
	;; [unrolled: 1-line block ×16, first 2 shown]
	v_mul_u32_u24_e32 v177, 0x10001, v202
	v_mul_u32_u24_e32 v178, 0x10001, v203
	v_pk_fma_f16 v8, v72, v176, v8
	v_pk_fma_f16 v20, v73, v92, v20
	;; [unrolled: 1-line block ×32, first 2 shown]
	s_wait_loadcnt_dscnt 0x0
	ds_store_b128 v174, v[16:19]
	s_wait_storecnt_dscnt 0x0
	s_barrier_signal -1
	s_barrier_wait -1
	ds_load_2addr_b64 v[36:39], v158 offset1:32
	ds_load_b128 v[28:31], v157 offset:34048
	ds_load_b128 v[32:35], v157 offset:34064
	;; [unrolled: 1-line block ×4, first 2 shown]
	ds_load_2addr_b64 v[48:51], v158 offset0:64 offset1:96
	ds_load_2addr_b64 v[116:119], v158 offset0:128 offset1:160
	;; [unrolled: 1-line block ×3, first 2 shown]
	ds_load_2addr_b64 v[56:59], v166 offset1:32
	ds_load_2addr_b64 v[88:91], v166 offset0:64 offset1:96
	ds_load_2addr_b64 v[84:87], v166 offset0:128 offset1:160
	;; [unrolled: 1-line block ×3, first 2 shown]
	ds_load_2addr_b64 v[76:79], v167 offset1:32
	ds_load_2addr_b64 v[68:71], v167 offset0:64 offset1:96
	ds_load_2addr_b64 v[72:75], v167 offset0:128 offset1:160
	ds_load_b128 v[100:103], v157 offset:34112
	ds_load_b128 v[104:107], v157 offset:34128
	ds_load_2addr_b64 v[64:67], v167 offset0:192 offset1:224
	ds_load_2addr_b64 v[60:63], v170 offset1:32
	ds_load_2addr_b64 v[24:27], v170 offset0:64 offset1:96
	ds_load_2addr_b64 v[20:23], v170 offset0:128 offset1:160
	ds_load_b128 v[108:111], v157 offset:34144
	ds_load_b128 v[124:127], v157 offset:34160
	ds_load_2addr_b64 v[16:19], v170 offset0:192 offset1:224
	ds_load_2addr_b64 v[8:11], v169 offset1:32
	ds_load_2addr_b64 v[4:7], v169 offset0:64 offset1:96
	ds_load_b128 v[96:99], v157 offset:34176
	ds_load_b128 v[92:95], v157 offset:34192
	s_wait_dscnt 0x1a
	v_dual_lshrrev_b32 v158, 16, v28 :: v_dual_lshrrev_b32 v166, 16, v29
	v_and_b32_e32 v28, 0xffff, v28
	v_and_b32_e32 v167, 0xffff, v29
	v_dual_lshrrev_b32 v174, 16, v30 :: v_dual_lshrrev_b32 v178, 16, v31
	s_wait_dscnt 0x19
	v_dual_lshrrev_b32 v181, 16, v32 :: v_dual_lshrrev_b32 v182, 16, v33
	v_and_b32_e32 v184, 0xffff, v33
	v_mul_u32_u24_e32 v33, 0x10001, v158
	v_and_b32_e32 v179, 0xffff, v30
	v_and_b32_e32 v180, 0xffff, v31
	;; [unrolled: 1-line block ×3, first 2 shown]
	s_wait_dscnt 0x18
	v_dual_lshrrev_b32 v189, 16, v40 :: v_dual_lshrrev_b32 v190, 16, v41
	v_and_b32_e32 v191, 0xffff, v40
	s_wait_dscnt 0x17
	v_dual_lshrrev_b32 v197, 16, v44 :: v_dual_lshrrev_b32 v198, 16, v45
	v_and_b32_e32 v199, 0xffff, v44
	;; [unrolled: 3-line block ×3, first 2 shown]
	v_and_b32_e32 v208, 0xffff, v101
	v_dual_lshrrev_b32 v171, 16, v102 :: v_dual_lshrrev_b32 v145, 16, v103
	v_and_b32_e32 v172, 0xffff, v102
	v_and_b32_e32 v170, 0xffff, v103
	s_wait_dscnt 0xb
	v_dual_lshrrev_b32 v140, 16, v104 :: v_dual_lshrrev_b32 v133, 16, v105
	v_and_b32_e32 v142, 0xffff, v104
	v_and_b32_e32 v138, 0xffff, v105
	v_dual_lshrrev_b32 v122, 16, v106 :: v_dual_lshrrev_b32 v121, 16, v107
	v_and_b32_e32 v131, 0xffff, v106
	v_and_b32_e32 v123, 0xffff, v107
	s_wait_dscnt 0x6
	v_dual_lshrrev_b32 v103, 16, v110 :: v_dual_lshrrev_b32 v100, 16, v111
	v_and_b32_e32 v106, 0xffff, v111
	s_wait_dscnt 0x5
	v_dual_lshrrev_b32 v104, 16, v124 :: v_dual_lshrrev_b32 v101, 16, v125
	v_and_b32_e32 v107, 0xffff, v125
	v_dual_lshrrev_b32 v105, 16, v126 :: v_dual_lshrrev_b32 v102, 16, v127
	v_mul_u32_u24_e32 v32, 0x10001, v28
	v_and_b32_e32 v111, 0xffff, v127
	v_mul_u32_u24_e32 v40, 0x10001, v167
	v_pk_fma_f16 v44, v37, v33, v129
	v_mul_u32_u24_e32 v125, 0x10001, v166
	v_mul_u32_u24_e32 v127, 0x10001, v174
	v_and_b32_e32 v192, 0xffff, v41
	v_dual_lshrrev_b32 v193, 16, v42 :: v_dual_lshrrev_b32 v194, 16, v43
	v_and_b32_e32 v195, 0xffff, v42
	v_and_b32_e32 v196, 0xffff, v43
	;; [unrolled: 1-line block ×3, first 2 shown]
	v_dual_lshrrev_b32 v201, 16, v46 :: v_dual_lshrrev_b32 v202, 16, v47
	v_and_b32_e32 v203, 0xffff, v46
	v_and_b32_e32 v204, 0xffff, v47
	v_dual_lshrrev_b32 v113, 16, v108 :: v_dual_lshrrev_b32 v112, 16, v109
	v_and_b32_e32 v115, 0xffff, v108
	v_and_b32_e32 v114, 0xffff, v109
	;; [unrolled: 1-line block ×5, first 2 shown]
	v_pk_fma_f16 v41, v36, v32, v175
	v_pk_fma_f16 v42, v36, v33, v176
	;; [unrolled: 1-line block ×7, first 2 shown]
	v_mul_u32_u24_e32 v126, 0x10001, v179
	v_pk_fma_f16 v128, v36, v40, v177
	v_pk_fma_f16 v129, v37, v40, v130
	;; [unrolled: 1-line block ×8, first 2 shown]
	v_mul_u32_u24_e32 v141, 0x10001, v180
	v_pk_fma_f16 v147, v49, v127, v44
	v_mul_u32_u24_e32 v44, 0x10001, v178
	v_dual_lshrrev_b32 v185, 16, v34 :: v_dual_lshrrev_b32 v186, 16, v35
	v_and_b32_e32 v187, 0xffff, v34
	v_pk_fma_f16 v143, v48, v126, v41
	v_pk_fma_f16 v144, v48, v127, v42
	v_pk_fma_f16 v146, v49, v126, v43
	v_pk_fma_f16 v158, v50, v126, v45
	v_pk_fma_f16 v166, v50, v127, v46
	v_pk_fma_f16 v126, v51, v126, v47
	v_pk_fma_f16 v124, v51, v127, v124
	v_mul_u32_u24_e32 v127, 0x10001, v183
	v_mul_u32_u24_e32 v167, 0x10001, v181
	v_pk_fma_f16 v128, v48, v141, v128
	v_pk_fma_f16 v134, v51, v141, v134
	;; [unrolled: 1-line block ×4, first 2 shown]
	v_mul_u32_u24_e32 v120, 0x10001, v184
	v_mul_u32_u24_e32 v125, 0x10001, v182
	v_and_b32_e32 v188, 0xffff, v35
	v_pk_fma_f16 v129, v49, v141, v129
	v_pk_fma_f16 v130, v50, v141, v130
	;; [unrolled: 1-line block ×10, first 2 shown]
	v_mul_u32_u24_e32 v127, 0x10001, v187
	v_pk_fma_f16 v128, v116, v120, v128
	v_pk_fma_f16 v147, v116, v125, v48
	v_mul_u32_u24_e32 v116, 0x10001, v185
	v_pk_fma_f16 v146, v118, v167, v166
	v_pk_fma_f16 v124, v119, v167, v124
	;; [unrolled: 1-line block ×12, first 2 shown]
	v_mul_u32_u24_e32 v127, 0x10001, v188
	v_pk_fma_f16 v134, v52, v116, v139
	v_pk_fma_f16 v139, v53, v116, v143
	v_mul_u32_u24_e32 v143, 0x10001, v186
	ds_load_b128 v[174:177], v157 offset:34208
	ds_load_b128 v[178:181], v157 offset:34224
	v_pk_fma_f16 v141, v54, v116, v146
	v_pk_fma_f16 v128, v52, v127, v128
	;; [unrolled: 1-line block ×3, first 2 shown]
	v_mul_u32_u24_e32 v52, 0x10001, v191
	v_pk_fma_f16 v124, v55, v116, v124
	s_wait_dscnt 0x3
	v_lshrrev_b32_e32 v116, 16, v96
	v_pk_fma_f16 v129, v53, v127, v129
	v_pk_fma_f16 v144, v54, v127, v117
	;; [unrolled: 1-line block ×3, first 2 shown]
	v_lshrrev_b32_e32 v117, 16, v97
	v_pk_fma_f16 v147, v53, v143, v158
	v_pk_fma_f16 v158, v54, v143, v118
	v_pk_fma_f16 v143, v55, v143, v119
	v_and_b32_e32 v119, 0xffff, v96
	v_and_b32_e32 v118, 0xffff, v97
	v_dual_lshrrev_b32 v96, 16, v98 :: v_dual_lshrrev_b32 v97, 16, v99
	v_and_b32_e32 v120, 0xffff, v98
	v_and_b32_e32 v98, 0xffff, v99
	v_mul_u32_u24_e32 v99, 0x10001, v189
	v_pk_fma_f16 v166, v56, v52, v125
	v_pk_fma_f16 v167, v59, v52, v126
	v_mul_u32_u24_e32 v125, 0x10001, v192
	v_mul_u32_u24_e32 v126, 0x10001, v190
	ds_load_2addr_b64 v[28:31], v169 offset0:128 offset1:160
	ds_load_2addr_b64 v[32:35], v169 offset0:192 offset1:224
	ds_load_2addr_b64 v[36:39], v168 offset1:32
	ds_load_2addr_b64 v[40:43], v168 offset0:64 offset1:96
	ds_load_2addr_b64 v[44:47], v168 offset0:128 offset1:160
	;; [unrolled: 1-line block ×3, first 2 shown]
	v_pk_fma_f16 v130, v57, v52, v130
	v_pk_fma_f16 v134, v56, v99, v134
	;; [unrolled: 1-line block ×5, first 2 shown]
	s_wait_dscnt 0x8
	v_dual_lshrrev_b32 v99, 16, v92 :: v_dual_lshrrev_b32 v124, 16, v93
	v_pk_fma_f16 v128, v56, v125, v128
	v_pk_fma_f16 v129, v57, v125, v129
	;; [unrolled: 1-line block ×8, first 2 shown]
	v_and_b32_e32 v126, 0xffff, v92
	v_and_b32_e32 v125, 0xffff, v93
	v_dual_lshrrev_b32 v92, 16, v94 :: v_dual_lshrrev_b32 v93, 16, v95
	v_mul_u32_u24_e32 v56, 0x10001, v195
	v_and_b32_e32 v127, 0xffff, v94
	v_and_b32_e32 v94, 0xffff, v95
	v_mul_u32_u24_e32 v95, 0x10001, v193
	v_pk_fma_f16 v132, v58, v52, v132
	v_pk_fma_f16 v173, v89, v56, v130
	v_mul_u32_u24_e32 v130, 0x10001, v196
	v_pk_fma_f16 v166, v88, v56, v166
	v_pk_fma_f16 v182, v91, v95, v168
	;; [unrolled: 3-line block ×3, first 2 shown]
	v_pk_fma_f16 v134, v88, v95, v134
	v_pk_fma_f16 v139, v89, v95, v139
	;; [unrolled: 1-line block ×3, first 2 shown]
	s_wait_dscnt 0x7
	v_lshrrev_b32_e32 v95, 16, v174
	v_pk_fma_f16 v185, v91, v130, v169
	v_pk_fma_f16 v146, v88, v168, v146
	;; [unrolled: 1-line block ×5, first 2 shown]
	v_and_b32_e32 v91, 0xffff, v174
	v_mul_u32_u24_e32 v168, 0x10001, v199
	v_mul_u32_u24_e32 v174, 0x10001, v197
	v_pk_fma_f16 v183, v88, v130, v128
	v_pk_fma_f16 v184, v89, v130, v129
	;; [unrolled: 1-line block ×3, first 2 shown]
	v_lshrrev_b32_e32 v128, 16, v175
	v_and_b32_e32 v90, 0xffff, v175
	v_dual_lshrrev_b32 v88, 16, v176 :: v_dual_lshrrev_b32 v89, 16, v177
	v_and_b32_e32 v130, 0xffff, v176
	v_and_b32_e32 v129, 0xffff, v177
	v_pk_fma_f16 v175, v84, v168, v166
	v_pk_fma_f16 v173, v85, v168, v173
	;; [unrolled: 1-line block ×4, first 2 shown]
	ds_load_b128 v[166:169], v157 offset:34240
	v_mul_u32_u24_e32 v186, 0x10001, v200
	v_pk_fma_f16 v188, v85, v174, v139
	v_mul_u32_u24_e32 v139, 0x10001, v198
	v_pk_fma_f16 v187, v84, v174, v134
	v_pk_fma_f16 v189, v86, v174, v141
	;; [unrolled: 1-line block ×3, first 2 shown]
	s_wait_dscnt 0x7
	v_dual_lshrrev_b32 v132, 16, v178 :: v_dual_lshrrev_b32 v134, 16, v179
	v_pk_fma_f16 v183, v84, v186, v183
	v_pk_fma_f16 v184, v85, v186, v184
	;; [unrolled: 1-line block ×5, first 2 shown]
	v_and_b32_e32 v87, 0xffff, v178
	v_mul_u32_u24_e32 v178, 0x10001, v201
	v_pk_fma_f16 v146, v84, v139, v146
	v_mul_u32_u24_e32 v143, 0x10001, v203
	v_mul_u32_u24_e32 v190, 0x10001, v204
	v_pk_fma_f16 v147, v85, v139, v147
	v_pk_fma_f16 v187, v80, v178, v187
	;; [unrolled: 1-line block ×5, first 2 shown]
	v_mul_u32_u24_e32 v182, 0x10001, v202
	v_pk_fma_f16 v158, v86, v139, v158
	v_and_b32_e32 v86, 0xffff, v179
	v_dual_lshrrev_b32 v84, 16, v180 :: v_dual_lshrrev_b32 v85, 16, v181
	v_and_b32_e32 v141, 0xffff, v180
	v_and_b32_e32 v139, 0xffff, v181
	v_pk_fma_f16 v179, v80, v143, v175
	v_pk_fma_f16 v173, v81, v143, v173
	;; [unrolled: 1-line block ×9, first 2 shown]
	v_mul_u32_u24_e32 v80, 0x10001, v207
	ds_load_b128 v[174:177], v157 offset:34256
	s_wait_dscnt 0x1
	v_dual_lshrrev_b32 v143, 16, v166 :: v_dual_lshrrev_b32 v144, 16, v167
	v_pk_fma_f16 v192, v81, v182, v147
	v_pk_fma_f16 v193, v82, v182, v158
	;; [unrolled: 1-line block ×3, first 2 shown]
	v_and_b32_e32 v158, 0xffff, v167
	v_dual_lshrrev_b32 v146, 16, v168 :: v_dual_lshrrev_b32 v147, 16, v169
	v_and_b32_e32 v167, 0xffff, v169
	v_mul_u32_u24_e32 v169, 0x10001, v205
	v_pk_fma_f16 v179, v76, v80, v179
	v_pk_fma_f16 v173, v77, v80, v173
	;; [unrolled: 1-line block ×4, first 2 shown]
	ds_load_b128 v[80:83], v157 offset:34272
	v_mul_u32_u24_e32 v186, 0x10001, v208
	v_mul_u32_u24_e32 v194, 0x10001, v206
	v_pk_fma_f16 v187, v76, v169, v187
	v_pk_fma_f16 v188, v77, v169, v188
	;; [unrolled: 1-line block ×12, first 2 shown]
	ds_load_b128 v[76:79], v157 offset:34288
	v_mul_u32_u24_e32 v172, 0x10001, v172
	v_mul_u32_u24_e32 v157, 0x10001, v171
	v_mul_u32_u24_e32 v170, 0x10001, v170
	v_mul_u32_u24_e32 v145, 0x10001, v145
	v_mul_u32_u24_e32 v138, 0x10001, v138
	v_pk_fma_f16 v171, v68, v172, v179
	v_pk_fma_f16 v173, v69, v172, v173
	;; [unrolled: 1-line block ×4, first 2 shown]
	s_wait_dscnt 0x1
	v_lshrrev_b32_e32 v180, 16, v80
	v_pk_fma_f16 v181, v68, v157, v187
	v_pk_fma_f16 v187, v69, v157, v188
	;; [unrolled: 1-line block ×4, first 2 shown]
	v_lshrrev_b32_e32 v178, 16, v81
	v_pk_fma_f16 v183, v68, v170, v183
	v_pk_fma_f16 v184, v69, v170, v184
	;; [unrolled: 1-line block ×4, first 2 shown]
	v_and_b32_e32 v185, 0xffff, v80
	v_pk_fma_f16 v80, v68, v145, v190
	v_pk_fma_f16 v190, v69, v145, v192
	;; [unrolled: 1-line block ×4, first 2 shown]
	v_and_b32_e32 v182, 0xffff, v81
	v_dual_lshrrev_b32 v192, 16, v82 :: v_dual_lshrrev_b32 v193, 16, v83
	v_mul_u32_u24_e32 v81, 0x10001, v142
	v_and_b32_e32 v142, 0xffff, v82
	v_mul_u32_u24_e32 v82, 0x10001, v140
	v_mul_u32_u24_e32 v133, 0x10001, v133
	v_and_b32_e32 v196, 0xffff, v83
	v_pk_fma_f16 v83, v72, v81, v171
	v_pk_fma_f16 v140, v73, v81, v173
	;; [unrolled: 1-line block ×4, first 2 shown]
	s_wait_dscnt 0x0
	v_lshrrev_b32_e32 v172, 16, v76
	v_pk_fma_f16 v173, v72, v82, v181
	v_pk_fma_f16 v179, v73, v82, v187
	v_pk_fma_f16 v181, v74, v82, v188
	v_pk_fma_f16 v82, v75, v82, v157
	v_lshrrev_b32_e32 v157, 16, v77
	v_pk_fma_f16 v183, v72, v138, v183
	v_pk_fma_f16 v184, v73, v138, v184
	;; [unrolled: 1-line block ×4, first 2 shown]
	v_and_b32_e32 v170, 0xffff, v76
	v_pk_fma_f16 v80, v72, v133, v80
	v_pk_fma_f16 v188, v73, v133, v190
	;; [unrolled: 1-line block ×4, first 2 shown]
	v_and_b32_e32 v145, 0xffff, v77
	v_dual_lshrrev_b32 v190, 16, v78 :: v_dual_lshrrev_b32 v191, 16, v79
	v_and_b32_e32 v197, 0xffff, v78
	v_mul_u32_u24_e32 v76, 0x10001, v131
	v_mul_u32_u24_e32 v77, 0x10001, v122
	;; [unrolled: 1-line block ×4, first 2 shown]
	ds_load_2addr_b64 v[52:55], v165 offset1:32
	ds_load_2addr_b64 v[56:59], v165 offset0:64 offset1:96
	ds_load_2addr_b64 v[68:71], v165 offset0:128 offset1:160
	;; [unrolled: 1-line block ×3, first 2 shown]
	v_pk_fma_f16 v83, v64, v76, v83
	v_pk_fma_f16 v122, v65, v76, v140
	;; [unrolled: 1-line block ×11, first 2 shown]
	v_mul_u32_u24_e32 v115, 0x10001, v115
	v_mul_u32_u24_e32 v113, 0x10001, v113
	;; [unrolled: 1-line block ×3, first 2 shown]
	v_pk_fma_f16 v181, v64, v121, v80
	v_pk_fma_f16 v183, v65, v121, v188
	;; [unrolled: 1-line block ×3, first 2 shown]
	v_mul_u32_u24_e32 v112, 0x10001, v112
	v_pk_fma_f16 v82, v67, v77, v82
	v_pk_fma_f16 v121, v67, v121, v133
	;; [unrolled: 1-line block ×16, first 2 shown]
	v_mul_u32_u24_e32 v108, 0x10001, v108
	v_mul_u32_u24_e32 v103, 0x10001, v103
	;; [unrolled: 1-line block ×4, first 2 shown]
	v_pk_fma_f16 v113, v63, v113, v82
	v_pk_fma_f16 v112, v63, v112, v121
	v_mul_u32_u24_e32 v109, 0x10001, v109
	v_mul_u32_u24_e32 v104, 0x10001, v104
	v_mul_u32_u24_e32 v107, 0x10001, v107
	v_mul_u32_u24_e32 v101, 0x10001, v101
	v_pk_fma_f16 v133, v24, v108, v133
	v_pk_fma_f16 v131, v24, v103, v131
	v_pk_fma_f16 v171, v24, v106, v171
	v_pk_fma_f16 v24, v24, v100, v138
	v_pk_fma_f16 v122, v25, v108, v122
	v_pk_fma_f16 v138, v25, v103, v140
	v_pk_fma_f16 v140, v25, v106, v173
	v_pk_fma_f16 v25, v25, v100, v181
	v_pk_fma_f16 v123, v26, v108, v123
	v_pk_fma_f16 v165, v26, v103, v165
	v_pk_fma_f16 v173, v26, v106, v179
	v_pk_fma_f16 v26, v26, v100, v183
	v_pk_fma_f16 v108, v27, v108, v115
	v_pk_fma_f16 v103, v27, v103, v113
	v_pk_fma_f16 v106, v27, v106, v114
	v_pk_fma_f16 v27, v27, v100, v112
	v_mul_u32_u24_e32 v110, 0x10001, v110
	v_mul_u32_u24_e32 v105, 0x10001, v105
	v_mul_u32_u24_e32 v111, 0x10001, v111
	v_mul_u32_u24_e32 v102, 0x10001, v102
	v_pk_fma_f16 v100, v20, v109, v133
	v_pk_fma_f16 v112, v20, v104, v131
	v_pk_fma_f16 v113, v20, v107, v171
	v_pk_fma_f16 v20, v20, v101, v24
	v_pk_fma_f16 v24, v21, v109, v122
	v_pk_fma_f16 v114, v21, v104, v138
	v_pk_fma_f16 v115, v21, v107, v140
	v_pk_fma_f16 v21, v21, v101, v25
	v_pk_fma_f16 v25, v22, v109, v123
	v_pk_fma_f16 v122, v22, v104, v165
	v_pk_fma_f16 v123, v22, v107, v173
	v_pk_fma_f16 v22, v22, v101, v26
	v_pk_fma_f16 v26, v23, v109, v108
	v_pk_fma_f16 v103, v23, v104, v103
	;; [unrolled: 20-line block ×4, first 2 shown]
	v_pk_fma_f16 v26, v11, v118, v103
	v_pk_fma_f16 v11, v11, v117, v19
	v_mul_u32_u24_e32 v121, 0x10001, v126
	v_pk_fma_f16 v19, v4, v120, v23
	v_pk_fma_f16 v23, v4, v96, v27
	;; [unrolled: 1-line block ×13, first 2 shown]
	v_mul_u32_u24_e32 v99, 0x10001, v99
	v_mul_u32_u24_e32 v125, 0x10001, v125
	;; [unrolled: 1-line block ×3, first 2 shown]
	v_pk_fma_f16 v18, v7, v96, v22
	v_pk_fma_f16 v22, v7, v98, v26
	v_pk_fma_f16 v7, v7, v97, v11
	v_mul_u32_u24_e32 v126, 0x10001, v127
	v_pk_fma_f16 v11, v28, v121, v19
	v_pk_fma_f16 v8, v29, v121, v8
	v_pk_fma_f16 v9, v30, v121, v9
	v_pk_fma_f16 v10, v31, v121, v10
	v_mul_u32_u24_e32 v92, 0x10001, v92
	v_mul_u32_u24_e32 v94, 0x10001, v94
	v_mul_u32_u24_e32 v93, 0x10001, v93
	v_pk_fma_f16 v19, v28, v99, v23
	v_pk_fma_f16 v23, v28, v125, v27
	v_pk_fma_f16 v4, v28, v124, v4
	v_pk_fma_f16 v16, v29, v99, v16
	v_pk_fma_f16 v20, v29, v125, v20
	v_pk_fma_f16 v5, v29, v124, v5
	v_pk_fma_f16 v17, v30, v99, v17
	v_pk_fma_f16 v21, v30, v125, v21
	v_pk_fma_f16 v6, v30, v124, v6
	v_pk_fma_f16 v18, v31, v99, v18
	v_pk_fma_f16 v22, v31, v125, v22
	v_pk_fma_f16 v7, v31, v124, v7
	v_mul_u32_u24_e32 v91, 0x10001, v91
	v_pk_fma_f16 v11, v32, v126, v11
	v_pk_fma_f16 v8, v33, v126, v8
	v_pk_fma_f16 v9, v34, v126, v9
	v_pk_fma_f16 v10, v35, v126, v10
	v_mul_u32_u24_e32 v95, 0x10001, v95
	v_mul_u32_u24_e32 v90, 0x10001, v90
	v_mul_u32_u24_e32 v127, 0x10001, v128
	v_pk_fma_f16 v19, v32, v92, v19
	v_pk_fma_f16 v23, v32, v94, v23
	v_pk_fma_f16 v4, v32, v93, v4
	v_pk_fma_f16 v16, v33, v92, v16
	v_pk_fma_f16 v20, v33, v94, v20
	v_pk_fma_f16 v5, v33, v93, v5
	v_pk_fma_f16 v17, v34, v92, v17
	v_pk_fma_f16 v21, v34, v94, v21
	v_pk_fma_f16 v6, v34, v93, v6
	;; [unrolled: 20-line block ×4, first 2 shown]
	v_pk_fma_f16 v18, v43, v88, v18
	v_pk_fma_f16 v22, v43, v129, v22
	;; [unrolled: 1-line block ×3, first 2 shown]
	v_and_b32_e32 v166, 0xffff, v166
	v_mul_u32_u24_e32 v134, 0x10001, v141
	v_pk_fma_f16 v11, v44, v87, v11
	v_pk_fma_f16 v8, v45, v87, v8
	;; [unrolled: 1-line block ×4, first 2 shown]
	v_and_b32_e32 v198, 0xffff, v79
	ds_load_2addr_b64 v[76:79], v137 offset1:32
	ds_load_2addr_b64 v[64:67], v137 offset0:64 offset1:96
	ds_load_2addr_b64 v[80:83], v137 offset0:128 offset1:160
	;; [unrolled: 1-line block ×3, first 2 shown]
	v_mul_u32_u24_e32 v84, 0x10001, v84
	v_mul_u32_u24_e32 v137, 0x10001, v139
	;; [unrolled: 1-line block ×3, first 2 shown]
	v_pk_fma_f16 v19, v44, v130, v19
	v_pk_fma_f16 v23, v44, v86, v23
	;; [unrolled: 1-line block ×12, first 2 shown]
	v_and_b32_e32 v168, 0xffff, v168
	v_mul_u32_u24_e32 v139, 0x10001, v166
	v_pk_fma_f16 v11, v48, v134, v11
	v_pk_fma_f16 v8, v49, v134, v8
	;; [unrolled: 1-line block ×4, first 2 shown]
	v_mul_u32_u24_e32 v141, 0x10001, v143
	v_mul_u32_u24_e32 v143, 0x10001, v158
	;; [unrolled: 1-line block ×3, first 2 shown]
	v_pk_fma_f16 v19, v48, v84, v19
	v_pk_fma_f16 v23, v48, v137, v23
	;; [unrolled: 1-line block ×12, first 2 shown]
	v_dual_lshrrev_b32 v169, 16, v174 :: v_dual_lshrrev_b32 v186, 16, v175
	v_and_b32_e32 v174, 0xffff, v174
	v_mul_u32_u24_e32 v158, 0x10001, v168
	s_wait_dscnt 0x7
	v_pk_fma_f16 v11, v52, v139, v11
	v_pk_fma_f16 v8, v53, v139, v8
	;; [unrolled: 1-line block ×4, first 2 shown]
	v_and_b32_e32 v175, 0xffff, v175
	v_mul_u32_u24_e32 v146, 0x10001, v146
	v_mul_u32_u24_e32 v166, 0x10001, v167
	;; [unrolled: 1-line block ×3, first 2 shown]
	v_pk_fma_f16 v19, v52, v141, v19
	v_pk_fma_f16 v23, v52, v143, v23
	;; [unrolled: 1-line block ×12, first 2 shown]
	v_dual_lshrrev_b32 v194, 16, v176 :: v_dual_lshrrev_b32 v195, 16, v177
	v_and_b32_e32 v176, 0xffff, v176
	v_mul_u32_u24_e32 v167, 0x10001, v174
	s_wait_dscnt 0x6
	v_pk_fma_f16 v11, v56, v158, v11
	v_pk_fma_f16 v8, v57, v158, v8
	;; [unrolled: 1-line block ×4, first 2 shown]
	v_and_b32_e32 v177, 0xffff, v177
	v_mul_u32_u24_e32 v168, 0x10001, v169
	v_mul_u32_u24_e32 v169, 0x10001, v175
	v_mul_u32_u24_e32 v174, 0x10001, v186
	v_pk_fma_f16 v19, v56, v146, v19
	v_pk_fma_f16 v23, v56, v166, v23
	v_pk_fma_f16 v4, v56, v147, v4
	v_pk_fma_f16 v16, v57, v146, v16
	v_pk_fma_f16 v20, v57, v166, v20
	v_pk_fma_f16 v5, v57, v147, v5
	v_pk_fma_f16 v17, v58, v146, v17
	v_pk_fma_f16 v21, v58, v166, v21
	v_pk_fma_f16 v6, v58, v147, v6
	v_pk_fma_f16 v18, v59, v146, v18
	v_pk_fma_f16 v22, v59, v166, v22
	v_pk_fma_f16 v7, v59, v147, v7
	v_mul_u32_u24_e32 v175, 0x10001, v176
	s_wait_dscnt 0x5
	v_pk_fma_f16 v11, v68, v167, v11
	v_pk_fma_f16 v8, v69, v167, v8
	v_pk_fma_f16 v9, v70, v167, v9
	v_pk_fma_f16 v10, v71, v167, v10
	v_mul_u32_u24_e32 v176, 0x10001, v194
	v_mul_u32_u24_e32 v177, 0x10001, v177
	v_mul_u32_u24_e32 v184, 0x10001, v195
	v_pk_fma_f16 v19, v68, v168, v19
	v_pk_fma_f16 v23, v68, v169, v23
	v_pk_fma_f16 v4, v68, v174, v4
	v_pk_fma_f16 v16, v69, v168, v16
	v_pk_fma_f16 v20, v69, v169, v20
	v_pk_fma_f16 v5, v69, v174, v5
	v_pk_fma_f16 v17, v70, v168, v17
	v_pk_fma_f16 v21, v70, v169, v21
	v_pk_fma_f16 v6, v70, v174, v6
	v_pk_fma_f16 v18, v71, v168, v18
	v_pk_fma_f16 v22, v71, v169, v22
	v_pk_fma_f16 v7, v71, v174, v7
	v_mul_u32_u24_e32 v185, 0x10001, v185
	s_wait_dscnt 0x4
	v_pk_fma_f16 v11, v72, v175, v11
	v_pk_fma_f16 v8, v73, v175, v8
	v_pk_fma_f16 v9, v74, v175, v9
	v_pk_fma_f16 v10, v75, v175, v10
	;; [unrolled: 21-line block ×5, first 2 shown]
	v_mul_u32_u24_e32 v190, 0x10001, v190
	v_mul_u32_u24_e32 v192, 0x10001, v198
	;; [unrolled: 1-line block ×3, first 2 shown]
	v_pk_fma_f16 v19, v80, v172, v19
	v_pk_fma_f16 v23, v80, v145, v23
	;; [unrolled: 1-line block ×12, first 2 shown]
	s_wait_dscnt 0x0
	v_pk_fma_f16 v46, v60, v189, v11
	v_pk_fma_f16 v47, v61, v189, v8
	;; [unrolled: 1-line block ×4, first 2 shown]
	v_mov_b64_e32 v[10:11], v[2:3]
	v_mov_b64_e32 v[8:9], v[0:1]
	v_pk_fma_f16 v45, v60, v190, v19
	v_pk_fma_f16 v44, v60, v192, v23
	;; [unrolled: 1-line block ×12, first 2 shown]
	s_barrier_signal -1
	s_barrier_wait -1
.LBB70_137:
	v_cmp_lt_i32_e32 vcc_lo, v164, v159
	s_cmp_eq_u64 s[16:17], 0
	s_cselect_b32 s2, -1, 0
	s_cmp_lg_u32 s35, 0
	v_cndmask_b32_e32 v0, v156, v164, vcc_lo
	v_cmp_lt_i32_e32 vcc_lo, v163, v159
	s_cselect_b32 s3, -1, 0
	s_delay_alu instid0(SALU_CYCLE_1)
	s_or_b32 s2, s3, s2
	v_cndmask_b32_e32 v4, v156, v163, vcc_lo
	v_cmp_lt_i32_e32 vcc_lo, v162, v159
	v_lshlrev_b32_e32 v3, 2, v0
	ds_bpermute_b32 v0, v3, v8
	ds_bpermute_b32 v1, v3, v9
	s_wait_dscnt 0x0
	v_pk_add_f32 v[0:1], v[8:9], v[0:1]
	v_cndmask_b32_e32 v8, v156, v162, vcc_lo
	ds_bpermute_b32 v2, v3, v10
	ds_bpermute_b32 v3, v3, v11
	v_cmp_lt_i32_e32 vcc_lo, v161, v159
	v_lshlrev_b32_e32 v7, 2, v4
	v_lshlrev_b32_e32 v8, 2, v8
	ds_bpermute_b32 v4, v7, v0
	ds_bpermute_b32 v5, v7, v1
	s_wait_dscnt 0x2
	v_pk_add_f32 v[2:3], v[10:11], v[2:3]
	ds_bpermute_b32 v6, v7, v2
	ds_bpermute_b32 v7, v7, v3
	s_wait_dscnt 0x2
	v_pk_add_f32 v[0:1], v[0:1], v[4:5]
	;; [unrolled: 4-line block ×3, first 2 shown]
	ds_bpermute_b32 v6, v8, v2
	ds_bpermute_b32 v7, v8, v3
	v_cndmask_b32_e32 v8, v156, v161, vcc_lo
	s_wait_dscnt 0x2
	v_pk_add_f32 v[0:1], v[0:1], v[4:5]
	v_cmp_lt_i32_e32 vcc_lo, v160, v159
	s_delay_alu instid0(VALU_DEP_3)
	v_lshlrev_b32_e32 v8, 2, v8
	ds_bpermute_b32 v4, v8, v0
	ds_bpermute_b32 v5, v8, v1
	s_wait_dscnt 0x2
	v_pk_add_f32 v[2:3], v[2:3], v[6:7]
	ds_bpermute_b32 v6, v8, v2
	ds_bpermute_b32 v7, v8, v3
	v_cndmask_b32_e32 v8, v156, v160, vcc_lo
	s_and_b32 vcc_lo, exec_lo, s2
	s_delay_alu instid0(VALU_DEP_1)
	v_lshlrev_b32_e32 v8, 2, v8
	s_wait_dscnt 0x2
	v_pk_add_f32 v[0:1], v[0:1], v[4:5]
	s_wait_dscnt 0x0
	v_pk_add_f32 v[4:5], v[2:3], v[6:7]
	ds_bpermute_b32 v2, v8, v0
	ds_bpermute_b32 v3, v8, v1
	;; [unrolled: 1-line block ×4, first 2 shown]
	s_wait_dscnt 0x2
	v_pk_add_f32 v[2:3], v[0:1], v[2:3]
	s_wait_dscnt 0x0
	v_pk_add_f32 v[0:1], v[4:5], v[6:7]
	s_cbranch_vccnz .LBB70_139
; %bb.138:
	v_dual_mov_b32 v4, s33 :: v_dual_max_num_f32 v6, v14, v14
	v_dual_max_num_f32 v9, v15, v15 :: v_dual_max_num_f32 v5, v13, v13
	global_load_b32 v8, v4, s[16:17] scale_offset
	s_wait_xcnt 0x0
	v_max_num_f32_e32 v4, v12, v12
	s_wait_loadcnt 0x0
	v_max_num_f32_e32 v7, v8, v8
	s_delay_alu instid0(VALU_DEP_1) | instskip(SKIP_1) | instid1(VALU_DEP_2)
	v_dual_max_num_f32 v4, v4, v7 :: v_dual_max_num_f32 v5, v5, v7
	v_dual_max_num_f32 v6, v6, v7 :: v_dual_max_num_f32 v7, v9, v7
	v_dual_sub_f32 v9, v12, v4 :: v_dual_sub_f32 v11, v13, v5
	v_dual_sub_f32 v10, v8, v4 :: v_dual_sub_f32 v12, v8, v5
	s_delay_alu instid0(VALU_DEP_3) | instskip(NEXT) | instid1(VALU_DEP_4)
	v_dual_sub_f32 v13, v14, v6 :: v_dual_sub_f32 v14, v8, v6
	v_dual_sub_f32 v15, v15, v7 :: v_dual_sub_f32 v16, v8, v7
	s_delay_alu instid0(VALU_DEP_3) | instskip(NEXT) | instid1(VALU_DEP_4)
	v_dual_mul_f32 v8, 0x3fb8aa3b, v9 :: v_dual_mul_f32 v17, 0x3fb8aa3b, v10
	v_dual_mul_f32 v18, 0x3fb8aa3b, v11 :: v_dual_mul_f32 v19, 0x3fb8aa3b, v12
	s_delay_alu instid0(VALU_DEP_3) | instskip(NEXT) | instid1(VALU_DEP_3)
	v_dual_mul_f32 v22, 0x3fb8aa3b, v15 :: v_dual_mul_f32 v23, 0x3fb8aa3b, v16
	v_fma_f32 v24, 0x3fb8aa3b, v9, -v8
	v_rndne_f32_e32 v25, v8
	v_dual_mul_f32 v20, 0x3fb8aa3b, v13 :: v_dual_mul_f32 v21, 0x3fb8aa3b, v14
	v_fma_f32 v26, 0x3fb8aa3b, v10, -v17
	v_rndne_f32_e32 v27, v17
	v_rndne_f32_e32 v31, v19
	;; [unrolled: 1-line block ×3, first 2 shown]
	v_fmac_f32_e32 v24, 0x32a5705f, v9
	v_sub_f32_e32 v8, v8, v25
	v_fma_f32 v28, 0x3fb8aa3b, v11, -v18
	v_fma_f32 v30, 0x3fb8aa3b, v12, -v19
	v_rndne_f32_e32 v51, v21
	v_fma_f32 v52, 0x3fb8aa3b, v15, -v22
	v_dual_fmac_f32 v26, 0x32a5705f, v10 :: v_dual_sub_f32 v17, v17, v27
	v_dual_sub_f32 v19, v19, v31 :: v_dual_sub_f32 v22, v22, v53
	v_add_f32_e32 v8, v8, v24
	v_fma_f32 v50, 0x3fb8aa3b, v14, -v21
	v_sub_f32_e32 v21, v21, v51
	v_dual_fmac_f32 v28, 0x32a5705f, v11 :: v_dual_add_f32 v17, v17, v26
	s_delay_alu instid0(VALU_DEP_4)
	v_exp_f32_e32 v8, v8
	v_cvt_i32_f32_e32 v25, v25
	v_rndne_f32_e32 v29, v18
	v_cvt_i32_f32_e32 v27, v27
	v_exp_f32_e32 v17, v17
	v_cmp_ngt_f32_e32 vcc_lo, 0xc2ce8ed0, v9
	v_rndne_f32_e32 v49, v20
	v_ldexp_f32 v8, v8, v25
	v_rndne_f32_e32 v55, v23
	v_sub_f32_e32 v18, v18, v29
	v_fma_f32 v48, 0x3fb8aa3b, v13, -v20
	v_ldexp_f32 v17, v17, v27
	v_cndmask_b32_e32 v8, 0, v8, vcc_lo
	v_cmp_ngt_f32_e32 vcc_lo, 0xc2ce8ed0, v10
	v_fma_f32 v54, 0x3fb8aa3b, v16, -v23
	v_dual_fmac_f32 v50, 0x32a5705f, v14 :: v_dual_sub_f32 v23, v23, v55
	v_dual_sub_f32 v20, v20, v49 :: v_dual_add_f32 v18, v18, v28
	v_dual_cndmask_b32 v17, 0, v17 :: v_dual_fmac_f32 v30, 0x32a5705f, v12
	s_delay_alu instid0(VALU_DEP_3) | instskip(NEXT) | instid1(VALU_DEP_3)
	v_dual_add_f32 v21, v21, v50 :: v_dual_fmac_f32 v48, 0x32a5705f, v13
	v_exp_f32_e32 v18, v18
	v_cvt_i32_f32_e32 v29, v29
	s_delay_alu instid0(VALU_DEP_3)
	v_add_f32_e32 v19, v19, v30
	v_cvt_i32_f32_e32 v31, v31
	v_cmp_ngt_f32_e32 vcc_lo, 0xc2ce8ed0, v11
	v_cvt_i32_f32_e32 v49, v49
	v_exp_f32_e32 v21, v21
	v_exp_f32_e32 v19, v19
	v_ldexp_f32 v18, v18, v29
	v_add_f32_e32 v20, v20, v48
	v_cvt_i32_f32_e32 v51, v51
	v_cvt_i32_f32_e32 v55, v55
	;; [unrolled: 1-line block ×3, first 2 shown]
	v_cndmask_b32_e32 v18, 0, v18, vcc_lo
	v_ldexp_f32 v19, v19, v31
	v_cmp_ngt_f32_e32 vcc_lo, 0xc2ce8ed0, v12
	v_fmac_f32_e32 v54, 0x32a5705f, v16
	v_exp_f32_e32 v20, v20
	v_ldexp_f32 v21, v21, v51
	v_cndmask_b32_e32 v19, 0, v19, vcc_lo
	s_delay_alu instid0(VALU_DEP_3) | instskip(SKIP_1) | instid1(TRANS32_DEP_1)
	v_dual_fmac_f32 v52, 0x32a5705f, v15 :: v_dual_add_f32 v23, v23, v54
	v_cmp_ngt_f32_e32 vcc_lo, 0xc2ce8ed0, v13
	v_ldexp_f32 v20, v20, v49
	s_delay_alu instid0(VALU_DEP_3) | instskip(SKIP_1) | instid1(TRANS32_DEP_1)
	v_exp_f32_e32 v23, v23
	v_nop
	v_ldexp_f32 v23, v23, v55
	s_delay_alu instid0(VALU_DEP_3) | instskip(SKIP_2) | instid1(VALU_DEP_1)
	v_cndmask_b32_e32 v20, 0, v20, vcc_lo
	v_cmp_ngt_f32_e32 vcc_lo, 0xc2ce8ed0, v14
	v_dual_add_f32 v22, v22, v52 :: v_dual_cndmask_b32 v21, 0, v21
	v_exp_f32_e32 v22, v22
	v_cmp_ngt_f32_e32 vcc_lo, 0xc2ce8ed0, v15
	s_delay_alu instid0(TRANS32_DEP_1) | instskip(NEXT) | instid1(VALU_DEP_1)
	v_ldexp_f32 v22, v22, v53
	v_cndmask_b32_e32 v22, 0, v22, vcc_lo
	v_cmp_ngt_f32_e32 vcc_lo, 0xc2ce8ed0, v16
	v_cndmask_b32_e32 v23, 0, v23, vcc_lo
	v_cmp_nlt_f32_e32 vcc_lo, 0x42b17218, v9
	v_cndmask_b32_e32 v8, 0x7f800000, v8, vcc_lo
	v_cmp_nlt_f32_e32 vcc_lo, 0x42b17218, v10
	;; [unrolled: 2-line block ×3, first 2 shown]
	s_delay_alu instid0(VALU_DEP_4) | instskip(SKIP_2) | instid1(VALU_DEP_3)
	v_cvt_f16_f32_e32 v17, v8
	v_cndmask_b32_e32 v9, 0x7f800000, v18, vcc_lo
	v_cmp_nlt_f32_e32 vcc_lo, 0x42b17218, v12
	v_and_b32_e32 v17, 0xffff, v17
	v_cndmask_b32_e32 v11, 0x7f800000, v19, vcc_lo
	v_cmp_nlt_f32_e32 vcc_lo, 0x42b17218, v13
	s_delay_alu instid0(VALU_DEP_2) | instskip(SKIP_3) | instid1(VALU_DEP_3)
	v_pk_fma_f32 v[2:3], v[2:3], v[8:9], v[10:11]
	v_cndmask_b32_e32 v12, 0x7f800000, v20, vcc_lo
	v_cmp_nlt_f32_e32 vcc_lo, 0x42b17218, v14
	v_mul_u32_u24_e32 v11, 0x10001, v17
	v_cvt_f16_f32_e32 v18, v12
	v_cndmask_b32_e32 v14, 0x7f800000, v21, vcc_lo
	v_cmp_nlt_f32_e32 vcc_lo, 0x42b17218, v15
	s_delay_alu instid0(VALU_DEP_4)
	v_pk_mul_f16 v46, v46, v11
	v_pk_mul_f16 v47, v47, v11
	;; [unrolled: 1-line block ×4, first 2 shown]
	v_cndmask_b32_e32 v13, 0x7f800000, v22, vcc_lo
	v_cmp_nlt_f32_e32 vcc_lo, 0x42b17218, v16
	v_cvt_f16_f32_e32 v16, v9
	v_and_b32_e32 v9, 0xffff, v18
	s_delay_alu instid0(VALU_DEP_4) | instskip(SKIP_1) | instid1(VALU_DEP_4)
	v_cvt_f16_f32_e32 v19, v13
	v_cndmask_b32_e32 v15, 0x7f800000, v23, vcc_lo
	v_and_b32_e32 v8, 0xffff, v16
	s_delay_alu instid0(VALU_DEP_4) | instskip(NEXT) | instid1(VALU_DEP_4)
	v_mul_u32_u24_e32 v9, 0x10001, v9
	v_and_b32_e32 v10, 0xffff, v19
	s_delay_alu instid0(VALU_DEP_4) | instskip(NEXT) | instid1(VALU_DEP_4)
	v_pk_fma_f32 v[0:1], v[0:1], v[12:13], v[14:15]
	v_mul_u32_u24_e32 v8, 0x10001, v8
	v_mov_b64_e32 v[14:15], v[6:7]
	v_mov_b64_e32 v[12:13], v[4:5]
	v_mul_u32_u24_e32 v10, 0x10001, v10
	v_pk_mul_f16 v44, v44, v9
	v_pk_mul_f16 v45, v45, v8
	;; [unrolled: 1-line block ×12, first 2 shown]
.LBB70_139:
	s_mov_b32 s2, exec_lo
	v_cmpx_gt_i32_e64 s26, v155
	s_cbranch_execz .LBB70_159
; %bb.140:
	s_load_b32 s0, s[0:1], 0xd4
	v_mov_b32_e32 v4, 1.0
	s_wait_kmcnt 0x0
	s_cmp_lg_u32 s0, 1
	s_cselect_b32 s2, -1, 0
	s_cmp_eq_u32 s0, 1
	s_cselect_b32 s3, -1, 0
	s_and_b32 vcc_lo, exec_lo, s2
	s_cbranch_vccnz .LBB70_142
; %bb.141:
	v_div_scale_f32 v4, null, v2, v2, 1.0
	s_delay_alu instid0(VALU_DEP_1) | instskip(SKIP_1) | instid1(TRANS32_DEP_1)
	v_rcp_f32_e32 v5, v4
	v_nop
	v_fma_f32 v6, -v4, v5, 1.0
	s_delay_alu instid0(VALU_DEP_1) | instskip(SKIP_1) | instid1(VALU_DEP_1)
	v_fmac_f32_e32 v5, v6, v5
	v_div_scale_f32 v6, vcc_lo, 1.0, v2, 1.0
	v_mul_f32_e32 v7, v6, v5
	s_delay_alu instid0(VALU_DEP_1) | instskip(NEXT) | instid1(VALU_DEP_1)
	v_fma_f32 v8, -v4, v7, v6
	v_fmac_f32_e32 v7, v8, v5
	s_delay_alu instid0(VALU_DEP_1) | instskip(NEXT) | instid1(VALU_DEP_1)
	v_fma_f32 v4, -v4, v7, v6
	v_div_fmas_f32 v4, v4, v5, v7
	s_delay_alu instid0(VALU_DEP_1)
	v_div_fixup_f32 v4, v4, v2, 1.0
.LBB70_142:
	s_mul_i32 s1, s34, s26
	v_dual_lshrrev_b32 v7, 16, v46 :: v_dual_lshrrev_b32 v9, 16, v47
	s_add_co_i32 s1, s1, s42
	s_delay_alu instid0(SALU_CYCLE_1) | instskip(SKIP_3) | instid1(VALU_DEP_4)
	v_dual_mov_b32 v11, 0 :: v_dual_add_nc_u32 v5, s1, v154
	v_dual_lshrrev_b32 v17, 16, v43 :: v_dual_lshrrev_b32 v19, 16, v42
	v_cvt_f32_f16_e32 v6, v46
	v_cvt_f32_f16_e32 v8, v47
	v_mad_u32 v5, v5, s27, s33
	v_cvt_f32_f16_e32 v7, v7
	v_cvt_f32_f16_e32 v9, v9
	;; [unrolled: 1-line block ×6, first 2 shown]
	v_cmp_eq_u32_e32 vcc_lo, 0, v136
	v_mad_u32 v5, s0, v5, s35
	s_and_b32 s2, vcc_lo, s2
	s_delay_alu instid0(VALU_DEP_1)
	v_lshl_add_u32 v10, v5, 8, v148
	v_pk_mul_f32 v[6:7], v[4:5], v[6:7] op_sel_hi:[0,1]
	v_pk_mul_f32 v[8:9], v[4:5], v[8:9] op_sel_hi:[0,1]
	;; [unrolled: 1-line block ×4, first 2 shown]
	v_lshl_add_u64 v[20:21], v[10:11], 2, s[20:21]
	v_add_nc_u32_e32 v10, 0x80, v10
	s_delay_alu instid0(VALU_DEP_1)
	v_lshl_add_u64 v[10:11], v[10:11], 2, s[20:21]
	s_clause 0x1
	global_store_b128 v[20:21], v[6:9], off
	global_store_b128 v[10:11], v[16:19], off
	s_wait_xcnt 0x0
	s_and_saveexec_b32 s4, s2
	s_cbranch_execz .LBB70_144
; %bb.143:
	v_dual_mov_b32 v6, v12 :: v_dual_mov_b32 v7, v2
	global_store_b64 v5, v[6:7], s[22:23] scale_offset
.LBB70_144:
	s_wait_xcnt 0x0
	s_or_b32 exec_lo, exec_lo, s4
	v_cmp_gt_i32_e32 vcc_lo, s26, v153
	s_and_b32 exec_lo, exec_lo, vcc_lo
	s_cbranch_execz .LBB70_159
; %bb.145:
	v_cndmask_b32_e64 v4, 0, 1, s3
	v_mov_b32_e32 v2, 1.0
	s_and_not1_b32 vcc_lo, exec_lo, s3
	s_cbranch_vccnz .LBB70_147
; %bb.146:
	v_div_scale_f32 v2, null, v3, v3, 1.0
	s_delay_alu instid0(VALU_DEP_1) | instskip(SKIP_1) | instid1(TRANS32_DEP_1)
	v_rcp_f32_e32 v5, v2
	v_nop
	v_fma_f32 v6, -v2, v5, 1.0
	s_delay_alu instid0(VALU_DEP_1) | instskip(SKIP_1) | instid1(VALU_DEP_1)
	v_fmac_f32_e32 v5, v6, v5
	v_div_scale_f32 v6, vcc_lo, 1.0, v3, 1.0
	v_mul_f32_e32 v7, v6, v5
	s_delay_alu instid0(VALU_DEP_1) | instskip(NEXT) | instid1(VALU_DEP_1)
	v_fma_f32 v8, -v2, v7, v6
	v_fmac_f32_e32 v7, v8, v5
	s_delay_alu instid0(VALU_DEP_1) | instskip(NEXT) | instid1(VALU_DEP_1)
	v_fma_f32 v2, -v2, v7, v6
	v_div_fmas_f32 v2, v2, v5, v7
	s_delay_alu instid0(VALU_DEP_1)
	v_div_fixup_f32 v2, v2, v3, 1.0
.LBB70_147:
	v_dual_add_nc_u32 v5, s1, v152 :: v_dual_mov_b32 v11, 0
	v_dual_lshrrev_b32 v7, 16, v45 :: v_dual_lshrrev_b32 v12, 16, v40
	v_dual_lshrrev_b32 v9, 16, v41 :: v_dual_lshrrev_b32 v19, 16, v39
	s_delay_alu instid0(VALU_DEP_3)
	v_mad_u32 v5, v5, s27, s33
	v_cvt_f32_f16_e32 v6, v45
	v_cvt_f32_f16_e32 v8, v41
	;; [unrolled: 1-line block ×8, first 2 shown]
	v_pk_mul_f32 v[6:7], v[2:3], v[6:7] op_sel_hi:[0,1]
	v_pk_mul_f32 v[8:9], v[2:3], v[8:9] op_sel_hi:[0,1]
	v_mad_u32 v5, s0, v5, s35
	v_pk_mul_f32 v[16:17], v[2:3], v[16:17] op_sel_hi:[0,1]
	v_pk_mul_f32 v[18:19], v[2:3], v[18:19] op_sel_hi:[0,1]
	s_delay_alu instid0(VALU_DEP_3) | instskip(NEXT) | instid1(VALU_DEP_1)
	v_lshl_add_u32 v10, v5, 8, v148
	v_lshl_add_u64 v[20:21], v[10:11], 2, s[20:21]
	v_add_nc_u32_e32 v10, 0x80, v10
	s_delay_alu instid0(VALU_DEP_1)
	v_lshl_add_u64 v[10:11], v[10:11], 2, s[20:21]
	s_clause 0x1
	global_store_b128 v[20:21], v[6:9], off
	global_store_b128 v[10:11], v[16:19], off
	s_wait_xcnt 0x0
	s_and_saveexec_b32 s3, s2
	s_cbranch_execz .LBB70_149
; %bb.148:
	v_mov_b32_e32 v2, v13
	global_store_b64 v5, v[2:3], s[22:23] scale_offset
.LBB70_149:
	s_wait_xcnt 0x0
	s_or_b32 exec_lo, exec_lo, s3
	v_cmp_gt_i32_e32 vcc_lo, s26, v151
	s_and_b32 exec_lo, exec_lo, vcc_lo
	s_cbranch_execz .LBB70_159
; %bb.150:
	v_cmp_ne_u32_e32 vcc_lo, 1, v4
	v_mov_b32_e32 v2, 1.0
	s_cbranch_vccnz .LBB70_152
; %bb.151:
	v_div_scale_f32 v2, null, v0, v0, 1.0
	s_delay_alu instid0(VALU_DEP_1) | instskip(SKIP_1) | instid1(TRANS32_DEP_1)
	v_rcp_f32_e32 v3, v2
	v_nop
	v_fma_f32 v5, -v2, v3, 1.0
	s_delay_alu instid0(VALU_DEP_1) | instskip(SKIP_1) | instid1(VALU_DEP_1)
	v_fmac_f32_e32 v3, v5, v3
	v_div_scale_f32 v5, vcc_lo, 1.0, v0, 1.0
	v_mul_f32_e32 v6, v5, v3
	s_delay_alu instid0(VALU_DEP_1) | instskip(NEXT) | instid1(VALU_DEP_1)
	v_fma_f32 v7, -v2, v6, v5
	v_fmac_f32_e32 v6, v7, v3
	s_delay_alu instid0(VALU_DEP_1) | instskip(NEXT) | instid1(VALU_DEP_1)
	v_fma_f32 v2, -v2, v6, v5
	v_div_fmas_f32 v2, v2, v3, v6
	s_delay_alu instid0(VALU_DEP_1)
	v_div_fixup_f32 v2, v2, v0, 1.0
.LBB70_152:
	v_dual_add_nc_u32 v3, s1, v150 :: v_dual_mov_b32 v13, 0
	v_dual_lshrrev_b32 v5, 16, v44 :: v_dual_lshrrev_b32 v9, 16, v38
	v_dual_lshrrev_b32 v11, 16, v37 :: v_dual_lshrrev_b32 v17, 16, v36
	s_delay_alu instid0(VALU_DEP_3)
	v_mad_u32 v3, v3, s27, s33
	v_cvt_f32_f16_e32 v6, v44
	v_cvt_f32_f16_e32 v8, v38
	;; [unrolled: 1-line block ×8, first 2 shown]
	v_mad_u32 v3, s0, v3, s35
	s_delay_alu instid0(VALU_DEP_1) | instskip(SKIP_3) | instid1(VALU_DEP_4)
	v_lshl_add_u32 v12, v3, 8, v148
	v_pk_mul_f32 v[6:7], v[2:3], v[6:7] op_sel_hi:[0,1]
	v_pk_mul_f32 v[8:9], v[2:3], v[8:9] op_sel_hi:[0,1]
	;; [unrolled: 1-line block ×3, first 2 shown]
	v_lshl_add_u64 v[18:19], v[12:13], 2, s[20:21]
	v_add_nc_u32_e32 v12, 0x80, v12
	s_delay_alu instid0(VALU_DEP_1)
	v_lshl_add_u64 v[20:21], v[12:13], 2, s[20:21]
	v_pk_mul_f32 v[12:13], v[2:3], v[16:17] op_sel_hi:[0,1]
	s_clause 0x1
	global_store_b128 v[18:19], v[6:9], off
	global_store_b128 v[20:21], v[10:13], off
	s_wait_xcnt 0x0
	s_and_saveexec_b32 s3, s2
	s_cbranch_execz .LBB70_154
; %bb.153:
	v_dual_mov_b32 v6, v14 :: v_dual_mov_b32 v7, v0
	global_store_b64 v3, v[6:7], s[22:23] scale_offset
.LBB70_154:
	s_wait_xcnt 0x0
	s_or_b32 exec_lo, exec_lo, s3
	v_cmp_gt_i32_e32 vcc_lo, s26, v149
	s_and_b32 exec_lo, exec_lo, vcc_lo
	s_cbranch_execz .LBB70_159
; %bb.155:
	v_cmp_ne_u32_e32 vcc_lo, 1, v4
	v_mov_b32_e32 v0, 1.0
	s_cbranch_vccnz .LBB70_157
; %bb.156:
	v_div_scale_f32 v0, null, v1, v1, 1.0
	s_delay_alu instid0(VALU_DEP_1) | instskip(SKIP_1) | instid1(TRANS32_DEP_1)
	v_rcp_f32_e32 v2, v0
	v_nop
	v_fma_f32 v3, -v0, v2, 1.0
	s_delay_alu instid0(VALU_DEP_1) | instskip(SKIP_1) | instid1(VALU_DEP_1)
	v_fmac_f32_e32 v2, v3, v2
	v_div_scale_f32 v3, vcc_lo, 1.0, v1, 1.0
	v_mul_f32_e32 v4, v3, v2
	s_delay_alu instid0(VALU_DEP_1) | instskip(NEXT) | instid1(VALU_DEP_1)
	v_fma_f32 v5, -v0, v4, v3
	v_fmac_f32_e32 v4, v5, v2
	s_delay_alu instid0(VALU_DEP_1) | instskip(NEXT) | instid1(VALU_DEP_1)
	v_fma_f32 v0, -v0, v4, v3
	v_div_fmas_f32 v0, v0, v2, v4
	s_delay_alu instid0(VALU_DEP_1)
	v_div_fixup_f32 v0, v0, v1, 1.0
.LBB70_157:
	v_dual_mov_b32 v11, 0 :: v_dual_add_nc_u32 v2, s1, v135
	v_dual_lshrrev_b32 v3, 16, v35 :: v_dual_lshrrev_b32 v7, 16, v34
	v_dual_lshrrev_b32 v9, 16, v32 :: v_dual_lshrrev_b32 v13, 16, v33
	s_delay_alu instid0(VALU_DEP_3)
	v_mad_u32 v2, v2, s27, s33
	v_cvt_f32_f16_e32 v4, v35
	v_cvt_f32_f16_e32 v6, v34
	;; [unrolled: 1-line block ×8, first 2 shown]
	v_pk_mul_f32 v[4:5], v[0:1], v[4:5] op_sel_hi:[0,1]
	v_pk_mul_f32 v[6:7], v[0:1], v[6:7] op_sel_hi:[0,1]
	v_mad_u32 v2, s0, v2, s35
	v_pk_mul_f32 v[8:9], v[0:1], v[8:9] op_sel_hi:[0,1]
	s_delay_alu instid0(VALU_DEP_2) | instskip(NEXT) | instid1(VALU_DEP_1)
	v_lshl_add_u32 v10, v2, 8, v148
	v_lshl_add_u64 v[16:17], v[10:11], 2, s[20:21]
	v_add_nc_u32_e32 v10, 0x80, v10
	s_delay_alu instid0(VALU_DEP_1)
	v_lshl_add_u64 v[18:19], v[10:11], 2, s[20:21]
	v_pk_mul_f32 v[10:11], v[0:1], v[12:13] op_sel_hi:[0,1]
	s_clause 0x1
	global_store_b128 v[16:17], v[4:7], off
	global_store_b128 v[18:19], v[8:11], off
	s_wait_xcnt 0x0
	s_and_b32 exec_lo, exec_lo, s2
	s_cbranch_execz .LBB70_159
; %bb.158:
	v_mov_b32_e32 v0, v15
	global_store_b64 v2, v[0:1], s[22:23] scale_offset
.LBB70_159:
	s_sendmsg sendmsg(MSG_DEALLOC_VGPRS)
	s_endpgm
	.section	.rodata,"a",@progbits
	.p2align	6, 0x0
	.amdhsa_kernel _ZL15flash_attn_tileILi256ELi256ELi32ELi1ELb1EEvPKcS1_S1_S1_S1_PKiPfP15HIP_vector_typeIfLj2EEffffjfiS5_IjLj3EEiiiiiiiiiiiliiliiiiil
		.amdhsa_group_segment_fixed_size 37888
		.amdhsa_private_segment_fixed_size 32
		.amdhsa_kernarg_size 464
		.amdhsa_user_sgpr_count 2
		.amdhsa_user_sgpr_dispatch_ptr 0
		.amdhsa_user_sgpr_queue_ptr 0
		.amdhsa_user_sgpr_kernarg_segment_ptr 1
		.amdhsa_user_sgpr_dispatch_id 0
		.amdhsa_user_sgpr_kernarg_preload_length 0
		.amdhsa_user_sgpr_kernarg_preload_offset 0
		.amdhsa_user_sgpr_private_segment_size 0
		.amdhsa_wavefront_size32 1
		.amdhsa_uses_dynamic_stack 0
		.amdhsa_enable_private_segment 1
		.amdhsa_system_sgpr_workgroup_id_x 1
		.amdhsa_system_sgpr_workgroup_id_y 1
		.amdhsa_system_sgpr_workgroup_id_z 1
		.amdhsa_system_sgpr_workgroup_info 0
		.amdhsa_system_vgpr_workitem_id 1
		.amdhsa_next_free_vgpr 209
		.amdhsa_next_free_sgpr 48
		.amdhsa_named_barrier_count 0
		.amdhsa_reserve_vcc 1
		.amdhsa_float_round_mode_32 0
		.amdhsa_float_round_mode_16_64 0
		.amdhsa_float_denorm_mode_32 3
		.amdhsa_float_denorm_mode_16_64 3
		.amdhsa_fp16_overflow 0
		.amdhsa_memory_ordered 1
		.amdhsa_forward_progress 1
		.amdhsa_inst_pref_size 255
		.amdhsa_round_robin_scheduling 0
		.amdhsa_exception_fp_ieee_invalid_op 0
		.amdhsa_exception_fp_denorm_src 0
		.amdhsa_exception_fp_ieee_div_zero 0
		.amdhsa_exception_fp_ieee_overflow 0
		.amdhsa_exception_fp_ieee_underflow 0
		.amdhsa_exception_fp_ieee_inexact 0
		.amdhsa_exception_int_div_zero 0
	.end_amdhsa_kernel
	.section	.text._ZL15flash_attn_tileILi256ELi256ELi32ELi1ELb1EEvPKcS1_S1_S1_S1_PKiPfP15HIP_vector_typeIfLj2EEffffjfiS5_IjLj3EEiiiiiiiiiiiliiliiiiil,"axG",@progbits,_ZL15flash_attn_tileILi256ELi256ELi32ELi1ELb1EEvPKcS1_S1_S1_S1_PKiPfP15HIP_vector_typeIfLj2EEffffjfiS5_IjLj3EEiiiiiiiiiiiliiliiiiil,comdat
.Lfunc_end70:
	.size	_ZL15flash_attn_tileILi256ELi256ELi32ELi1ELb1EEvPKcS1_S1_S1_S1_PKiPfP15HIP_vector_typeIfLj2EEffffjfiS5_IjLj3EEiiiiiiiiiiiliiliiiiil, .Lfunc_end70-_ZL15flash_attn_tileILi256ELi256ELi32ELi1ELb1EEvPKcS1_S1_S1_S1_PKiPfP15HIP_vector_typeIfLj2EEffffjfiS5_IjLj3EEiiiiiiiiiiiliiliiiiil
                                        ; -- End function
	.set _ZL15flash_attn_tileILi256ELi256ELi32ELi1ELb1EEvPKcS1_S1_S1_S1_PKiPfP15HIP_vector_typeIfLj2EEffffjfiS5_IjLj3EEiiiiiiiiiiiliiliiiiil.num_vgpr, 209
	.set _ZL15flash_attn_tileILi256ELi256ELi32ELi1ELb1EEvPKcS1_S1_S1_S1_PKiPfP15HIP_vector_typeIfLj2EEffffjfiS5_IjLj3EEiiiiiiiiiiiliiliiiiil.num_agpr, 0
	.set _ZL15flash_attn_tileILi256ELi256ELi32ELi1ELb1EEvPKcS1_S1_S1_S1_PKiPfP15HIP_vector_typeIfLj2EEffffjfiS5_IjLj3EEiiiiiiiiiiiliiliiiiil.numbered_sgpr, 48
	.set _ZL15flash_attn_tileILi256ELi256ELi32ELi1ELb1EEvPKcS1_S1_S1_S1_PKiPfP15HIP_vector_typeIfLj2EEffffjfiS5_IjLj3EEiiiiiiiiiiiliiliiiiil.num_named_barrier, 0
	.set _ZL15flash_attn_tileILi256ELi256ELi32ELi1ELb1EEvPKcS1_S1_S1_S1_PKiPfP15HIP_vector_typeIfLj2EEffffjfiS5_IjLj3EEiiiiiiiiiiiliiliiiiil.private_seg_size, 32
	.set _ZL15flash_attn_tileILi256ELi256ELi32ELi1ELb1EEvPKcS1_S1_S1_S1_PKiPfP15HIP_vector_typeIfLj2EEffffjfiS5_IjLj3EEiiiiiiiiiiiliiliiiiil.uses_vcc, 1
	.set _ZL15flash_attn_tileILi256ELi256ELi32ELi1ELb1EEvPKcS1_S1_S1_S1_PKiPfP15HIP_vector_typeIfLj2EEffffjfiS5_IjLj3EEiiiiiiiiiiiliiliiiiil.uses_flat_scratch, 1
	.set _ZL15flash_attn_tileILi256ELi256ELi32ELi1ELb1EEvPKcS1_S1_S1_S1_PKiPfP15HIP_vector_typeIfLj2EEffffjfiS5_IjLj3EEiiiiiiiiiiiliiliiiiil.has_dyn_sized_stack, 0
	.set _ZL15flash_attn_tileILi256ELi256ELi32ELi1ELb1EEvPKcS1_S1_S1_S1_PKiPfP15HIP_vector_typeIfLj2EEffffjfiS5_IjLj3EEiiiiiiiiiiiliiliiiiil.has_recursion, 0
	.set _ZL15flash_attn_tileILi256ELi256ELi32ELi1ELb1EEvPKcS1_S1_S1_S1_PKiPfP15HIP_vector_typeIfLj2EEffffjfiS5_IjLj3EEiiiiiiiiiiiliiliiiiil.has_indirect_call, 0
	.section	.AMDGPU.csdata,"",@progbits
; Kernel info:
; codeLenInByte = 50400
; TotalNumSgprs: 50
; NumVgprs: 209
; ScratchSize: 32
; MemoryBound: 0
; FloatMode: 240
; IeeeMode: 1
; LDSByteSize: 37888 bytes/workgroup (compile time only)
; SGPRBlocks: 0
; VGPRBlocks: 13
; NumSGPRsForWavesPerEU: 50
; NumVGPRsForWavesPerEU: 209
; NamedBarCnt: 0
; Occupancy: 4
; WaveLimiterHint : 1
; COMPUTE_PGM_RSRC2:SCRATCH_EN: 1
; COMPUTE_PGM_RSRC2:USER_SGPR: 2
; COMPUTE_PGM_RSRC2:TRAP_HANDLER: 0
; COMPUTE_PGM_RSRC2:TGID_X_EN: 1
; COMPUTE_PGM_RSRC2:TGID_Y_EN: 1
; COMPUTE_PGM_RSRC2:TGID_Z_EN: 1
; COMPUTE_PGM_RSRC2:TIDIG_COMP_CNT: 1
	.section	.text._ZL15flash_attn_tileILi256ELi256ELi16ELi1ELb1EEvPKcS1_S1_S1_S1_PKiPfP15HIP_vector_typeIfLj2EEffffjfiS5_IjLj3EEiiiiiiiiiiiliiliiiiil,"axG",@progbits,_ZL15flash_attn_tileILi256ELi256ELi16ELi1ELb1EEvPKcS1_S1_S1_S1_PKiPfP15HIP_vector_typeIfLj2EEffffjfiS5_IjLj3EEiiiiiiiiiiiliiliiiiil,comdat
	.globl	_ZL15flash_attn_tileILi256ELi256ELi16ELi1ELb1EEvPKcS1_S1_S1_S1_PKiPfP15HIP_vector_typeIfLj2EEffffjfiS5_IjLj3EEiiiiiiiiiiiliiliiiiil ; -- Begin function _ZL15flash_attn_tileILi256ELi256ELi16ELi1ELb1EEvPKcS1_S1_S1_S1_PKiPfP15HIP_vector_typeIfLj2EEffffjfiS5_IjLj3EEiiiiiiiiiiiliiliiiiil
	.p2align	8
	.type	_ZL15flash_attn_tileILi256ELi256ELi16ELi1ELb1EEvPKcS1_S1_S1_S1_PKiPfP15HIP_vector_typeIfLj2EEffffjfiS5_IjLj3EEiiiiiiiiiiiliiliiiiil,@function
_ZL15flash_attn_tileILi256ELi256ELi16ELi1ELb1EEvPKcS1_S1_S1_S1_PKiPfP15HIP_vector_typeIfLj2EEffffjfiS5_IjLj3EEiiiiiiiiiiiliiliiiiil: ; @_ZL15flash_attn_tileILi256ELi256ELi16ELi1ELb1EEvPKcS1_S1_S1_S1_PKiPfP15HIP_vector_typeIfLj2EEffffjfiS5_IjLj3EEiiiiiiiiiiiliiliiiiil
; %bb.0:
	s_clause 0x1
	s_load_b128 s[20:23], s[0:1], 0x5c
	s_load_b64 s[2:3], s[0:1], 0x80
	s_bfe_u32 s6, ttmp6, 0x40014
	s_lshr_b32 s5, ttmp7, 16
	s_add_co_i32 s6, s6, 1
	s_bfe_u32 s7, ttmp6, 0x40008
	s_mul_i32 s6, s5, s6
	s_getreg_b32 s40, hwreg(HW_REG_IB_STS2, 6, 4)
	s_add_co_i32 s7, s7, s6
	s_load_b64 s[38:39], s[0:1], 0xb8
	s_mov_b32 s37, 0
	s_mov_b64 s[30:31], 0
	s_wait_kmcnt 0x0
	s_cvt_f32_u32 s4, s23
	s_sub_co_i32 s8, 0, s23
	s_delay_alu instid0(SALU_CYCLE_2) | instskip(SKIP_1) | instid1(TRANS32_DEP_1)
	v_rcp_iflag_f32_e32 v1, s4
	v_nop
	v_readfirstlane_b32 s4, v1
	s_mul_f32 s4, s4, 0x4f7ffffe
	s_delay_alu instid0(SALU_CYCLE_3) | instskip(NEXT) | instid1(SALU_CYCLE_3)
	s_cvt_u32_f32 s4, s4
	s_mul_i32 s8, s8, s4
	s_delay_alu instid0(SALU_CYCLE_1) | instskip(NEXT) | instid1(SALU_CYCLE_1)
	s_mul_hi_u32 s8, s4, s8
	s_add_co_i32 s4, s4, s8
	s_cmp_eq_u32 s40, 0
	s_cselect_b32 s5, s5, s7
	s_delay_alu instid0(SALU_CYCLE_1) | instskip(NEXT) | instid1(SALU_CYCLE_1)
	s_mul_hi_u32 s4, s5, s4
	s_mul_i32 s6, s4, s23
	s_add_co_i32 s7, s4, 1
	s_sub_co_i32 s6, s5, s6
	s_delay_alu instid0(SALU_CYCLE_1)
	s_sub_co_i32 s8, s6, s23
	s_cmp_ge_u32 s6, s23
	s_cselect_b32 s4, s7, s4
	s_cselect_b32 s6, s8, s6
	s_add_co_i32 s7, s4, 1
	s_cmp_ge_u32 s6, s23
	s_cselect_b32 s28, s7, s4
	s_abs_i32 s4, s3
	s_mul_i32 s8, s28, s23
	s_cvt_f32_u32 s6, s4
	s_sub_co_i32 s7, 0, s4
	s_abs_i32 s9, s23
	s_sub_co_i32 s33, s5, s8
	v_rcp_iflag_f32_e32 v1, s6
	s_xor_b32 s3, s23, s3
	s_delay_alu instid0(SALU_CYCLE_1) | instskip(SKIP_1) | instid1(TRANS32_DEP_1)
	s_ashr_i32 s3, s3, 31
	v_nop
	v_readfirstlane_b32 s6, v1
	s_mul_f32 s6, s6, 0x4f7ffffe
	s_delay_alu instid0(SALU_CYCLE_3) | instskip(NEXT) | instid1(SALU_CYCLE_3)
	s_cvt_u32_f32 s6, s6
	s_mul_i32 s7, s7, s6
	s_delay_alu instid0(SALU_CYCLE_1) | instskip(NEXT) | instid1(SALU_CYCLE_1)
	s_mul_hi_u32 s7, s6, s7
	s_add_co_i32 s6, s6, s7
	s_delay_alu instid0(SALU_CYCLE_1) | instskip(NEXT) | instid1(SALU_CYCLE_1)
	s_mul_hi_u32 s5, s9, s6
	s_mul_i32 s6, s5, s4
	s_add_co_i32 s7, s5, 1
	s_sub_co_i32 s6, s9, s6
	s_delay_alu instid0(SALU_CYCLE_1)
	s_sub_co_i32 s8, s6, s4
	s_cmp_ge_u32 s6, s4
	s_cselect_b32 s5, s7, s5
	s_cselect_b32 s6, s8, s6
	s_add_co_i32 s7, s5, 1
	s_cmp_ge_u32 s6, s4
	s_cselect_b32 s4, s7, s5
	s_abs_i32 s36, s33
	s_xor_b32 s4, s4, s3
	s_delay_alu instid0(SALU_CYCLE_1) | instskip(NEXT) | instid1(SALU_CYCLE_1)
	s_sub_co_i32 s29, s4, s3
	s_abs_i32 s3, s29
	s_delay_alu instid0(SALU_CYCLE_1) | instskip(SKIP_1) | instid1(SALU_CYCLE_2)
	s_cvt_f32_u32 s4, s3
	s_sub_co_i32 s25, 0, s3
	v_rcp_iflag_f32_e32 v1, s4
	s_load_b512 s[4:19], s[0:1], 0x0
	v_nop
	s_delay_alu instid0(TRANS32_DEP_1) | instskip(SKIP_1) | instid1(SALU_CYCLE_3)
	v_readfirstlane_b32 s24, v1
	s_mul_f32 s24, s24, 0x4f7ffffe
	s_cvt_u32_f32 s24, s24
	s_delay_alu instid0(SALU_CYCLE_3) | instskip(NEXT) | instid1(SALU_CYCLE_1)
	s_mul_i32 s25, s25, s24
	s_mul_hi_u32 s25, s24, s25
	s_delay_alu instid0(SALU_CYCLE_1)
	s_add_co_i32 s34, s24, s25
	s_wait_kmcnt 0x0
	s_cmp_eq_u64 s[10:11], 0
	s_cbranch_scc1 .LBB71_2
; %bb.1:
	s_abs_i32 s26, s38
	s_abs_i32 s27, s28
	s_cvt_f32_u32 s24, s26
	s_sub_co_i32 s25, 0, s26
	s_delay_alu instid0(SALU_CYCLE_2) | instskip(SKIP_1) | instid1(TRANS32_DEP_1)
	v_rcp_iflag_f32_e32 v1, s24
	v_nop
	v_readfirstlane_b32 s24, v1
	s_mul_f32 s24, s24, 0x4f7ffffe
	s_delay_alu instid0(SALU_CYCLE_3) | instskip(NEXT) | instid1(SALU_CYCLE_3)
	s_cvt_u32_f32 s24, s24
	s_mul_i32 s25, s25, s24
	s_delay_alu instid0(SALU_CYCLE_1) | instskip(NEXT) | instid1(SALU_CYCLE_1)
	s_mul_hi_u32 s25, s24, s25
	s_add_co_i32 s24, s24, s25
	s_delay_alu instid0(SALU_CYCLE_1) | instskip(SKIP_2) | instid1(SALU_CYCLE_1)
	s_mul_hi_u32 s30, s27, s24
	s_load_b64 s[24:25], s[0:1], 0xc8
	s_mul_i32 s30, s30, s26
	s_sub_co_i32 s27, s27, s30
	s_ashr_i32 s30, s28, 31
	s_sub_co_i32 s31, s27, s26
	s_cmp_ge_u32 s27, s26
	s_cselect_b32 s27, s31, s27
	s_delay_alu instid0(SALU_CYCLE_1) | instskip(SKIP_2) | instid1(SALU_CYCLE_1)
	s_sub_co_i32 s31, s27, s26
	s_cmp_ge_u32 s27, s26
	s_cselect_b32 s26, s31, s27
	s_xor_b32 s26, s26, s30
	s_delay_alu instid0(SALU_CYCLE_1) | instskip(NEXT) | instid1(SALU_CYCLE_1)
	s_sub_co_i32 s26, s26, s30
	s_ashr_i32 s27, s26, 31
	s_wait_kmcnt 0x0
	s_mul_u64 s[24:25], s[24:25], s[26:27]
	s_delay_alu instid0(SALU_CYCLE_1)
	s_add_nc_u64 s[30:31], s[10:11], s[24:25]
.LBB71_2:
	s_clause 0x1
	s_load_b128 s[24:27], s[0:1], 0x40
	s_load_b64 s[10:11], s[0:1], 0x50
	v_mov_b32_e32 v122, 1.0
	s_mov_b32 s35, s37
	s_wait_kmcnt 0x0
	s_cmp_le_f32 s25, 0
	s_cbranch_scc1 .LBB71_4
; %bb.3:
	v_sub_co_u32 v1, s10, s33, s10
	s_and_b32 s38, s10, exec_lo
	s_cselect_b32 s26, s26, s27
	s_add_co_i32 s27, s33, 1
	v_readfirstlane_b32 s25, v1
	s_lshl_b32 s25, s25, 1
	s_delay_alu instid0(SALU_CYCLE_1) | instskip(SKIP_4) | instid1(SALU_CYCLE_3)
	s_or_b32 s25, s25, 1
	s_and_b32 s10, s10, exec_lo
	s_cselect_b32 s10, s27, s25
	s_cmp_neq_f32 s26, 1.0
	s_cvt_f32_i32 s10, s10
	s_cselect_b32 s25, s10, 1.0
	s_delay_alu instid0(SALU_CYCLE_1) | instskip(SKIP_1) | instid1(SALU_CYCLE_1)
	s_cmp_neq_f32 s25, 0
	s_cselect_b32 s10, s26, 1.0
	v_cvt_f64_f32_e64 v[2:3], |s10|
	s_delay_alu instid0(VALU_DEP_1) | instskip(SKIP_1) | instid1(VALU_DEP_1)
	v_frexp_exp_i32_f64_e32 v1, v[2:3]
	v_frexp_mant_f32_e64 v2, |s10|
	v_readfirstlane_b32 s26, v2
	s_cmp_lt_f32 s26, 0x3f2aaaab
	s_cselect_b32 vcc_lo, -1, 0
	s_delay_alu instid0(SALU_CYCLE_1) | instskip(SKIP_1) | instid1(SALU_CYCLE_1)
	s_and_b32 s27, vcc_lo, exec_lo
	s_cselect_b32 s27, 2.0, 1.0
	s_mul_f32 s26, s26, s27
	s_delay_alu instid0(SALU_CYCLE_3) | instskip(SKIP_1) | instid1(SALU_CYCLE_2)
	s_add_f32 s27, s26, 1.0
	s_add_f32 s41, s26, -1.0
	v_s_rcp_f32 s38, s27
	s_add_f32 s44, s27, -1.0
	v_subrev_co_ci_u32_e64 v1, null, 0, v1, vcc_lo
	s_delay_alu instid0(SALU_CYCLE_2) | instskip(NEXT) | instid1(TRANS32_DEP_1)
	s_sub_f32 s26, s26, s44
	s_mul_f32 s42, s41, s38
	v_cvt_f32_i32_e32 v1, v1
	s_delay_alu instid0(SALU_CYCLE_2) | instskip(NEXT) | instid1(SALU_CYCLE_3)
	s_mul_f32 s43, s27, s42
	v_dual_mov_b32 v3, s41 :: v_dual_mov_b32 v4, s43
	s_xor_b32 s45, s43, 0x80000000
	s_delay_alu instid0(SALU_CYCLE_1) | instskip(NEXT) | instid1(SALU_CYCLE_3)
	s_fmac_f32 s45, s42, s27
	s_fmac_f32 s45, s42, s26
	s_delay_alu instid0(SALU_CYCLE_3) | instskip(SKIP_2) | instid1(SALU_CYCLE_1)
	s_add_f32 s26, s43, s45
	v_mov_b32_e32 v6, s45
	s_mov_b32 s43, 0x3e76c4e1
	s_sub_f32 s27, s41, s26
	v_dual_mov_b32 v2, s26 :: v_dual_mov_b32 v7, s26
	s_delay_alu instid0(SALU_CYCLE_2) | instskip(NEXT) | instid1(VALU_DEP_1)
	v_mov_b32_e32 v5, s27
	v_pk_add_f32 v[2:3], v[2:3], v[4:5] neg_lo:[0,1] neg_hi:[0,1]
	s_delay_alu instid0(VALU_DEP_1) | instskip(NEXT) | instid1(VALU_DEP_1)
	v_pk_add_f32 v[2:3], v[2:3], v[6:7] neg_lo:[0,1] neg_hi:[0,1]
	v_readfirstlane_b32 s26, v3
	s_delay_alu instid0(VALU_DEP_2) | instskip(SKIP_1) | instid1(SALU_CYCLE_3)
	v_readfirstlane_b32 s41, v2
	s_add_f32 s26, s41, s26
	s_add_f32 s26, s27, s26
	s_delay_alu instid0(SALU_CYCLE_3) | instskip(NEXT) | instid1(SALU_CYCLE_3)
	s_mul_f32 s27, s38, s26
	s_add_f32 s26, s42, s27
	s_delay_alu instid0(SALU_CYCLE_3) | instskip(SKIP_1) | instid1(SALU_CYCLE_2)
	s_sub_f32 s38, s26, s42
	s_mul_f32 s41, s26, s26
	s_sub_f32 s38, s27, s38
	s_delay_alu instid0(SALU_CYCLE_2) | instskip(NEXT) | instid1(SALU_CYCLE_1)
	s_xor_b32 s27, s41, 0x80000000
	s_fmac_f32 s27, s26, s26
	s_delay_alu instid0(SALU_CYCLE_1) | instskip(NEXT) | instid1(SALU_CYCLE_3)
	s_add_f32 s42, s38, s38
	s_fmac_f32 s27, s26, s42
	s_delay_alu instid0(SALU_CYCLE_3) | instskip(NEXT) | instid1(SALU_CYCLE_3)
	s_add_f32 s42, s41, s27
	s_fmaak_f32 s43, s42, s43, 0x3e91f4c4
	s_sub_f32 s41, s42, s41
	s_delay_alu instid0(SALU_CYCLE_2) | instskip(NEXT) | instid1(SALU_CYCLE_2)
	s_fmaak_f32 s43, s42, s43, 0x3ecccdef
	s_sub_f32 s41, s27, s41
	s_delay_alu instid0(SALU_CYCLE_2) | instskip(NEXT) | instid1(SALU_CYCLE_3)
	s_mul_f32 s44, s42, s43
	s_xor_b32 s45, s44, 0x80000000
	s_delay_alu instid0(SALU_CYCLE_1) | instskip(NEXT) | instid1(SALU_CYCLE_3)
	s_fmac_f32 s45, s42, s43
	s_fmac_f32 s45, s41, s43
	s_delay_alu instid0(SALU_CYCLE_3) | instskip(NEXT) | instid1(SALU_CYCLE_3)
	s_add_f32 s43, s44, s45
	s_sub_f32 s27, s43, s44
	s_add_f32 s44, s43, 0x3f2aaaaa
	s_delay_alu instid0(SALU_CYCLE_2) | instskip(NEXT) | instid1(SALU_CYCLE_2)
	s_sub_f32 s27, s45, s27
	s_add_f32 s45, s44, 0xbf2aaaaa
	s_delay_alu instid0(SALU_CYCLE_2) | instskip(NEXT) | instid1(SALU_CYCLE_2)
	s_add_f32 s27, s27, 0x31739010
	s_sub_f32 s43, s43, s45
	s_delay_alu instid0(SALU_CYCLE_2) | instskip(NEXT) | instid1(SALU_CYCLE_2)
	v_mov_b64_e32 v[2:3], s[26:27]
	v_mov_b64_e32 v[4:5], s[42:43]
	s_delay_alu instid0(VALU_DEP_1) | instskip(SKIP_2) | instid1(VALU_DEP_3)
	v_pk_mul_f32 v[6:7], v[2:3], v[4:5]
	v_pk_add_f32 v[2:3], v[2:3], v[4:5]
	v_mov_b32_e32 v9, s44
	v_xor_b32_e32 v8, 0x80000000, v6
	s_delay_alu instid0(VALU_DEP_3) | instskip(NEXT) | instid1(VALU_DEP_2)
	v_mov_b32_e32 v7, v3
	v_fmac_f32_e64 v8, s42, s26
	s_delay_alu instid0(VALU_DEP_1) | instskip(NEXT) | instid1(VALU_DEP_1)
	v_fmac_f32_e64 v8, s42, s38
	v_fmac_f32_e64 v8, s41, s26
	s_delay_alu instid0(VALU_DEP_1) | instskip(NEXT) | instid1(VALU_DEP_1)
	v_pk_add_f32 v[4:5], v[6:7], v[8:9]
	v_dual_mov_b32 v2, v5 :: v_dual_sub_f32 v7, s44, v5
	v_mul_f32_e32 v12, 0x3f317218, v1
	s_delay_alu instid0(VALU_DEP_2) | instskip(NEXT) | instid1(VALU_DEP_3)
	v_pk_mul_f32 v[10:11], v[4:5], v[2:3]
	v_add_f32_e32 v3, v3, v7
	s_delay_alu instid0(VALU_DEP_3) | instskip(NEXT) | instid1(VALU_DEP_3)
	v_xor_b32_e32 v7, 0x80000000, v12
	v_xor_b32_e32 v2, 0x80000000, v10
	s_delay_alu instid0(VALU_DEP_2) | instskip(NEXT) | instid1(VALU_DEP_2)
	v_dual_sub_f32 v6, v4, v6 :: v_dual_fmac_f32 v7, 0x3f317218, v1
	v_fmac_f32_e32 v2, v4, v5
	s_delay_alu instid0(VALU_DEP_2) | instskip(NEXT) | instid1(VALU_DEP_2)
	v_sub_f32_e32 v6, v8, v6
	v_fmac_f32_e32 v2, v4, v3
	s_delay_alu instid0(VALU_DEP_1) | instskip(SKIP_3) | instid1(VALU_DEP_2)
	v_fmac_f32_e32 v2, v6, v5
	v_fmamk_f32 v4, v1, 0xb102e308, v7
	v_ldexp_f32 v5, s26, 1
	v_ldexp_f32 v1, s38, 1
	v_dual_add_f32 v13, v10, v2 :: v_dual_mov_b32 v11, v5
	s_delay_alu instid0(VALU_DEP_1) | instskip(SKIP_1) | instid1(VALU_DEP_2)
	v_pk_add_f32 v[6:7], v[12:13], v[4:5]
	v_dual_mov_b32 v8, v13 :: v_dual_mov_b32 v3, v13
	v_dual_mov_b32 v9, v7 :: v_dual_mov_b32 v5, v6
	v_mov_b32_e32 v14, v7
	s_delay_alu instid0(VALU_DEP_2) | instskip(NEXT) | instid1(VALU_DEP_1)
	v_pk_add_f32 v[8:9], v[8:9], v[10:11] neg_lo:[0,1] neg_hi:[0,1]
	v_pk_add_f32 v[2:3], v[2:3], v[8:9] neg_lo:[0,1] neg_hi:[0,1]
	s_delay_alu instid0(VALU_DEP_1) | instskip(NEXT) | instid1(VALU_DEP_1)
	v_add_f32_e32 v1, v1, v2
	v_add_f32_e32 v13, v1, v3
	s_delay_alu instid0(VALU_DEP_1) | instskip(SKIP_1) | instid1(VALU_DEP_2)
	v_pk_add_f32 v[2:3], v[6:7], v[12:13]
	v_pk_add_f32 v[8:9], v[6:7], v[12:13] neg_lo:[0,1] neg_hi:[0,1]
	v_mov_b32_e32 v9, v3
	s_delay_alu instid0(VALU_DEP_1) | instskip(SKIP_2) | instid1(VALU_DEP_3)
	v_pk_add_f32 v[10:11], v[4:5], v[8:9]
	v_pk_add_f32 v[4:5], v[4:5], v[8:9] neg_lo:[0,1] neg_hi:[0,1]
	v_dual_mov_b32 v16, v3 :: v_dual_mov_b32 v5, v6
	v_dual_mov_b32 v12, v11 :: v_dual_mov_b32 v17, v11
	s_delay_alu instid0(VALU_DEP_3) | instskip(NEXT) | instid1(VALU_DEP_2)
	v_readfirstlane_b32 s26, v4
	v_pk_add_f32 v[8:9], v[12:13], v[6:7] neg_lo:[0,1] neg_hi:[0,1]
	s_delay_alu instid0(VALU_DEP_2) | instskip(NEXT) | instid1(VALU_DEP_2)
	v_dual_mov_b32 v4, v13 :: v_dual_mov_b32 v10, s26
	v_dual_mov_b32 v15, v8 :: v_dual_mov_b32 v1, v8
	s_delay_alu instid0(VALU_DEP_1) | instskip(NEXT) | instid1(VALU_DEP_2)
	v_pk_add_f32 v[6:7], v[16:17], v[14:15] neg_lo:[0,1] neg_hi:[0,1]
	v_pk_add_f32 v[2:3], v[2:3], v[0:1] neg_lo:[0,1] neg_hi:[0,1]
	v_mov_b32_e32 v2, s26
	s_delay_alu instid0(VALU_DEP_3) | instskip(NEXT) | instid1(VALU_DEP_1)
	v_pk_add_f32 v[4:5], v[4:5], v[6:7] neg_lo:[0,1] neg_hi:[0,1]
	v_pk_add_f32 v[2:3], v[2:3], v[4:5]
	s_delay_alu instid0(VALU_DEP_1) | instskip(NEXT) | instid1(VALU_DEP_2)
	v_readfirstlane_b32 s27, v2
	v_mov_b32_e32 v6, v3
	s_delay_alu instid0(VALU_DEP_1) | instskip(NEXT) | instid1(VALU_DEP_3)
	v_pk_add_f32 v[6:7], v[2:3], v[6:7]
	v_mov_b32_e32 v2, s27
	s_delay_alu instid0(VALU_DEP_2) | instskip(SKIP_1) | instid1(VALU_DEP_2)
	v_pk_add_f32 v[8:9], v[12:13], v[6:7]
	v_mov_b32_e32 v5, v6
	v_readfirstlane_b32 s38, v8
	s_delay_alu instid0(VALU_DEP_1) | instskip(NEXT) | instid1(VALU_DEP_1)
	v_mov_b32_e32 v3, s38
	v_pk_add_f32 v[2:3], v[2:3], v[10:11] neg_lo:[0,1] neg_hi:[0,1]
	s_delay_alu instid0(VALU_DEP_1) | instskip(NEXT) | instid1(VALU_DEP_2)
	v_readfirstlane_b32 s41, v2
	v_pk_add_f32 v[2:3], v[4:5], v[2:3] neg_lo:[0,1] neg_hi:[0,1]
	s_sub_f32 s27, s27, s41
	s_delay_alu instid0(VALU_DEP_1) | instskip(NEXT) | instid1(SALU_CYCLE_2)
	v_readfirstlane_b32 s41, v2
	s_sub_f32 s26, s26, s27
	v_readfirstlane_b32 s27, v3
	s_delay_alu instid0(SALU_CYCLE_2) | instskip(NEXT) | instid1(SALU_CYCLE_3)
	s_add_f32 s26, s41, s26
	s_add_f32 s26, s26, s27
	s_delay_alu instid0(SALU_CYCLE_3) | instskip(NEXT) | instid1(SALU_CYCLE_3)
	s_add_f32 s27, s38, s26
	s_mul_f32 s41, s25, s27
	s_sub_f32 s38, s27, s38
	s_delay_alu instid0(SALU_CYCLE_2) | instskip(NEXT) | instid1(SALU_CYCLE_2)
	s_xor_b32 s42, s41, 0x80000000
	s_sub_f32 s26, s26, s38
	s_fmac_f32 s42, s25, s27
	s_delay_alu instid0(SALU_CYCLE_3) | instskip(SKIP_1) | instid1(SALU_CYCLE_2)
	s_fmac_f32 s42, s25, s26
	v_cmp_class_f32_e64 s26, s41, 0x204
	s_add_f32 s27, s41, s42
	s_and_b32 s26, s26, exec_lo
	s_delay_alu instid0(SALU_CYCLE_2) | instskip(SKIP_1) | instid1(SALU_CYCLE_1)
	s_sub_f32 s26, s27, s41
	s_cselect_b32 s27, s41, s27
	s_and_b32 s38, s27, 0x7fffffff
	s_delay_alu instid0(SALU_CYCLE_1) | instskip(SKIP_1) | instid1(SALU_CYCLE_2)
	s_sub_f32 s26, s42, s26
	s_cmp_neq_f32 s38, 0x7f800000
	s_cselect_b32 s26, s26, 0
	s_cmp_eq_f32 s27, 0x42b17218
	s_cselect_b32 s38, 0x37000000, 0
	s_delay_alu instid0(SALU_CYCLE_1) | instskip(SKIP_1) | instid1(SALU_CYCLE_2)
	s_sub_f32 s27, s27, s38
	s_add_f32 s26, s38, s26
	s_mul_f32 s41, s27, 0x3fb8aa3b
	s_delay_alu instid0(SALU_CYCLE_3) | instskip(SKIP_3) | instid1(SALU_CYCLE_1)
	s_xor_b32 s42, s41, 0x80000000
	s_rndne_f32 s43, s41
	s_fmamk_f32 s42, s27, 0x3fb8aa3b, s42
	s_cmp_nlt_f32 s27, 0xc2ce8ed0
	s_sub_f32 s41, s41, s43
	s_delay_alu instid0(SALU_CYCLE_1)
	s_fmamk_f32 s42, s27, 0x32a5705f, s42
	s_cselect_b32 vcc_lo, -1, 0
	s_cmp_ngt_f32 s27, 0x42b17218
	s_trunc_f32 s27, s25
	s_add_f32 s41, s41, s42
	s_cvt_i32_f32 s42, s43
	s_delay_alu instid0(SALU_CYCLE_2)
	v_s_exp_f32 s41, s41
	v_nop
	s_delay_alu instid0(TRANS32_DEP_1) | instid1(SALU_CYCLE_1)
	v_ldexp_f32 v1, s41, s42
	s_mul_f32 s41, s25, 0.5
	s_delay_alu instid0(VALU_DEP_1) | instskip(SKIP_3) | instid1(VALU_DEP_1)
	v_cndmask_b32_e32 v1, 0, v1, vcc_lo
	s_cselect_b32 vcc_lo, -1, 0
	s_cmp_eq_f32 s27, s25
	s_trunc_f32 s42, s41
	v_cndmask_b32_e32 v1, 0x7f800000, v1, vcc_lo
	s_cselect_b32 s43, -1, 0
	s_delay_alu instid0(SALU_CYCLE_1) | instskip(NEXT) | instid1(VALU_DEP_1)
	s_cmp_neq_f32 s42, s41
	v_fma_f32 v2, s26, v1, v1
	v_cmp_class_f32_e64 vcc_lo, v1, 0x204
	s_cselect_b32 s38, -1, 0
	s_delay_alu instid0(SALU_CYCLE_1)
	s_and_b32 s26, s43, s38
	v_cndmask_b32_e32 v1, v2, v1, vcc_lo
	s_and_b32 s38, s26, exec_lo
	s_cselect_b32 s38, s10, 1.0
	s_cmp_eq_f32 s27, s25
	v_cmp_class_f32_e64 s27, s10, 0x204
	v_bfi_b32 v1, 0x7fffffff, v1, s38
	s_cselect_b32 vcc_lo, -1, 0
	s_cmp_lt_f32 s10, 0
	s_delay_alu instid0(VALU_DEP_1) | instskip(SKIP_2) | instid1(VALU_DEP_1)
	v_cndmask_b32_e32 v2, 0x7fc00000, v1, vcc_lo
	s_cselect_b32 vcc_lo, -1, 0
	s_cmp_eq_f32 s10, 0
	v_cndmask_b32_e32 v1, v1, v2, vcc_lo
	s_cselect_b32 s38, -1, 0
	s_delay_alu instid0(SALU_CYCLE_1) | instskip(SKIP_2) | instid1(SALU_CYCLE_1)
	s_or_b32 vcc_lo, s38, s27
	s_cmp_lt_f32 s25, 0
	s_cselect_b32 s25, -1, 0
	s_xor_b32 s25, s25, s38
	s_delay_alu instid0(SALU_CYCLE_1)
	s_and_b32 s25, s25, exec_lo
	s_cselect_b32 s25, 0, 0x7f800000
	s_and_b32 s26, s26, exec_lo
	s_cselect_b32 s26, s10, 0
	s_cmp_o_f32 s10, s10
	v_mov_b32_e32 v2, s26
	s_delay_alu instid0(VALU_DEP_1) | instskip(NEXT) | instid1(VALU_DEP_1)
	v_bfi_b32 v2, 0x7fffffff, s25, v2
	v_cndmask_b32_e32 v1, v1, v2, vcc_lo
	s_cselect_b32 vcc_lo, -1, 0
	s_delay_alu instid0(VALU_DEP_1)
	v_cndmask_b32_e32 v122, 0x7fc00000, v1, vcc_lo
.LBB71_4:
	s_bfe_u32 s10, ttmp6, 0x4000c
	s_and_b32 s25, ttmp6, 15
	s_add_co_i32 s10, s10, 1
	s_ashr_i32 s41, s33, 31
	s_mul_i32 s10, ttmp9, s10
	v_bfe_u32 v121, v0, 10, 10
	s_ashr_i32 s42, s29, 31
	s_add_co_i32 s25, s25, s10
	s_cmp_eq_u32 s40, 0
	s_load_b96 s[44:46], s[0:1], 0x70
	s_cselect_b32 s10, ttmp9, s25
	v_and_b32_e32 v117, 0x3ff, v0
	s_lshl_b32 s38, s10, 4
	v_dual_mov_b32 v109, 0 :: v_dual_lshlrev_b32 v114, 1, v121
	s_delay_alu instid0(VALU_DEP_2) | instskip(NEXT) | instid1(VALU_DEP_2)
	v_dual_lshlrev_b32 v108, 4, v117 :: v_dual_lshlrev_b32 v115, 2, v117
	v_or_b32_e32 v112, 1, v114
	s_delay_alu instid0(VALU_DEP_1) | instskip(NEXT) | instid1(VALU_DEP_1)
	v_dual_add_nc_u32 v113, s38, v112 :: v_dual_add_nc_u32 v116, s38, v114
	v_mul_hi_u32 v2, v113, s20
	s_delay_alu instid0(VALU_DEP_2)
	v_mul_hi_u32 v1, v116, s20
	s_wait_kmcnt 0x0
	s_mul_i32 s26, s28, s46
	s_mul_i32 s46, s33, s45
	s_ashr_i32 s27, s26, 31
	s_ashr_i32 s47, s46, 31
	s_add_nc_u64 s[4:5], s[4:5], s[26:27]
	s_ashr_i32 s45, s44, 31
	s_add_nc_u64 s[4:5], s[4:5], s[46:47]
	s_lshr_b64 s[26:27], s[44:45], 2
	v_add_nc_u64_e32 v[4:5], s[4:5], v[108:109]
	v_dual_add_nc_u32 v0, v113, v2 :: v_dual_add_nc_u32 v1, v116, v1
	s_mul_u64 s[4:5], s[36:37], s[34:35]
	s_mov_b32 s35, 0
	s_cmp_eq_u64 s[14:15], 0
	s_delay_alu instid0(VALU_DEP_1) | instskip(NEXT) | instid1(VALU_DEP_1)
	v_dual_lshrrev_b32 v0, s21, v0 :: v_dual_lshrrev_b32 v1, s21, v1
	v_mul_lo_u32 v2, v0, s22
	s_delay_alu instid0(VALU_DEP_2) | instskip(SKIP_1) | instid1(VALU_DEP_2)
	v_mul_lo_u32 v1, v1, s22
	v_mov_b32_e32 v93, v109
	v_dual_sub_nc_u32 v108, v113, v2 :: v_dual_sub_nc_u32 v92, v116, v1
	s_delay_alu instid0(VALU_DEP_1) | instskip(SKIP_1) | instid1(VALU_DEP_3)
	v_mul_u64_e32 v[0:1], s[26:27], v[92:93]
	v_lshlrev_b32_e32 v93, 3, v117
	v_mul_u64_e32 v[6:7], s[26:27], v[108:109]
	s_delay_alu instid0(VALU_DEP_3) | instskip(NEXT) | instid1(VALU_DEP_2)
	v_lshl_add_u64 v[16:17], v[0:1], 2, v[4:5]
	v_lshl_add_u64 v[18:19], v[6:7], 2, v[4:5]
	s_clause 0x3
	global_load_b128 v[0:3], v[16:17], off
	global_load_b128 v[4:7], v[16:17], off offset:512
	global_load_b128 v[8:11], v[18:19], off
	global_load_b128 v[12:15], v[18:19], off offset:512
	s_wait_xcnt 0x2
	v_add_nc_u32_e32 v16, 0x4200, v93
	s_wait_loadcnt 0x2
	v_fma_mixlo_f16 v4, s24, v4, 0
	v_fma_mixlo_f16 v0, s24, v0, 0
	;; [unrolled: 1-line block ×5, first 2 shown]
	v_lshlrev_b32_e32 v123, 10, v121
	v_fma_mixlo_f16 v5, s24, v5, 0
	v_fma_mixlo_f16 v6, s24, v6, 0
	v_fma_mixlo_f16 v7, s24, v7, 0
	s_wait_loadcnt 0x1
	v_fma_mixlo_f16 v8, s24, v8, 0
	v_fma_mixlo_f16 v9, s24, v9, 0
	s_wait_loadcnt 0x0
	v_fma_mixlo_f16 v12, s24, v12, 0
	v_fma_mixlo_f16 v13, s24, v13, 0
	v_lshlrev_b32_e32 v1, 16, v1
	v_and_b32_e32 v0, 0xffff, v0
	v_lshlrev_b32_e32 v3, 16, v3
	v_add_nc_u32_e32 v17, v16, v123
	v_and_b32_e32 v2, 0xffff, v2
	v_dual_lshlrev_b32 v5, 16, v5 :: v_dual_lshlrev_b32 v7, 16, v7
	v_and_b32_e32 v4, 0xffff, v4
	v_fma_mixlo_f16 v10, s24, v10, 0
	v_fma_mixlo_f16 v11, s24, v11, 0
	;; [unrolled: 1-line block ×4, first 2 shown]
	v_and_b32_e32 v6, 0xffff, v6
	s_delay_alu instid0(VALU_DEP_4) | instskip(SKIP_1) | instid1(VALU_DEP_4)
	v_dual_lshlrev_b32 v9, 16, v9 :: v_dual_lshlrev_b32 v11, 16, v11
	v_and_b32_e32 v8, 0xffff, v8
	v_dual_lshlrev_b32 v13, 16, v13 :: v_dual_lshlrev_b32 v15, 16, v15
	v_and_b32_e32 v12, 0xffff, v12
	v_or_b32_e32 v0, v1, v0
	v_or3_b32 v1, v3, v2, 0
	v_or_b32_e32 v2, v5, v4
	v_and_b32_e32 v10, 0xffff, v10
	v_and_b32_e32 v14, 0xffff, v14
	v_or3_b32 v3, v7, v6, 0
	v_or_b32_e32 v4, v9, v8
	v_or_b32_e32 v6, v13, v12
	v_or3_b32 v0, 0, 0, v0
	v_or3_b32 v2, 0, 0, v2
	v_lshl_add_u32 v16, v112, 9, v16
	v_or3_b32 v5, v11, v10, 0
	v_or3_b32 v7, v15, v14, 0
	;; [unrolled: 1-line block ×4, first 2 shown]
	ds_store_2addr_b64 v17, v[0:1], v[2:3] offset1:32
	ds_store_2addr_b64 v16, v[4:5], v[6:7] offset1:32
	s_wait_dscnt 0x0
	s_barrier_signal -1
	s_barrier_wait -1
	s_cbranch_scc1 .LBB71_6
; %bb.5:
	s_load_b32 s2, s[0:1], 0xd0
	s_wait_kmcnt 0x0
	s_mul_i32 s2, s2, s28
	s_delay_alu instid0(SALU_CYCLE_1)
	s_add_co_i32 s2, s2, s10
	s_load_b32 s2, s[14:15], s2 offset:0x0 scale_offset
.LBB71_6:
	s_wait_xcnt 0x0
	s_clause 0x2
	s_load_b64 s[14:15], s[0:1], 0x8c
	s_load_b128 s[24:27], s[0:1], 0x98
	s_load_b64 s[44:45], s[0:1], 0xa8
	s_mul_i32 s4, s5, s3
	s_mov_b32 s34, s20
	s_xor_b32 s20, s41, s42
	s_sub_co_i32 s41, s36, s4
	s_ashr_i32 s10, s39, 1
	s_ashr_i32 s29, s28, 31
	s_add_co_i32 s39, s5, 1
	s_sub_co_i32 s42, s41, s3
	v_mul_u32_u24_e32 v124, 0x210, v117
	v_mbcnt_lo_u32_b32 v118, -1, 0
	s_wait_kmcnt 0x0
	s_ashr_i32 s4, s14, 2
	s_ashr_i32 s14, s26, 2
	s_cmp_ge_u32 s41, s3
	s_mul_u64 s[24:25], s[24:25], s[28:29]
	s_cselect_b32 s5, s39, s5
	s_add_nc_u64 s[6:7], s[6:7], s[24:25]
	s_cselect_b32 s24, s42, s41
	s_add_co_i32 s25, s5, 1
	s_cmp_ge_u32 s24, s3
	v_mul_lo_u32 v96, s4, v121
	s_cselect_b32 s3, s25, s5
	v_mul_lo_u32 v90, s14, v121
	s_bfe_u32 s24, ttmp6, 0x40010
	s_xor_b32 s3, s3, s20
	s_and_b32 s5, ttmp7, 0xffff
	s_add_co_i32 s24, s24, 1
	s_sub_co_i32 s3, s3, s20
	s_bfe_u32 s25, ttmp6, 0x40004
	s_mul_i32 s20, s5, s24
	s_mul_i32 s24, s3, s15
	;; [unrolled: 1-line block ×3, first 2 shown]
	s_add_co_i32 s3, s25, s20
	s_ashr_i32 s25, s24, 31
	s_ashr_i32 s43, s42, 31
	s_cmp_eq_u32 s40, 0
	s_mul_u64 s[36:37], s[44:45], s[28:29]
	s_cselect_b32 s20, s5, s3
	v_dual_lshlrev_b32 v88, 2, v115 :: v_dual_ashrrev_i32 v97, 31, v96
	v_ashrrev_i32_e32 v91, 31, v90
	s_sub_co_i32 s3, s2, 32
	s_lshl_b32 s26, s20, 5
	s_add_nc_u64 s[8:9], s[8:9], s[36:37]
	s_add_nc_u64 s[6:7], s[6:7], s[24:25]
	s_cmp_ge_i32 s26, s3
	s_add_nc_u64 s[24:25], s[8:9], s[42:43]
	s_cbranch_scc1 .LBB71_24
; %bb.7:
	v_dual_mov_b32 v89, 0 :: v_dual_bitop2_b32 v0, 1, v116 bitop3:0x54
	s_ashr_i32 s5, s4, 31
	s_lshl_b32 s8, s4, 3
	s_cmp_lg_u64 s[30:31], 0
	s_delay_alu instid0(VALU_DEP_1) | instskip(SKIP_3) | instid1(VALU_DEP_2)
	v_dual_mov_b32 v1, v89 :: v_dual_add_nc_u32 v126, 0x4200, v123
	s_cselect_b32 s29, -1, 0
	s_lshl_b32 s9, s14, 3
	v_dual_mov_b32 v23, 0xfeffffff :: v_dual_add_nc_u32 v98, s8, v96
	v_mul_u64_e32 v[2:3], s[34:35], v[0:1]
	v_mul_lo_u32 v127, v92, s10
	v_mad_u32_u24 v125, 0x210, v121, v88
	v_lshl_add_u32 v129, v121, 9, v88
	v_lshl_add_u32 v128, v121, 7, 0x6200
	v_mbcnt_lo_u32_b32 v130, -1, 0
	s_delay_alu instid0(VALU_DEP_4)
	v_dual_mov_b32 v16, v89 :: v_dual_add_nc_u32 v131, 0x1080, v125
	v_dual_mov_b32 v17, v89 :: v_dual_add_nc_u32 v132, 0x2100, v125
	;; [unrolled: 1-line block ×6, first 2 shown]
	v_dual_mov_b32 v22, 0xfeffffff :: v_dual_mov_b32 v109, v89
	v_mov_b32_e32 v108, v89
	s_ashr_i32 s15, s14, 31
	s_mov_b32 s36, 0xbbbac73d
	v_add_nc_u32_e32 v100, s9, v90
	v_dual_add_nc_u32 v102, s8, v98 :: v_dual_ashrrev_i32 v99, 31, v98
	v_dual_mov_b32 v21, v89 :: v_dual_mov_b32 v120, v89
	s_delay_alu instid0(VALU_DEP_3) | instskip(NEXT) | instid1(VALU_DEP_3)
	v_dual_add_nc_u32 v104, s9, v100 :: v_dual_ashrrev_i32 v101, 31, v100
	v_dual_add_nc_u32 v106, s8, v102 :: v_dual_ashrrev_i32 v103, 31, v102
	s_delay_alu instid0(VALU_DEP_2) | instskip(NEXT) | instid1(VALU_DEP_1)
	v_dual_add_nc_u32 v1, v0, v3 :: v_dual_ashrrev_i32 v105, 31, v104
	v_dual_ashrrev_i32 v107, 31, v106 :: v_dual_lshrrev_b32 v1, s21, v1
	s_delay_alu instid0(VALU_DEP_1) | instskip(SKIP_2) | instid1(VALU_DEP_1)
	v_mul_lo_u32 v1, v1, s22
	v_add_nc_u32_e32 v110, s9, v104
	s_add_nc_u64 s[8:9], s[0:1], 0xd0
	v_dual_sub_nc_u32 v0, v0, v1 :: v_dual_ashrrev_i32 v111, 31, v110
	s_delay_alu instid0(VALU_DEP_1)
	v_mul_lo_u32 v137, v0, s10
.LBB71_8:                               ; =>This Inner Loop Header: Depth=1
	s_ashr_i32 s27, s26, 31
	v_mov_b32_e32 v34, 0
	s_mul_u64 s[40:41], s[26:27], s[4:5]
	s_delay_alu instid0(SALU_CYCLE_1) | instskip(NEXT) | instid1(SALU_CYCLE_1)
	s_lshl_b64 s[40:41], s[40:41], 2
	s_add_nc_u64 s[40:41], s[6:7], s[40:41]
	s_delay_alu instid0(SALU_CYCLE_1) | instskip(SKIP_3) | instid1(VALU_DEP_4)
	v_lshl_add_u64 v[0:1], v[96:97], 2, s[40:41]
	v_lshl_add_u64 v[2:3], v[98:99], 2, s[40:41]
	;; [unrolled: 1-line block ×4, first 2 shown]
	v_add_nc_u64_e32 v[24:25], v[0:1], v[88:89]
	s_delay_alu instid0(VALU_DEP_4) | instskip(NEXT) | instid1(VALU_DEP_4)
	v_add_nc_u64_e32 v[26:27], v[2:3], v[88:89]
	v_add_nc_u64_e32 v[28:29], v[4:5], v[88:89]
	s_delay_alu instid0(VALU_DEP_4)
	v_add_nc_u64_e32 v[30:31], v[6:7], v[88:89]
	s_clause 0x3
	global_load_b128 v[0:3], v[24:25], off
	global_load_b128 v[4:7], v[26:27], off
	;; [unrolled: 1-line block ×4, first 2 shown]
	s_wait_loadcnt 0x3
	ds_store_b128 v125, v[0:3]
	s_wait_loadcnt 0x2
	ds_store_b128 v131, v[4:7]
	;; [unrolled: 2-line block ×4, first 2 shown]
	s_wait_dscnt 0x0
	s_barrier_signal -1
	s_barrier_wait -1
	ds_load_b128 v[4:7], v124
	ds_load_b128 v[8:11], v126
	ds_load_b128 v[12:15], v126 offset:512
	v_mov_b32_e32 v2, 0
                                        ; implicit-def: $vgpr1
	s_wait_dscnt 0x1
	;;#ASMSTART
	v_dot2_f32_f16 v2, v4, v8, v2
	;;#ASMEND
	;;#ASMSTART
	v_dot2_f32_f16 v2, v5, v9, v2
	;;#ASMEND
	;;#ASMSTART
	v_dot2_f32_f16 v2, v6, v10, v2
	;;#ASMEND
	;;#ASMSTART
	v_dot2_f32_f16 v2, v7, v11, v2
	;;#ASMEND
	s_wait_dscnt 0x0
	;;#ASMSTART
	v_dot2_f32_f16 v34, v4, v12, v34
	;;#ASMEND
	;;#ASMSTART
	v_dot2_f32_f16 v34, v5, v13, v34
	;;#ASMEND
	;;#ASMSTART
	v_dot2_f32_f16 v34, v6, v14, v34
	;;#ASMEND
	;;#ASMSTART
	v_dot2_f32_f16 v34, v7, v15, v34
	;;#ASMEND
	ds_load_b128 v[4:7], v124 offset:16
	ds_load_b128 v[8:11], v126 offset:16
	ds_load_b128 v[12:15], v126 offset:528
	s_wait_dscnt 0x1
	;;#ASMSTART
	v_dot2_f32_f16 v2, v4, v8, v2
	;;#ASMEND
	;;#ASMSTART
	v_dot2_f32_f16 v2, v5, v9, v2
	;;#ASMEND
	;;#ASMSTART
	v_dot2_f32_f16 v2, v6, v10, v2
	;;#ASMEND
	;;#ASMSTART
	v_dot2_f32_f16 v2, v7, v11, v2
	;;#ASMEND
	s_wait_dscnt 0x0
	;;#ASMSTART
	v_dot2_f32_f16 v34, v4, v12, v34
	;;#ASMEND
	;;#ASMSTART
	v_dot2_f32_f16 v34, v5, v13, v34
	;;#ASMEND
	;;#ASMSTART
	v_dot2_f32_f16 v34, v6, v14, v34
	;;#ASMEND
	;;#ASMSTART
	v_dot2_f32_f16 v34, v7, v15, v34
	;;#ASMEND
	ds_load_b128 v[4:7], v124 offset:32
	ds_load_b128 v[8:11], v126 offset:32
	ds_load_b128 v[12:15], v126 offset:544
	;; [unrolled: 29-line block ×31, first 2 shown]
	s_wait_dscnt 0x1
	;;#ASMSTART
	v_dot2_f32_f16 v2, v4, v8, v2
	;;#ASMEND
	;;#ASMSTART
	v_dot2_f32_f16 v2, v5, v9, v2
	;;#ASMEND
	;; [unrolled: 3-line block ×4, first 2 shown]
	v_cmp_ngt_f32_e64 s37, 0x3f200000, |v2|
	s_wait_dscnt 0x0
	;;#ASMSTART
	v_dot2_f32_f16 v34, v4, v12, v34
	;;#ASMEND
	;;#ASMSTART
	v_dot2_f32_f16 v34, v5, v13, v34
	;;#ASMEND
	;; [unrolled: 3-line block ×4, first 2 shown]
	s_and_saveexec_b32 s39, s37
	s_delay_alu instid0(SALU_CYCLE_1)
	s_xor_b32 s37, exec_lo, s39
	s_cbranch_execnz .LBB71_12
; %bb.9:                                ;   in Loop: Header=BB71_8 Depth=1
	s_and_not1_saveexec_b32 s37, s37
	s_cbranch_execnz .LBB71_13
.LBB71_10:                              ;   in Loop: Header=BB71_8 Depth=1
	s_or_b32 exec_lo, exec_lo, s37
	v_add_nc_u32_e32 v0, s26, v117
	s_and_not1_b32 vcc_lo, exec_lo, s29
	s_cbranch_vccnz .LBB71_14
.LBB71_11:                              ;   in Loop: Header=BB71_8 Depth=1
	s_delay_alu instid0(VALU_DEP_1) | instskip(SKIP_3) | instid1(VALU_DEP_1)
	v_add_nc_u32_e32 v3, v0, v127
	global_load_u16 v3, v3, s[30:31] scale_offset
	s_wait_loadcnt 0x0
	v_cvt_f32_f16_e32 v3, v3
	v_mul_f32_e32 v25, v122, v3
	s_branch .LBB71_15
.LBB71_12:                              ;   in Loop: Header=BB71_8 Depth=1
	v_add_f32_e64 v0, |v2|, |v2|
	s_delay_alu instid0(VALU_DEP_1) | instskip(SKIP_1) | instid1(VALU_DEP_2)
	v_mul_f32_e32 v1, 0x3fb8aa3b, v0
	v_cmp_ngt_f32_e32 vcc_lo, 0xc2ce8ed0, v0
	v_rndne_f32_e32 v3, v1
	v_fma_f32 v4, 0x3fb8aa3b, v0, -v1
	s_delay_alu instid0(VALU_DEP_1) | instskip(SKIP_1) | instid1(VALU_DEP_2)
	v_dual_sub_f32 v1, v1, v3 :: v_dual_fmac_f32 v4, 0x32a5705f, v0
	v_cvt_i32_f32_e32 v3, v3
	v_add_f32_e32 v1, v1, v4
	s_delay_alu instid0(VALU_DEP_1) | instskip(SKIP_1) | instid1(TRANS32_DEP_1)
	v_exp_f32_e32 v1, v1
	v_nop
	v_ldexp_f32 v1, v1, v3
	s_delay_alu instid0(VALU_DEP_1) | instskip(SKIP_1) | instid1(VALU_DEP_2)
	v_cndmask_b32_e32 v1, 0, v1, vcc_lo
	v_cmp_nlt_f32_e32 vcc_lo, 0x42b17218, v0
	v_cndmask_b32_e32 v0, 0x7f800000, v1, vcc_lo
	s_delay_alu instid0(VALU_DEP_1) | instskip(NEXT) | instid1(VALU_DEP_1)
	v_add_f32_e32 v0, 1.0, v0
	v_rcp_f32_e32 v0, v0
	v_nop
	s_delay_alu instid0(TRANS32_DEP_1)
	v_fma_f32 v1, v0, -2.0, 1.0
	s_and_not1_saveexec_b32 s37, s37
	s_cbranch_execz .LBB71_10
.LBB71_13:                              ;   in Loop: Header=BB71_8 Depth=1
	v_mul_f32_e32 v0, v2, v2
	s_delay_alu instid0(VALU_DEP_1) | instskip(NEXT) | instid1(VALU_DEP_1)
	v_fmaak_f32 v1, s36, v0, 0x3ca908c9
	v_fmaak_f32 v1, v0, v1, 0xbd5c1c4e
	s_delay_alu instid0(VALU_DEP_1) | instskip(NEXT) | instid1(VALU_DEP_1)
	v_fmaak_f32 v1, v0, v1, 0x3e088382
	v_fmaak_f32 v1, v0, v1, 0xbeaaaa99
	s_delay_alu instid0(VALU_DEP_1) | instskip(NEXT) | instid1(VALU_DEP_1)
	v_mul_f32_e64 v1, |v2|, v1
	v_fma_f32 v1, v0, v1, |v2|
	s_or_b32 exec_lo, exec_lo, s37
	v_add_nc_u32_e32 v0, s26, v117
	s_and_not1_b32 vcc_lo, exec_lo, s29
	s_cbranch_vccz .LBB71_11
.LBB71_14:                              ;   in Loop: Header=BB71_8 Depth=1
	v_mov_b32_e32 v25, 0
.LBB71_15:                              ;   in Loop: Header=BB71_8 Depth=1
	v_bfi_b32 v1, 0x7fffffff, v1, v2
	v_xor_b32_e32 v2, 16, v130
	v_cmp_ngt_f32_e64 s37, 0x3f200000, |v34|
                                        ; implicit-def: $vgpr33
	s_delay_alu instid0(VALU_DEP_3) | instskip(NEXT) | instid1(VALU_DEP_3)
	v_fmac_f32_e32 v25, s11, v1
	v_cmp_gt_i32_e32 vcc_lo, 32, v2
	s_delay_alu instid0(VALU_DEP_2) | instskip(NEXT) | instid1(VALU_DEP_1)
	v_dual_cndmask_b32 v1, v130, v2 :: v_dual_add_f32 v2, 0x40051340, v25
	v_dual_max_num_f32 v3, v23, v23 :: v_dual_lshlrev_b32 v26, 2, v1
	s_delay_alu instid0(VALU_DEP_1) | instskip(SKIP_1) | instid1(VALU_DEP_1)
	v_max_num_f32_e32 v1, v3, v2
	v_xor_b32_e32 v3, 8, v130
	v_cmp_gt_i32_e32 vcc_lo, 32, v3
	v_cndmask_b32_e32 v3, v130, v3, vcc_lo
	ds_bpermute_b32 v2, v26, v1
	v_dual_lshlrev_b32 v27, 2, v3 :: v_dual_bitop2_b32 v3, 4, v130 bitop3:0x14
	s_delay_alu instid0(VALU_DEP_1) | instskip(SKIP_2) | instid1(VALU_DEP_1)
	v_cmp_gt_i32_e32 vcc_lo, 32, v3
	v_cndmask_b32_e32 v3, v130, v3, vcc_lo
	s_wait_dscnt 0x0
	v_dual_max_num_f32 v2, v2, v2 :: v_dual_lshlrev_b32 v28, 2, v3
	v_xor_b32_e32 v3, 2, v130
	s_delay_alu instid0(VALU_DEP_2) | instskip(NEXT) | instid1(VALU_DEP_2)
	v_max_num_f32_e32 v1, v1, v2
	v_cmp_gt_i32_e32 vcc_lo, 32, v3
	ds_bpermute_b32 v2, v27, v1
	v_cndmask_b32_e32 v3, v130, v3, vcc_lo
	s_delay_alu instid0(VALU_DEP_1) | instskip(NEXT) | instid1(VALU_DEP_1)
	v_dual_lshlrev_b32 v29, 2, v3 :: v_dual_bitop2_b32 v3, 1, v130 bitop3:0x14
	v_cmp_gt_i32_e32 vcc_lo, 32, v3
	v_cndmask_b32_e32 v3, v130, v3, vcc_lo
	s_wait_dscnt 0x0
	s_delay_alu instid0(VALU_DEP_1) | instskip(NEXT) | instid1(VALU_DEP_1)
	v_dual_max_num_f32 v2, v2, v2 :: v_dual_lshlrev_b32 v31, 2, v3
	v_max_num_f32_e32 v1, v1, v2
	ds_bpermute_b32 v2, v28, v1
	s_wait_dscnt 0x0
	v_max_num_f32_e32 v2, v2, v2
	s_delay_alu instid0(VALU_DEP_1) | instskip(SKIP_3) | instid1(VALU_DEP_1)
	v_max_num_f32_e32 v1, v1, v2
	ds_bpermute_b32 v2, v29, v1
	s_wait_dscnt 0x0
	v_max_num_f32_e32 v2, v2, v2
	v_max_num_f32_e32 v30, v1, v2
	ds_bpermute_b32 v32, v31, v30
	s_and_saveexec_b32 s39, s37
	s_delay_alu instid0(SALU_CYCLE_1)
	s_xor_b32 s37, exec_lo, s39
	s_cbranch_execnz .LBB71_19
; %bb.16:                               ;   in Loop: Header=BB71_8 Depth=1
	s_and_not1_saveexec_b32 s37, s37
	s_cbranch_execnz .LBB71_20
.LBB71_17:                              ;   in Loop: Header=BB71_8 Depth=1
	s_or_b32 exec_lo, exec_lo, s37
	s_delay_alu instid0(SALU_CYCLE_1)
	s_and_not1_b32 vcc_lo, exec_lo, s29
	s_cbranch_vccnz .LBB71_21
.LBB71_18:                              ;   in Loop: Header=BB71_8 Depth=1
	v_add_nc_u32_e32 v0, v0, v137
	global_load_u16 v0, v0, s[30:31] scale_offset
	s_wait_loadcnt 0x0
	v_cvt_f32_f16_e32 v0, v0
	s_delay_alu instid0(VALU_DEP_1)
	v_mul_f32_e32 v24, v122, v0
	s_branch .LBB71_22
.LBB71_19:                              ;   in Loop: Header=BB71_8 Depth=1
	v_add_f32_e64 v1, |v34|, |v34|
	s_delay_alu instid0(VALU_DEP_1) | instskip(SKIP_1) | instid1(VALU_DEP_2)
	v_mul_f32_e32 v2, 0x3fb8aa3b, v1
	v_cmp_ngt_f32_e32 vcc_lo, 0xc2ce8ed0, v1
	v_rndne_f32_e32 v3, v2
	v_fma_f32 v4, 0x3fb8aa3b, v1, -v2
	s_delay_alu instid0(VALU_DEP_2) | instskip(NEXT) | instid1(VALU_DEP_2)
	v_sub_f32_e32 v2, v2, v3
	v_fmac_f32_e32 v4, 0x32a5705f, v1
	v_cvt_i32_f32_e32 v3, v3
	s_delay_alu instid0(VALU_DEP_2) | instskip(NEXT) | instid1(VALU_DEP_1)
	v_add_f32_e32 v2, v2, v4
	v_exp_f32_e32 v2, v2
	v_nop
	s_delay_alu instid0(TRANS32_DEP_1) | instskip(NEXT) | instid1(VALU_DEP_1)
	v_ldexp_f32 v2, v2, v3
	v_cndmask_b32_e32 v2, 0, v2, vcc_lo
	v_cmp_nlt_f32_e32 vcc_lo, 0x42b17218, v1
	s_delay_alu instid0(VALU_DEP_2) | instskip(NEXT) | instid1(VALU_DEP_1)
	v_cndmask_b32_e32 v1, 0x7f800000, v2, vcc_lo
	v_add_f32_e32 v1, 1.0, v1
	s_delay_alu instid0(VALU_DEP_1) | instskip(SKIP_1) | instid1(TRANS32_DEP_1)
	v_rcp_f32_e32 v1, v1
	v_nop
	v_fma_f32 v33, v1, -2.0, 1.0
	s_and_not1_saveexec_b32 s37, s37
	s_cbranch_execz .LBB71_17
.LBB71_20:                              ;   in Loop: Header=BB71_8 Depth=1
	v_mul_f32_e32 v1, v34, v34
	s_delay_alu instid0(VALU_DEP_1) | instskip(NEXT) | instid1(VALU_DEP_1)
	v_fmaak_f32 v2, s36, v1, 0x3ca908c9
	v_fmaak_f32 v2, v1, v2, 0xbd5c1c4e
	s_delay_alu instid0(VALU_DEP_1) | instskip(NEXT) | instid1(VALU_DEP_1)
	v_fmaak_f32 v2, v1, v2, 0x3e088382
	v_fmaak_f32 v2, v1, v2, 0xbeaaaa99
	s_delay_alu instid0(VALU_DEP_1) | instskip(NEXT) | instid1(VALU_DEP_1)
	v_mul_f32_e64 v2, |v34|, v2
	v_fma_f32 v33, v1, v2, |v34|
	s_or_b32 exec_lo, exec_lo, s37
	s_delay_alu instid0(SALU_CYCLE_1)
	s_and_not1_b32 vcc_lo, exec_lo, s29
	s_cbranch_vccz .LBB71_18
.LBB71_21:                              ;   in Loop: Header=BB71_8 Depth=1
	v_mov_b32_e32 v24, 0
.LBB71_22:                              ;   in Loop: Header=BB71_8 Depth=1
	s_mul_u64 s[40:41], s[26:27], s[14:15]
	s_wait_dscnt 0x0
	s_lshl_b64 s[40:41], s[40:41], 2
	s_barrier_signal -1
	s_add_nc_u64 s[40:41], s[24:25], s[40:41]
	s_barrier_wait -1
	v_lshl_add_u64 v[0:1], v[90:91], 2, s[40:41]
	v_lshl_add_u64 v[2:3], v[100:101], 2, s[40:41]
	;; [unrolled: 1-line block ×4, first 2 shown]
	s_delay_alu instid0(VALU_DEP_4) | instskip(NEXT) | instid1(VALU_DEP_4)
	v_add_nc_u64_e32 v[36:37], v[0:1], v[88:89]
	v_add_nc_u64_e32 v[38:39], v[2:3], v[88:89]
	s_delay_alu instid0(VALU_DEP_4) | instskip(NEXT) | instid1(VALU_DEP_4)
	v_add_nc_u64_e32 v[40:41], v[4:5], v[88:89]
	v_add_nc_u64_e32 v[42:43], v[6:7], v[88:89]
	v_bfi_b32 v33, 0x7fffffff, v33, v34
	v_add_nc_u32_e32 v139, 0x3000, v93
	v_add_nc_u32_e32 v138, 0x3800, v93
	s_clause 0x3
	global_load_b128 v[0:3], v[36:37], off
	global_load_b128 v[4:7], v[38:39], off
	global_load_b128 v[8:11], v[40:41], off
	global_load_b128 v[12:15], v[42:43], off
	v_dual_fmac_f32 v24, s11, v33 :: v_dual_max_num_f32 v33, v22, v22
	s_delay_alu instid0(VALU_DEP_1) | instskip(NEXT) | instid1(VALU_DEP_1)
	v_add_f32_e32 v34, 0x40051340, v24
	v_max_num_f32_e32 v33, v33, v34
	ds_bpermute_b32 v26, v26, v33
	s_wait_dscnt 0x0
	v_max_num_f32_e32 v26, v26, v26
	s_delay_alu instid0(VALU_DEP_1) | instskip(SKIP_3) | instid1(VALU_DEP_1)
	v_max_num_f32_e32 v26, v33, v26
	ds_bpermute_b32 v27, v27, v26
	s_wait_dscnt 0x0
	v_max_num_f32_e32 v27, v27, v27
	v_max_num_f32_e32 v26, v26, v27
	ds_bpermute_b32 v27, v28, v26
	s_wait_dscnt 0x0
	v_max_num_f32_e32 v27, v27, v27
	s_delay_alu instid0(VALU_DEP_1) | instskip(SKIP_3) | instid1(VALU_DEP_1)
	v_max_num_f32_e32 v26, v26, v27
	ds_bpermute_b32 v27, v29, v26
	s_wait_dscnt 0x0
	v_max_num_f32_e32 v27, v27, v27
	v_dual_max_num_f32 v29, v26, v27 :: v_dual_max_num_f32 v26, v32, v32
	v_max_num_f32_e32 v27, v30, v30
	ds_bpermute_b32 v31, v31, v29
	v_dual_max_num_f32 v94, v27, v26 :: v_dual_add_nc_u32 v27, 0x1000, v93
	v_add_nc_u32_e32 v26, 0x800, v93
	s_delay_alu instid0(VALU_DEP_2) | instskip(SKIP_1) | instid1(VALU_DEP_2)
	v_dual_sub_f32 v28, v23, v94 :: v_dual_sub_f32 v30, v25, v94
	v_add_nc_u32_e32 v23, v128, v115
	v_mul_f32_e32 v25, 0x3fb8aa3b, v28
	v_cmp_ngt_f32_e32 vcc_lo, 0xc2ce8ed0, v28
	s_delay_alu instid0(VALU_DEP_2) | instskip(SKIP_3) | instid1(VALU_DEP_2)
	v_fma_f32 v33, 0x3fb8aa3b, v28, -v25
	v_rndne_f32_e32 v34, v25
	s_wait_dscnt 0x0
	v_dual_max_num_f32 v31, v31, v31 :: v_dual_add_nc_u32 v140, 0x2800, v93
	v_dual_sub_f32 v25, v25, v34 :: v_dual_add_nc_u32 v142, 0x1800, v93
	v_cvt_i32_f32_e32 v34, v34
	s_delay_alu instid0(VALU_DEP_3) | instskip(NEXT) | instid1(VALU_DEP_1)
	v_dual_max_num_f32 v95, v29, v31 :: v_dual_mul_f32 v32, 0x3fb8aa3b, v30
	v_dual_sub_f32 v22, v22, v95 :: v_dual_add_nc_u32 v141, 0x2000, v93
	v_sub_f32_e32 v35, v24, v95
	s_delay_alu instid0(VALU_DEP_3) | instskip(SKIP_2) | instid1(VALU_DEP_2)
	v_rndne_f32_e32 v31, v32
	v_fmac_f32_e32 v33, 0x32a5705f, v28
	v_fma_f32 v29, 0x3fb8aa3b, v30, -v32
	v_dual_sub_f32 v32, v32, v31 :: v_dual_add_f32 v24, v25, v33
	v_mul_f32_e32 v25, 0x3fb8aa3b, v22
	v_cvt_i32_f32_e32 v31, v31
	s_delay_alu instid0(VALU_DEP_3) | instskip(SKIP_1) | instid1(VALU_DEP_2)
	v_exp_f32_e32 v24, v24
	s_wait_xcnt 0x3
	v_fma_f32 v36, 0x3fb8aa3b, v22, -v25
	v_rndne_f32_e32 v37, v25
	s_delay_alu instid0(VALU_DEP_1) | instskip(NEXT) | instid1(TRANS32_DEP_1)
	v_dual_fmac_f32 v36, 0x32a5705f, v22 :: v_dual_sub_f32 v25, v25, v37
	v_ldexp_f32 v24, v24, v34
	s_delay_alu instid0(VALU_DEP_1) | instskip(SKIP_1) | instid1(VALU_DEP_1)
	v_dual_mul_f32 v33, 0x3fb8aa3b, v35 :: v_dual_cndmask_b32 v24, 0, v24
	s_wait_xcnt 0x2
	v_fma_f32 v38, 0x3fb8aa3b, v35, -v33
	v_fmac_f32_e32 v29, 0x32a5705f, v30
	v_rndne_f32_e32 v39, v33
	v_cmp_nlt_f32_e32 vcc_lo, 0x42b17218, v28
	v_cvt_i32_f32_e32 v28, v37
	s_delay_alu instid0(VALU_DEP_4) | instskip(NEXT) | instid1(VALU_DEP_4)
	v_dual_fmac_f32 v38, 0x32a5705f, v35 :: v_dual_add_f32 v29, v32, v29
	v_sub_f32_e32 v32, v33, v39
	v_add_f32_e32 v25, v25, v36
	v_cndmask_b32_e32 v24, 0x7f800000, v24, vcc_lo
	v_cmp_ngt_f32_e32 vcc_lo, 0xc2ce8ed0, v30
	v_exp_f32_e32 v29, v29
	v_add_f32_e32 v32, v32, v38
	v_exp_f32_e32 v25, v25
	v_cvt_f16_f32_e32 v33, v24
	s_delay_alu instid0(VALU_DEP_2) | instskip(NEXT) | instid1(TRANS32_DEP_3)
	v_exp_f32_e32 v32, v32
	v_ldexp_f32 v29, v29, v31
	v_cvt_i32_f32_e32 v31, v39
	s_delay_alu instid0(TRANS32_DEP_2) | instskip(NEXT) | instid1(VALU_DEP_3)
	v_ldexp_f32 v25, v25, v28
	v_cndmask_b32_e32 v28, 0, v29, vcc_lo
	v_cmp_ngt_f32_e32 vcc_lo, 0xc2ce8ed0, v22
	s_delay_alu instid0(TRANS32_DEP_1) | instid1(VALU_DEP_4)
	v_ldexp_f32 v29, v32, v31
	v_and_b32_e32 v31, 0xffff, v33
	v_cndmask_b32_e32 v25, 0, v25, vcc_lo
	v_cmp_ngt_f32_e32 vcc_lo, 0xc2ce8ed0, v35
	s_delay_alu instid0(VALU_DEP_3) | instskip(SKIP_2) | instid1(VALU_DEP_3)
	v_mul_u32_u24_e32 v143, 0x10001, v31
	v_cndmask_b32_e32 v29, 0, v29, vcc_lo
	v_cmp_nlt_f32_e32 vcc_lo, 0x42b17218, v22
	v_pk_mul_f16 v21, v21, v143
	v_pk_mul_f16 v20, v20, v143
	;; [unrolled: 1-line block ×3, first 2 shown]
	v_cndmask_b32_e32 v25, 0x7f800000, v25, vcc_lo
	v_cmp_nlt_f32_e32 vcc_lo, 0x42b17218, v30
	s_delay_alu instid0(VALU_DEP_2) | instskip(SKIP_2) | instid1(VALU_DEP_3)
	v_cvt_f16_f32_e32 v22, v25
	v_cndmask_b32_e32 v28, 0x7f800000, v28, vcc_lo
	v_cmp_nlt_f32_e32 vcc_lo, 0x42b17218, v35
	v_and_b32_e32 v22, 0xffff, v22
	v_cndmask_b32_e32 v29, 0x7f800000, v29, vcc_lo
	s_delay_alu instid0(VALU_DEP_2) | instskip(NEXT) | instid1(VALU_DEP_2)
	v_mul_u32_u24_e32 v149, 0x10001, v22
	v_cvt_pk_f16_f32 v30, v28, v29
	v_pk_fma_f32 v[108:109], v[108:109], v[24:25], v[28:29]
	ds_store_b32 v23, v30
	s_wait_loadcnt 0x3
	ds_store_b128 v129, v[0:3]
	s_wait_loadcnt 0x2
	ds_store_b128 v134, v[4:7]
	;; [unrolled: 2-line block ×4, first 2 shown]
	s_wait_dscnt 0x0
	s_barrier_signal -1
	s_barrier_wait -1
	ds_load_b128 v[22:25], v128
	ds_load_2addr_b64 v[8:11], v93 offset1:32
	ds_load_b128 v[56:59], v128 offset:16
	ds_load_b128 v[64:67], v128 offset:32
	;; [unrolled: 1-line block ×3, first 2 shown]
	ds_load_2addr_b64 v[144:147], v93 offset0:64 offset1:96
	ds_load_2addr_b64 v[84:87], v93 offset0:128 offset1:160
	ds_load_2addr_b64 v[80:83], v93 offset0:192 offset1:224
	ds_load_2addr_b64 v[44:47], v26 offset1:32
	ds_load_2addr_b64 v[48:51], v26 offset0:64 offset1:96
	ds_load_2addr_b64 v[76:79], v26 offset0:128 offset1:160
	ds_load_2addr_b64 v[72:75], v26 offset0:192 offset1:224
	ds_load_2addr_b64 v[68:71], v27 offset1:32
	;; [unrolled: 4-line block ×3, first 2 shown]
	v_pk_mul_f16 v12, v18, v149
	v_pk_mul_f16 v13, v17, v149
	;; [unrolled: 1-line block ×3, first 2 shown]
	ds_load_2addr_b64 v[28:31], v142 offset0:64 offset1:96
	ds_load_2addr_b64 v[16:19], v142 offset0:128 offset1:160
	;; [unrolled: 1-line block ×3, first 2 shown]
	s_wait_dscnt 0x13
	v_and_b32_e32 v4, 0xffff, v22
	v_dual_lshrrev_b32 v15, 16, v22 :: v_dual_lshrrev_b32 v26, 16, v23
	v_and_b32_e32 v23, 0xffff, v23
	s_delay_alu instid0(VALU_DEP_3) | instskip(NEXT) | instid1(VALU_DEP_3)
	v_mul_u32_u24_e32 v22, 0x10001, v4
	v_mul_u32_u24_e32 v15, 0x10001, v15
	s_delay_alu instid0(VALU_DEP_4) | instskip(NEXT) | instid1(VALU_DEP_4)
	v_mul_u32_u24_e32 v26, 0x10001, v26
	v_mul_u32_u24_e32 v23, 0x10001, v23
	ds_load_2addr_b64 v[4:7], v141 offset1:32
	s_wait_dscnt 0x13
	v_pk_mul_f16 v27, v8, v22
	v_pk_fma_f16 v21, v9, v22, v21
	v_pk_fma_f16 v20, v10, v22, v20
	v_pk_fma_f16 v22, v11, v22, v148
	v_pk_mul_f16 v142, v8, v15
	v_pk_fma_f16 v148, v9, v15, v12
	v_pk_fma_f16 v27, v120, v143, v27
	v_pk_fma_f16 v150, v10, v15, v13
	v_pk_fma_f16 v151, v11, v15, v14
	ds_load_2addr_b64 v[8:11], v141 offset0:64 offset1:96
	v_pk_fma_f16 v119, v119, v149, v142
	ds_load_2addr_b64 v[12:15], v141 offset0:128 offset1:160
	v_and_b32_e32 v120, 0xffff, v24
	s_wait_dscnt 0x11
	v_pk_fma_f16 v142, v145, v23, v21
	v_pk_fma_f16 v143, v145, v26, v148
	;; [unrolled: 1-line block ×5, first 2 shown]
	ds_load_2addr_b64 v[20:23], v141 offset0:192 offset1:224
	v_lshrrev_b32_e32 v141, 16, v24
	v_pk_fma_f16 v146, v146, v26, v150
	v_pk_fma_f16 v147, v147, v26, v151
	;; [unrolled: 1-line block ×3, first 2 shown]
	v_mul_u32_u24_e32 v120, 0x10001, v120
	v_lshrrev_b32_e32 v144, 16, v25
	v_and_b32_e32 v150, 0xffff, v25
	v_mul_u32_u24_e32 v141, 0x10001, v141
	ds_load_2addr_b64 v[24:27], v140 offset1:32
	s_wait_dscnt 0x12
	v_pk_fma_f16 v142, v85, v120, v142
	v_pk_fma_f16 v145, v86, v120, v145
	;; [unrolled: 1-line block ×4, first 2 shown]
	v_lshrrev_b32_e32 v149, 16, v56
	v_pk_fma_f16 v85, v85, v141, v143
	v_pk_fma_f16 v86, v86, v141, v146
	;; [unrolled: 1-line block ×4, first 2 shown]
	v_and_b32_e32 v56, 0xffff, v56
	v_mul_u32_u24_e32 v141, 0x10001, v150
	v_mul_u32_u24_e32 v143, 0x10001, v144
	v_lshrrev_b32_e32 v119, 16, v57
	v_and_b32_e32 v57, 0xffff, v57
	v_mul_u32_u24_e32 v56, 0x10001, v56
	v_mul_u32_u24_e32 v144, 0x10001, v149
	s_wait_dscnt 0x11
	v_pk_fma_f16 v142, v81, v141, v142
	v_pk_fma_f16 v146, v81, v143, v85
	;; [unrolled: 1-line block ×8, first 2 shown]
	v_mul_u32_u24_e32 v57, 0x10001, v57
	v_mul_u32_u24_e32 v119, 0x10001, v119
	s_wait_dscnt 0x10
	v_pk_fma_f16 v142, v45, v56, v142
	v_pk_fma_f16 v143, v45, v144, v146
	;; [unrolled: 1-line block ×8, first 2 shown]
	v_and_b32_e32 v141, 0xffff, v58
	s_wait_dscnt 0xf
	v_pk_fma_f16 v143, v49, v119, v143
	v_pk_fma_f16 v144, v50, v57, v145
	;; [unrolled: 1-line block ×6, first 2 shown]
	v_lshrrev_b32_e32 v120, 16, v58
	v_pk_fma_f16 v142, v49, v57, v142
	v_pk_fma_f16 v148, v48, v57, v56
	v_lshrrev_b32_e32 v149, 16, v59
	v_mul_u32_u24_e32 v141, 0x10001, v141
	v_and_b32_e32 v150, 0xffff, v59
	v_mul_u32_u24_e32 v120, 0x10001, v120
	ds_load_b128 v[84:87], v128 offset:64
	ds_load_b128 v[80:83], v128 offset:80
	ds_load_2addr_b64 v[44:47], v140 offset0:64 offset1:96
	ds_load_2addr_b64 v[48:51], v140 offset0:128 offset1:160
	;; [unrolled: 1-line block ×3, first 2 shown]
	v_and_b32_e32 v140, 0xffff, v64
	s_wait_dscnt 0x13
	v_pk_fma_f16 v142, v77, v141, v142
	v_pk_fma_f16 v144, v78, v141, v144
	;; [unrolled: 1-line block ×4, first 2 shown]
	v_lshrrev_b32_e32 v148, 16, v64
	v_pk_fma_f16 v77, v77, v120, v143
	v_pk_fma_f16 v78, v78, v120, v145
	;; [unrolled: 1-line block ×4, first 2 shown]
	v_mul_u32_u24_e32 v64, 0x10001, v150
	v_lshrrev_b32_e32 v145, 16, v66
	v_mul_u32_u24_e32 v149, 0x10001, v149
	v_and_b32_e32 v119, 0xffff, v65
	v_lshrrev_b32_e32 v120, 16, v65
	s_wait_dscnt 0x12
	v_pk_fma_f16 v142, v73, v64, v142
	v_pk_fma_f16 v144, v74, v64, v144
	;; [unrolled: 1-line block ×4, first 2 shown]
	v_mul_u32_u24_e32 v140, 0x10001, v140
	v_pk_fma_f16 v77, v73, v149, v77
	v_pk_fma_f16 v78, v74, v149, v78
	;; [unrolled: 1-line block ×4, first 2 shown]
	v_mul_u32_u24_e32 v148, 0x10001, v148
	v_and_b32_e32 v143, 0xffff, v66
	v_dual_lshrrev_b32 v147, 16, v67 :: v_dual_lshrrev_b32 v149, 16, v32
	s_wait_dscnt 0x11
	v_pk_fma_f16 v142, v69, v140, v142
	v_pk_fma_f16 v144, v70, v140, v144
	;; [unrolled: 1-line block ×4, first 2 shown]
	v_and_b32_e32 v141, 0xffff, v32
	v_pk_fma_f16 v69, v69, v148, v77
	v_pk_fma_f16 v70, v70, v148, v78
	;; [unrolled: 1-line block ×4, first 2 shown]
	v_mul_u32_u24_e32 v32, 0x10001, v119
	v_mul_u32_u24_e32 v120, 0x10001, v120
	v_and_b32_e32 v150, 0xffff, v67
	v_mul_u32_u24_e32 v143, 0x10001, v143
	v_mul_u32_u24_e32 v145, 0x10001, v145
	s_wait_dscnt 0x10
	v_pk_fma_f16 v142, v61, v32, v142
	v_pk_fma_f16 v144, v62, v32, v144
	;; [unrolled: 1-line block ×8, first 2 shown]
	ds_load_2addr_b64 v[64:67], v139 offset1:32
	v_and_b32_e32 v76, 0xffff, v33
	v_dual_lshrrev_b32 v77, 16, v33 :: v_dual_lshrrev_b32 v79, 16, v34
	v_and_b32_e32 v78, 0xffff, v34
	v_lshrrev_b32_e32 v119, 16, v35
	v_and_b32_e32 v148, 0xffff, v35
	ds_load_2addr_b64 v[32:35], v139 offset0:64 offset1:96
	ds_load_2addr_b64 v[60:63], v139 offset0:128 offset1:160
	s_wait_dscnt 0x12
	v_pk_fma_f16 v142, v53, v143, v142
	v_pk_fma_f16 v144, v54, v143, v144
	;; [unrolled: 1-line block ×8, first 2 shown]
	v_mul_u32_u24_e32 v150, 0x10001, v150
	ds_load_2addr_b64 v[52:55], v139 offset0:192 offset1:224
	v_mul_u32_u24_e32 v139, 0x10001, v147
	v_mul_u32_u24_e32 v141, 0x10001, v141
	;; [unrolled: 1-line block ×3, first 2 shown]
	s_wait_dscnt 0x12
	v_pk_fma_f16 v142, v41, v150, v142
	v_pk_fma_f16 v144, v42, v150, v144
	;; [unrolled: 1-line block ×8, first 2 shown]
	s_wait_dscnt 0x11
	v_pk_fma_f16 v142, v37, v141, v142
	v_pk_fma_f16 v144, v38, v141, v144
	;; [unrolled: 1-line block ×8, first 2 shown]
	v_mul_u32_u24_e32 v76, 0x10001, v76
	v_mul_u32_u24_e32 v77, 0x10001, v77
	;; [unrolled: 1-line block ×4, first 2 shown]
	s_wait_dscnt 0x8
	v_and_b32_e32 v120, 0xffff, v84
	v_pk_fma_f16 v142, v29, v76, v142
	v_pk_fma_f16 v69, v29, v77, v69
	;; [unrolled: 1-line block ×8, first 2 shown]
	v_lshrrev_b32_e32 v84, 16, v84
	v_pk_fma_f16 v140, v17, v78, v142
	v_pk_fma_f16 v142, v18, v78, v144
	;; [unrolled: 1-line block ×8, first 2 shown]
	v_mul_u32_u24_e32 v79, 0x10001, v148
	v_mul_u32_u24_e32 v119, 0x10001, v119
	v_and_b32_e32 v143, 0xffff, v85
	v_dual_lshrrev_b32 v85, 16, v85 :: v_dual_lshrrev_b32 v145, 16, v86
	v_mul_u32_u24_e32 v84, 0x10001, v84
	v_pk_fma_f16 v140, v1, v79, v140
	v_pk_fma_f16 v1, v1, v119, v17
	;; [unrolled: 1-line block ×8, first 2 shown]
	v_mul_u32_u24_e32 v120, 0x10001, v120
	v_mul_u32_u24_e32 v85, 0x10001, v85
	v_pk_fma_f16 v1, v5, v84, v1
	v_pk_fma_f16 v2, v6, v84, v2
	;; [unrolled: 1-line block ×3, first 2 shown]
	v_and_b32_e32 v86, 0xffff, v86
	v_mul_u32_u24_e32 v143, 0x10001, v143
	v_pk_fma_f16 v16, v5, v120, v140
	v_pk_fma_f16 v5, v6, v120, v17
	;; [unrolled: 1-line block ×5, first 2 shown]
	v_lshrrev_b32_e32 v151, 16, v87
	v_mul_u32_u24_e32 v145, 0x10001, v145
	v_pk_fma_f16 v1, v9, v85, v1
	v_pk_fma_f16 v2, v10, v85, v2
	;; [unrolled: 1-line block ×3, first 2 shown]
	v_and_b32_e32 v87, 0xffff, v87
	v_mul_u32_u24_e32 v86, 0x10001, v86
	v_pk_fma_f16 v4, v9, v143, v16
	v_pk_fma_f16 v5, v10, v143, v5
	;; [unrolled: 1-line block ×4, first 2 shown]
	ds_load_b128 v[72:75], v128 offset:96
	ds_load_b128 v[36:39], v128 offset:112
	s_wait_dscnt 0x9
	v_and_b32_e32 v139, 0xffff, v80
	v_lshrrev_b32_e32 v80, 16, v80
	v_mul_u32_u24_e32 v146, 0x10001, v151
	v_pk_fma_f16 v3, v11, v85, v3
	v_pk_fma_f16 v1, v13, v145, v1
	;; [unrolled: 1-line block ×4, first 2 shown]
	v_mul_u32_u24_e32 v87, 0x10001, v87
	v_pk_fma_f16 v4, v13, v86, v4
	v_pk_fma_f16 v5, v14, v86, v5
	;; [unrolled: 1-line block ×4, first 2 shown]
	v_and_b32_e32 v141, 0xffff, v81
	v_dual_lshrrev_b32 v81, 16, v81 :: v_dual_lshrrev_b32 v147, 16, v82
	v_mul_u32_u24_e32 v80, 0x10001, v80
	v_pk_fma_f16 v3, v15, v145, v3
	v_pk_fma_f16 v1, v21, v146, v1
	v_pk_fma_f16 v2, v22, v146, v2
	v_pk_fma_f16 v0, v20, v146, v0
	v_mul_u32_u24_e32 v139, 0x10001, v139
	v_pk_fma_f16 v4, v21, v87, v4
	v_pk_fma_f16 v5, v22, v87, v5
	v_pk_fma_f16 v6, v23, v87, v6
	v_pk_fma_f16 v7, v20, v87, v7
	;; [unrolled: 5-line block ×3, first 2 shown]
	v_and_b32_e32 v82, 0xffff, v82
	v_mul_u32_u24_e32 v141, 0x10001, v141
	v_pk_fma_f16 v4, v25, v139, v4
	v_pk_fma_f16 v5, v26, v139, v5
	;; [unrolled: 1-line block ×4, first 2 shown]
	s_wait_dscnt 0x1
	v_dual_lshrrev_b32 v149, 16, v83 :: v_dual_lshrrev_b32 v77, 16, v72
	v_mul_u32_u24_e32 v147, 0x10001, v147
	v_pk_fma_f16 v3, v27, v80, v3
	v_pk_fma_f16 v1, v45, v81, v1
	;; [unrolled: 1-line block ×4, first 2 shown]
	v_and_b32_e32 v83, 0xffff, v83
	v_mul_u32_u24_e32 v82, 0x10001, v82
	v_pk_fma_f16 v4, v45, v141, v4
	v_pk_fma_f16 v5, v46, v141, v5
	;; [unrolled: 1-line block ×4, first 2 shown]
	v_mul_u32_u24_e32 v148, 0x10001, v149
	v_pk_fma_f16 v3, v47, v81, v3
	v_pk_fma_f16 v1, v49, v147, v1
	;; [unrolled: 1-line block ×4, first 2 shown]
	v_and_b32_e32 v72, 0xffff, v72
	v_mul_u32_u24_e32 v83, 0x10001, v83
	v_pk_fma_f16 v4, v49, v82, v4
	v_pk_fma_f16 v5, v50, v82, v5
	;; [unrolled: 1-line block ×4, first 2 shown]
	v_dual_lshrrev_b32 v78, 16, v73 :: v_dual_lshrrev_b32 v69, 16, v74
	v_mul_u32_u24_e32 v77, 0x10001, v77
	v_pk_fma_f16 v3, v51, v147, v3
	v_pk_fma_f16 v1, v57, v148, v1
	;; [unrolled: 1-line block ×4, first 2 shown]
	v_and_b32_e32 v68, 0xffff, v73
	v_mul_u32_u24_e32 v72, 0x10001, v72
	v_pk_fma_f16 v4, v57, v83, v4
	v_pk_fma_f16 v5, v58, v83, v5
	;; [unrolled: 1-line block ×4, first 2 shown]
	ds_load_2addr_b64 v[40:43], v138 offset1:32
	v_mul_u32_u24_e32 v78, 0x10001, v78
	v_pk_fma_f16 v3, v59, v148, v3
	v_pk_fma_f16 v1, v65, v77, v1
	v_pk_fma_f16 v2, v66, v77, v2
	v_pk_fma_f16 v0, v64, v77, v0
	v_and_b32_e32 v70, 0xffff, v74
	v_mul_u32_u24_e32 v68, 0x10001, v68
	v_pk_fma_f16 v4, v65, v72, v4
	v_pk_fma_f16 v5, v66, v72, v5
	;; [unrolled: 1-line block ×4, first 2 shown]
	s_wait_dscnt 0x1
	v_dual_lshrrev_b32 v71, 16, v75 :: v_dual_lshrrev_b32 v74, 16, v36
	v_mul_u32_u24_e32 v69, 0x10001, v69
	v_pk_fma_f16 v3, v67, v77, v3
	v_pk_fma_f16 v1, v33, v78, v1
	;; [unrolled: 1-line block ×4, first 2 shown]
	ds_load_2addr_b64 v[28:31], v138 offset0:64 offset1:96
	v_and_b32_e32 v73, 0xffff, v75
	v_mul_u32_u24_e32 v70, 0x10001, v70
	v_pk_fma_f16 v4, v33, v68, v4
	v_pk_fma_f16 v5, v34, v68, v5
	;; [unrolled: 1-line block ×4, first 2 shown]
	v_mul_u32_u24_e32 v71, 0x10001, v71
	v_pk_fma_f16 v3, v35, v78, v3
	v_pk_fma_f16 v1, v61, v69, v1
	;; [unrolled: 1-line block ×4, first 2 shown]
	v_and_b32_e32 v36, 0xffff, v36
	v_mul_u32_u24_e32 v73, 0x10001, v73
	v_pk_fma_f16 v4, v61, v70, v4
	v_pk_fma_f16 v5, v62, v70, v5
	;; [unrolled: 1-line block ×4, first 2 shown]
	v_mul_u32_u24_e32 v74, 0x10001, v74
	v_pk_fma_f16 v3, v63, v69, v3
	v_pk_fma_f16 v1, v53, v71, v1
	;; [unrolled: 1-line block ×4, first 2 shown]
	v_dual_lshrrev_b32 v75, 16, v37 :: v_dual_lshrrev_b32 v18, 16, v38
	v_and_b32_e32 v37, 0xffff, v37
	v_mul_u32_u24_e32 v36, 0x10001, v36
	v_pk_fma_f16 v4, v53, v73, v4
	v_pk_fma_f16 v5, v54, v73, v5
	;; [unrolled: 1-line block ×5, first 2 shown]
	s_wait_dscnt 0x1
	v_pk_fma_f16 v9, v40, v74, v0
	v_pk_fma_f16 v10, v41, v74, v1
	;; [unrolled: 1-line block ×3, first 2 shown]
	ds_load_2addr_b64 v[0:3], v138 offset0:128 offset1:160
	v_pk_fma_f16 v4, v41, v36, v4
	v_pk_fma_f16 v7, v40, v36, v7
	;; [unrolled: 1-line block ×3, first 2 shown]
	v_mul_u32_u24_e32 v12, 0x10001, v37
	v_pk_fma_f16 v6, v43, v36, v6
	v_mul_u32_u24_e32 v13, 0x10001, v75
	v_pk_fma_f16 v8, v43, v74, v8
	v_and_b32_e32 v17, 0xffff, v38
	s_wait_dscnt 0x1
	v_pk_fma_f16 v14, v28, v12, v7
	v_pk_fma_f16 v15, v29, v12, v4
	;; [unrolled: 1-line block ×4, first 2 shown]
	ds_load_2addr_b64 v[4:7], v138 offset0:192 offset1:224
	s_wait_dscnt 0x0
	s_barrier_signal -1
	s_barrier_wait -1
	s_load_b32 s27, s[8:9], 0x4
	v_pk_fma_f16 v9, v28, v13, v9
	v_pk_fma_f16 v10, v29, v13, v10
	;; [unrolled: 1-line block ×4, first 2 shown]
	v_mul_u32_u24_e32 v13, 0x10001, v17
	v_mul_u32_u24_e32 v17, 0x10001, v18
	v_lshrrev_b32_e32 v18, 16, v39
	s_delay_alu instid0(VALU_DEP_3) | instskip(NEXT) | instid1(VALU_DEP_3)
	v_pk_fma_f16 v14, v0, v13, v14
	v_pk_fma_f16 v0, v0, v17, v9
	v_and_b32_e32 v9, 0xffff, v39
	v_pk_fma_f16 v15, v1, v13, v15
	v_pk_fma_f16 v1, v1, v17, v10
	;; [unrolled: 1-line block ×3, first 2 shown]
	v_mul_u32_u24_e32 v16, 0x10001, v18
	v_mul_u32_u24_e32 v9, 0x10001, v9
	v_pk_fma_f16 v2, v2, v17, v11
	v_pk_fma_f16 v11, v3, v13, v12
	;; [unrolled: 1-line block ×3, first 2 shown]
	s_wait_kmcnt 0x0
	s_lshl_b32 s27, s27, 5
	v_pk_fma_f16 v120, v4, v9, v14
	v_pk_fma_f16 v119, v4, v16, v0
	;; [unrolled: 1-line block ×8, first 2 shown]
	s_add_co_i32 s26, s27, s26
	s_delay_alu instid0(SALU_CYCLE_1)
	s_cmp_lt_i32 s26, s3
	s_cbranch_scc0 .LBB71_25
; %bb.23:                               ;   in Loop: Header=BB71_8 Depth=1
	v_dual_mov_b32 v23, v94 :: v_dual_mov_b32 v22, v95
	s_branch .LBB71_8
.LBB71_24:
	v_mov_b64_e32 v[94:95], 0xfefffffffeffffff
	v_dual_mov_b32 v120, 0 :: v_dual_mov_b32 v108, 0
	v_dual_mov_b32 v21, 0 :: v_dual_mov_b32 v20, 0
	;; [unrolled: 1-line block ×4, first 2 shown]
	v_mov_b32_e32 v16, 0
.LBB71_25:
	s_cmp_gt_i32 s2, s26
	s_cbranch_scc1 .LBB71_28
; %bb.26:
	v_mbcnt_lo_u32_b32 v0, -1, 0
	v_mov_b32_e32 v127, 32
	s_delay_alu instid0(VALU_DEP_2)
	v_xor_b32_e32 v125, 16, v0
	v_xor_b32_e32 v126, 8, v0
	;; [unrolled: 1-line block ×5, first 2 shown]
	s_cbranch_execz .LBB71_29
; %bb.27:
	v_mov_b32_e32 v118, v0
	s_branch .LBB71_48
.LBB71_28:
                                        ; implicit-def: $vgpr0
                                        ; implicit-def: $vgpr127
                                        ; implicit-def: $vgpr125
                                        ; implicit-def: $vgpr126
                                        ; implicit-def: $vgpr128
                                        ; implicit-def: $vgpr129
                                        ; implicit-def: $vgpr130
.LBB71_29:
	s_ashr_i32 s27, s26, 31
	s_ashr_i32 s5, s4, 31
	s_mov_b32 s40, 0
	s_mul_u64 s[8:9], s[26:27], s[4:5]
	v_dual_mov_b32 v0, 0 :: v_dual_lshlrev_b32 v1, 20, v118
	s_lshl_b64 s[8:9], s[8:9], 2
	s_mov_b32 s41, s40
	s_add_nc_u64 s[8:9], s[6:7], s[8:9]
	s_mov_b32 s42, s40
	v_dual_mov_b32 v89, 0 :: v_dual_mov_b32 v8, s40
	v_lshl_add_u64 v[2:3], v[96:97], 2, s[8:9]
	v_add_nc_u64_e32 v[12:13], src_flat_scratch_base_lo, v[0:1]
	s_sub_co_i32 s7, s2, s26
	v_dual_mov_b32 v9, s41 :: v_dual_mov_b32 v10, s42
	s_delay_alu instid0(VALU_DEP_3)
	v_add_nc_u64_e32 v[0:1], v[2:3], v[88:89]
	v_cmp_gt_i32_e64 s2, s7, v121
	s_clause 0x1
	scratch_store_b32 off, v89, off
	scratch_store_b96 off, v[8:10], off offset:4
	s_lshl_b32 s5, s4, 3
	v_mad_u32_u24 v11, 0x210, v121, v88
	v_dual_add_nc_u32 v4, s5, v96 :: v_dual_cndmask_b32 v1, v13, v1, s2
	v_cndmask_b32_e64 v0, v12, v0, s2
	s_delay_alu instid0(VALU_DEP_2)
	v_ashrrev_i32_e32 v5, 31, v4
	flat_load_b128 v[0:3], v[0:1]
	s_clause 0x1
	scratch_store_b32 off, v89, off
	scratch_store_b96 off, v[8:10], off offset:4
	v_lshl_add_u64 v[6:7], v[4:5], 2, s[8:9]
	v_dual_add_nc_u32 v5, 8, v121 :: v_dual_add_nc_u32 v14, s5, v4
	v_add_nc_u32_e32 v4, 24, v121
	s_delay_alu instid0(VALU_DEP_3) | instskip(NEXT) | instid1(VALU_DEP_3)
	v_add_nc_u64_e32 v[6:7], v[6:7], v[88:89]
	v_cmp_gt_i32_e64 s3, s7, v5
	s_delay_alu instid0(VALU_DEP_1) | instskip(NEXT) | instid1(VALU_DEP_3)
	v_dual_ashrrev_i32 v15, 31, v14 :: v_dual_cndmask_b32 v7, v13, v7, s3
	v_cndmask_b32_e64 v6, v12, v6, s3
	s_wait_loadcnt_dscnt 0x0
	ds_store_b128 v11, v[0:3]
	flat_load_b128 v[0:3], v[6:7]
	s_wait_xcnt 0x0
	v_add_nc_u32_e32 v6, 16, v121
	v_lshl_add_u64 v[22:23], v[14:15], 2, s[8:9]
	s_clause 0x1
	scratch_store_b32 off, v89, off
	scratch_store_b96 off, v[8:10], off offset:4
	v_add_nc_u32_e32 v14, s5, v14
	v_cmp_gt_i32_e64 s5, s7, v4
	v_cmp_gt_i32_e64 s4, s7, v6
	v_add_nc_u64_e32 v[22:23], v[22:23], v[88:89]
	s_delay_alu instid0(VALU_DEP_1) | instskip(NEXT) | instid1(VALU_DEP_2)
	v_dual_ashrrev_i32 v15, 31, v14 :: v_dual_cndmask_b32 v23, v13, v23, s4
	v_cndmask_b32_e64 v22, v12, v22, s4
	s_delay_alu instid0(VALU_DEP_2) | instskip(NEXT) | instid1(VALU_DEP_1)
	v_lshl_add_u64 v[14:15], v[14:15], 2, s[8:9]
	v_add_nc_u64_e32 v[14:15], v[14:15], v[88:89]
	s_delay_alu instid0(VALU_DEP_1)
	v_dual_cndmask_b32 v13, v13, v15, s5 :: v_dual_cndmask_b32 v12, v12, v14, s5
	s_wait_loadcnt_dscnt 0x0
	ds_store_b128 v11, v[0:3] offset:4224
	flat_load_b128 v[0:3], v[22:23]
	s_clause 0x1
	scratch_store_b32 off, v89, off
	scratch_store_b96 off, v[8:10], off offset:4
	s_wait_loadcnt_dscnt 0x0
	ds_store_b128 v11, v[0:3] offset:8448
	flat_load_b128 v[0:3], v[12:13]
	s_wait_loadcnt_dscnt 0x0
	ds_store_b128 v11, v[0:3] offset:12672
	s_wait_storecnt_dscnt 0x0
	s_barrier_signal -1
	s_barrier_wait -1
	s_wait_xcnt 0x1
	ds_load_b128 v[8:11], v124
	s_wait_xcnt 0x0
	ds_load_b128 v[12:15], v123 offset:16896
	ds_load_b128 v[22:25], v123 offset:17408
	v_mov_b32_e32 v1, v89
                                        ; implicit-def: $vgpr0
	s_wait_dscnt 0x1
	;;#ASMSTART
	v_dot2_f32_f16 v1, v8, v12, v1
	;;#ASMEND
	;;#ASMSTART
	v_dot2_f32_f16 v1, v9, v13, v1
	;;#ASMEND
	;;#ASMSTART
	v_dot2_f32_f16 v1, v10, v14, v1
	;;#ASMEND
	;;#ASMSTART
	v_dot2_f32_f16 v1, v11, v15, v1
	;;#ASMEND
	s_wait_dscnt 0x0
	;;#ASMSTART
	v_dot2_f32_f16 v89, v8, v22, v89
	;;#ASMEND
	;;#ASMSTART
	v_dot2_f32_f16 v89, v9, v23, v89
	;;#ASMEND
	;;#ASMSTART
	v_dot2_f32_f16 v89, v10, v24, v89
	;;#ASMEND
	;;#ASMSTART
	v_dot2_f32_f16 v89, v11, v25, v89
	;;#ASMEND
	ds_load_b128 v[8:11], v124 offset:16
	ds_load_b128 v[12:15], v123 offset:16912
	ds_load_b128 v[22:25], v123 offset:17424
	s_wait_dscnt 0x1
	;;#ASMSTART
	v_dot2_f32_f16 v1, v8, v12, v1
	;;#ASMEND
	;;#ASMSTART
	v_dot2_f32_f16 v1, v9, v13, v1
	;;#ASMEND
	;;#ASMSTART
	v_dot2_f32_f16 v1, v10, v14, v1
	;;#ASMEND
	;;#ASMSTART
	v_dot2_f32_f16 v1, v11, v15, v1
	;;#ASMEND
	s_wait_dscnt 0x0
	;;#ASMSTART
	v_dot2_f32_f16 v89, v8, v22, v89
	;;#ASMEND
	;;#ASMSTART
	v_dot2_f32_f16 v89, v9, v23, v89
	;;#ASMEND
	;;#ASMSTART
	v_dot2_f32_f16 v89, v10, v24, v89
	;;#ASMEND
	;;#ASMSTART
	v_dot2_f32_f16 v89, v11, v25, v89
	;;#ASMEND
	ds_load_b128 v[8:11], v124 offset:32
	ds_load_b128 v[12:15], v123 offset:16928
	ds_load_b128 v[22:25], v123 offset:17440
	s_wait_dscnt 0x1
	;;#ASMSTART
	v_dot2_f32_f16 v1, v8, v12, v1
	;;#ASMEND
	;;#ASMSTART
	v_dot2_f32_f16 v1, v9, v13, v1
	;;#ASMEND
	;;#ASMSTART
	v_dot2_f32_f16 v1, v10, v14, v1
	;;#ASMEND
	;;#ASMSTART
	v_dot2_f32_f16 v1, v11, v15, v1
	;;#ASMEND
	s_wait_dscnt 0x0
	;;#ASMSTART
	v_dot2_f32_f16 v89, v8, v22, v89
	;;#ASMEND
	;;#ASMSTART
	v_dot2_f32_f16 v89, v9, v23, v89
	;;#ASMEND
	;;#ASMSTART
	v_dot2_f32_f16 v89, v10, v24, v89
	;;#ASMEND
	;;#ASMSTART
	v_dot2_f32_f16 v89, v11, v25, v89
	;;#ASMEND
	ds_load_b128 v[8:11], v124 offset:48
	ds_load_b128 v[12:15], v123 offset:16944
	ds_load_b128 v[22:25], v123 offset:17456
	s_wait_dscnt 0x1
	;;#ASMSTART
	v_dot2_f32_f16 v1, v8, v12, v1
	;;#ASMEND
	;;#ASMSTART
	v_dot2_f32_f16 v1, v9, v13, v1
	;;#ASMEND
	;;#ASMSTART
	v_dot2_f32_f16 v1, v10, v14, v1
	;;#ASMEND
	;;#ASMSTART
	v_dot2_f32_f16 v1, v11, v15, v1
	;;#ASMEND
	s_wait_dscnt 0x0
	;;#ASMSTART
	v_dot2_f32_f16 v89, v8, v22, v89
	;;#ASMEND
	;;#ASMSTART
	v_dot2_f32_f16 v89, v9, v23, v89
	;;#ASMEND
	;;#ASMSTART
	v_dot2_f32_f16 v89, v10, v24, v89
	;;#ASMEND
	;;#ASMSTART
	v_dot2_f32_f16 v89, v11, v25, v89
	;;#ASMEND
	ds_load_b128 v[8:11], v124 offset:64
	ds_load_b128 v[12:15], v123 offset:16960
	ds_load_b128 v[22:25], v123 offset:17472
	s_wait_dscnt 0x1
	;;#ASMSTART
	v_dot2_f32_f16 v1, v8, v12, v1
	;;#ASMEND
	;;#ASMSTART
	v_dot2_f32_f16 v1, v9, v13, v1
	;;#ASMEND
	;;#ASMSTART
	v_dot2_f32_f16 v1, v10, v14, v1
	;;#ASMEND
	;;#ASMSTART
	v_dot2_f32_f16 v1, v11, v15, v1
	;;#ASMEND
	s_wait_dscnt 0x0
	;;#ASMSTART
	v_dot2_f32_f16 v89, v8, v22, v89
	;;#ASMEND
	;;#ASMSTART
	v_dot2_f32_f16 v89, v9, v23, v89
	;;#ASMEND
	;;#ASMSTART
	v_dot2_f32_f16 v89, v10, v24, v89
	;;#ASMEND
	;;#ASMSTART
	v_dot2_f32_f16 v89, v11, v25, v89
	;;#ASMEND
	ds_load_b128 v[8:11], v124 offset:80
	ds_load_b128 v[12:15], v123 offset:16976
	ds_load_b128 v[22:25], v123 offset:17488
	s_wait_dscnt 0x1
	;;#ASMSTART
	v_dot2_f32_f16 v1, v8, v12, v1
	;;#ASMEND
	;;#ASMSTART
	v_dot2_f32_f16 v1, v9, v13, v1
	;;#ASMEND
	;;#ASMSTART
	v_dot2_f32_f16 v1, v10, v14, v1
	;;#ASMEND
	;;#ASMSTART
	v_dot2_f32_f16 v1, v11, v15, v1
	;;#ASMEND
	s_wait_dscnt 0x0
	;;#ASMSTART
	v_dot2_f32_f16 v89, v8, v22, v89
	;;#ASMEND
	;;#ASMSTART
	v_dot2_f32_f16 v89, v9, v23, v89
	;;#ASMEND
	;;#ASMSTART
	v_dot2_f32_f16 v89, v10, v24, v89
	;;#ASMEND
	;;#ASMSTART
	v_dot2_f32_f16 v89, v11, v25, v89
	;;#ASMEND
	ds_load_b128 v[8:11], v124 offset:96
	ds_load_b128 v[12:15], v123 offset:16992
	ds_load_b128 v[22:25], v123 offset:17504
	s_wait_dscnt 0x1
	;;#ASMSTART
	v_dot2_f32_f16 v1, v8, v12, v1
	;;#ASMEND
	;;#ASMSTART
	v_dot2_f32_f16 v1, v9, v13, v1
	;;#ASMEND
	;;#ASMSTART
	v_dot2_f32_f16 v1, v10, v14, v1
	;;#ASMEND
	;;#ASMSTART
	v_dot2_f32_f16 v1, v11, v15, v1
	;;#ASMEND
	s_wait_dscnt 0x0
	;;#ASMSTART
	v_dot2_f32_f16 v89, v8, v22, v89
	;;#ASMEND
	;;#ASMSTART
	v_dot2_f32_f16 v89, v9, v23, v89
	;;#ASMEND
	;;#ASMSTART
	v_dot2_f32_f16 v89, v10, v24, v89
	;;#ASMEND
	;;#ASMSTART
	v_dot2_f32_f16 v89, v11, v25, v89
	;;#ASMEND
	ds_load_b128 v[8:11], v124 offset:112
	ds_load_b128 v[12:15], v123 offset:17008
	ds_load_b128 v[22:25], v123 offset:17520
	s_wait_dscnt 0x1
	;;#ASMSTART
	v_dot2_f32_f16 v1, v8, v12, v1
	;;#ASMEND
	;;#ASMSTART
	v_dot2_f32_f16 v1, v9, v13, v1
	;;#ASMEND
	;;#ASMSTART
	v_dot2_f32_f16 v1, v10, v14, v1
	;;#ASMEND
	;;#ASMSTART
	v_dot2_f32_f16 v1, v11, v15, v1
	;;#ASMEND
	s_wait_dscnt 0x0
	;;#ASMSTART
	v_dot2_f32_f16 v89, v8, v22, v89
	;;#ASMEND
	;;#ASMSTART
	v_dot2_f32_f16 v89, v9, v23, v89
	;;#ASMEND
	;;#ASMSTART
	v_dot2_f32_f16 v89, v10, v24, v89
	;;#ASMEND
	;;#ASMSTART
	v_dot2_f32_f16 v89, v11, v25, v89
	;;#ASMEND
	ds_load_b128 v[8:11], v124 offset:128
	ds_load_b128 v[12:15], v123 offset:17024
	ds_load_b128 v[22:25], v123 offset:17536
	s_wait_dscnt 0x1
	;;#ASMSTART
	v_dot2_f32_f16 v1, v8, v12, v1
	;;#ASMEND
	;;#ASMSTART
	v_dot2_f32_f16 v1, v9, v13, v1
	;;#ASMEND
	;;#ASMSTART
	v_dot2_f32_f16 v1, v10, v14, v1
	;;#ASMEND
	;;#ASMSTART
	v_dot2_f32_f16 v1, v11, v15, v1
	;;#ASMEND
	s_wait_dscnt 0x0
	;;#ASMSTART
	v_dot2_f32_f16 v89, v8, v22, v89
	;;#ASMEND
	;;#ASMSTART
	v_dot2_f32_f16 v89, v9, v23, v89
	;;#ASMEND
	;;#ASMSTART
	v_dot2_f32_f16 v89, v10, v24, v89
	;;#ASMEND
	;;#ASMSTART
	v_dot2_f32_f16 v89, v11, v25, v89
	;;#ASMEND
	ds_load_b128 v[8:11], v124 offset:144
	ds_load_b128 v[12:15], v123 offset:17040
	ds_load_b128 v[22:25], v123 offset:17552
	s_wait_dscnt 0x1
	;;#ASMSTART
	v_dot2_f32_f16 v1, v8, v12, v1
	;;#ASMEND
	;;#ASMSTART
	v_dot2_f32_f16 v1, v9, v13, v1
	;;#ASMEND
	;;#ASMSTART
	v_dot2_f32_f16 v1, v10, v14, v1
	;;#ASMEND
	;;#ASMSTART
	v_dot2_f32_f16 v1, v11, v15, v1
	;;#ASMEND
	s_wait_dscnt 0x0
	;;#ASMSTART
	v_dot2_f32_f16 v89, v8, v22, v89
	;;#ASMEND
	;;#ASMSTART
	v_dot2_f32_f16 v89, v9, v23, v89
	;;#ASMEND
	;;#ASMSTART
	v_dot2_f32_f16 v89, v10, v24, v89
	;;#ASMEND
	;;#ASMSTART
	v_dot2_f32_f16 v89, v11, v25, v89
	;;#ASMEND
	ds_load_b128 v[8:11], v124 offset:160
	ds_load_b128 v[12:15], v123 offset:17056
	ds_load_b128 v[22:25], v123 offset:17568
	s_wait_dscnt 0x1
	;;#ASMSTART
	v_dot2_f32_f16 v1, v8, v12, v1
	;;#ASMEND
	;;#ASMSTART
	v_dot2_f32_f16 v1, v9, v13, v1
	;;#ASMEND
	;;#ASMSTART
	v_dot2_f32_f16 v1, v10, v14, v1
	;;#ASMEND
	;;#ASMSTART
	v_dot2_f32_f16 v1, v11, v15, v1
	;;#ASMEND
	s_wait_dscnt 0x0
	;;#ASMSTART
	v_dot2_f32_f16 v89, v8, v22, v89
	;;#ASMEND
	;;#ASMSTART
	v_dot2_f32_f16 v89, v9, v23, v89
	;;#ASMEND
	;;#ASMSTART
	v_dot2_f32_f16 v89, v10, v24, v89
	;;#ASMEND
	;;#ASMSTART
	v_dot2_f32_f16 v89, v11, v25, v89
	;;#ASMEND
	ds_load_b128 v[8:11], v124 offset:176
	ds_load_b128 v[12:15], v123 offset:17072
	ds_load_b128 v[22:25], v123 offset:17584
	s_wait_dscnt 0x1
	;;#ASMSTART
	v_dot2_f32_f16 v1, v8, v12, v1
	;;#ASMEND
	;;#ASMSTART
	v_dot2_f32_f16 v1, v9, v13, v1
	;;#ASMEND
	;;#ASMSTART
	v_dot2_f32_f16 v1, v10, v14, v1
	;;#ASMEND
	;;#ASMSTART
	v_dot2_f32_f16 v1, v11, v15, v1
	;;#ASMEND
	s_wait_dscnt 0x0
	;;#ASMSTART
	v_dot2_f32_f16 v89, v8, v22, v89
	;;#ASMEND
	;;#ASMSTART
	v_dot2_f32_f16 v89, v9, v23, v89
	;;#ASMEND
	;;#ASMSTART
	v_dot2_f32_f16 v89, v10, v24, v89
	;;#ASMEND
	;;#ASMSTART
	v_dot2_f32_f16 v89, v11, v25, v89
	;;#ASMEND
	ds_load_b128 v[8:11], v124 offset:192
	ds_load_b128 v[12:15], v123 offset:17088
	ds_load_b128 v[22:25], v123 offset:17600
	s_wait_dscnt 0x1
	;;#ASMSTART
	v_dot2_f32_f16 v1, v8, v12, v1
	;;#ASMEND
	;;#ASMSTART
	v_dot2_f32_f16 v1, v9, v13, v1
	;;#ASMEND
	;;#ASMSTART
	v_dot2_f32_f16 v1, v10, v14, v1
	;;#ASMEND
	;;#ASMSTART
	v_dot2_f32_f16 v1, v11, v15, v1
	;;#ASMEND
	s_wait_dscnt 0x0
	;;#ASMSTART
	v_dot2_f32_f16 v89, v8, v22, v89
	;;#ASMEND
	;;#ASMSTART
	v_dot2_f32_f16 v89, v9, v23, v89
	;;#ASMEND
	;;#ASMSTART
	v_dot2_f32_f16 v89, v10, v24, v89
	;;#ASMEND
	;;#ASMSTART
	v_dot2_f32_f16 v89, v11, v25, v89
	;;#ASMEND
	ds_load_b128 v[8:11], v124 offset:208
	ds_load_b128 v[12:15], v123 offset:17104
	ds_load_b128 v[22:25], v123 offset:17616
	s_wait_dscnt 0x1
	;;#ASMSTART
	v_dot2_f32_f16 v1, v8, v12, v1
	;;#ASMEND
	;;#ASMSTART
	v_dot2_f32_f16 v1, v9, v13, v1
	;;#ASMEND
	;;#ASMSTART
	v_dot2_f32_f16 v1, v10, v14, v1
	;;#ASMEND
	;;#ASMSTART
	v_dot2_f32_f16 v1, v11, v15, v1
	;;#ASMEND
	s_wait_dscnt 0x0
	;;#ASMSTART
	v_dot2_f32_f16 v89, v8, v22, v89
	;;#ASMEND
	;;#ASMSTART
	v_dot2_f32_f16 v89, v9, v23, v89
	;;#ASMEND
	;;#ASMSTART
	v_dot2_f32_f16 v89, v10, v24, v89
	;;#ASMEND
	;;#ASMSTART
	v_dot2_f32_f16 v89, v11, v25, v89
	;;#ASMEND
	ds_load_b128 v[8:11], v124 offset:224
	ds_load_b128 v[12:15], v123 offset:17120
	ds_load_b128 v[22:25], v123 offset:17632
	s_wait_dscnt 0x1
	;;#ASMSTART
	v_dot2_f32_f16 v1, v8, v12, v1
	;;#ASMEND
	;;#ASMSTART
	v_dot2_f32_f16 v1, v9, v13, v1
	;;#ASMEND
	;;#ASMSTART
	v_dot2_f32_f16 v1, v10, v14, v1
	;;#ASMEND
	;;#ASMSTART
	v_dot2_f32_f16 v1, v11, v15, v1
	;;#ASMEND
	s_wait_dscnt 0x0
	;;#ASMSTART
	v_dot2_f32_f16 v89, v8, v22, v89
	;;#ASMEND
	;;#ASMSTART
	v_dot2_f32_f16 v89, v9, v23, v89
	;;#ASMEND
	;;#ASMSTART
	v_dot2_f32_f16 v89, v10, v24, v89
	;;#ASMEND
	;;#ASMSTART
	v_dot2_f32_f16 v89, v11, v25, v89
	;;#ASMEND
	ds_load_b128 v[8:11], v124 offset:240
	ds_load_b128 v[12:15], v123 offset:17136
	ds_load_b128 v[22:25], v123 offset:17648
	s_wait_dscnt 0x1
	;;#ASMSTART
	v_dot2_f32_f16 v1, v8, v12, v1
	;;#ASMEND
	;;#ASMSTART
	v_dot2_f32_f16 v1, v9, v13, v1
	;;#ASMEND
	;;#ASMSTART
	v_dot2_f32_f16 v1, v10, v14, v1
	;;#ASMEND
	;;#ASMSTART
	v_dot2_f32_f16 v1, v11, v15, v1
	;;#ASMEND
	s_wait_dscnt 0x0
	;;#ASMSTART
	v_dot2_f32_f16 v89, v8, v22, v89
	;;#ASMEND
	;;#ASMSTART
	v_dot2_f32_f16 v89, v9, v23, v89
	;;#ASMEND
	;;#ASMSTART
	v_dot2_f32_f16 v89, v10, v24, v89
	;;#ASMEND
	;;#ASMSTART
	v_dot2_f32_f16 v89, v11, v25, v89
	;;#ASMEND
	ds_load_b128 v[8:11], v124 offset:256
	ds_load_b128 v[12:15], v123 offset:17152
	ds_load_b128 v[22:25], v123 offset:17664
	s_wait_dscnt 0x1
	;;#ASMSTART
	v_dot2_f32_f16 v1, v8, v12, v1
	;;#ASMEND
	;;#ASMSTART
	v_dot2_f32_f16 v1, v9, v13, v1
	;;#ASMEND
	;;#ASMSTART
	v_dot2_f32_f16 v1, v10, v14, v1
	;;#ASMEND
	;;#ASMSTART
	v_dot2_f32_f16 v1, v11, v15, v1
	;;#ASMEND
	s_wait_dscnt 0x0
	;;#ASMSTART
	v_dot2_f32_f16 v89, v8, v22, v89
	;;#ASMEND
	;;#ASMSTART
	v_dot2_f32_f16 v89, v9, v23, v89
	;;#ASMEND
	;;#ASMSTART
	v_dot2_f32_f16 v89, v10, v24, v89
	;;#ASMEND
	;;#ASMSTART
	v_dot2_f32_f16 v89, v11, v25, v89
	;;#ASMEND
	ds_load_b128 v[8:11], v124 offset:272
	ds_load_b128 v[12:15], v123 offset:17168
	ds_load_b128 v[22:25], v123 offset:17680
	s_wait_dscnt 0x1
	;;#ASMSTART
	v_dot2_f32_f16 v1, v8, v12, v1
	;;#ASMEND
	;;#ASMSTART
	v_dot2_f32_f16 v1, v9, v13, v1
	;;#ASMEND
	;;#ASMSTART
	v_dot2_f32_f16 v1, v10, v14, v1
	;;#ASMEND
	;;#ASMSTART
	v_dot2_f32_f16 v1, v11, v15, v1
	;;#ASMEND
	s_wait_dscnt 0x0
	;;#ASMSTART
	v_dot2_f32_f16 v89, v8, v22, v89
	;;#ASMEND
	;;#ASMSTART
	v_dot2_f32_f16 v89, v9, v23, v89
	;;#ASMEND
	;;#ASMSTART
	v_dot2_f32_f16 v89, v10, v24, v89
	;;#ASMEND
	;;#ASMSTART
	v_dot2_f32_f16 v89, v11, v25, v89
	;;#ASMEND
	ds_load_b128 v[8:11], v124 offset:288
	ds_load_b128 v[12:15], v123 offset:17184
	ds_load_b128 v[22:25], v123 offset:17696
	s_wait_dscnt 0x1
	;;#ASMSTART
	v_dot2_f32_f16 v1, v8, v12, v1
	;;#ASMEND
	;;#ASMSTART
	v_dot2_f32_f16 v1, v9, v13, v1
	;;#ASMEND
	;;#ASMSTART
	v_dot2_f32_f16 v1, v10, v14, v1
	;;#ASMEND
	;;#ASMSTART
	v_dot2_f32_f16 v1, v11, v15, v1
	;;#ASMEND
	s_wait_dscnt 0x0
	;;#ASMSTART
	v_dot2_f32_f16 v89, v8, v22, v89
	;;#ASMEND
	;;#ASMSTART
	v_dot2_f32_f16 v89, v9, v23, v89
	;;#ASMEND
	;;#ASMSTART
	v_dot2_f32_f16 v89, v10, v24, v89
	;;#ASMEND
	;;#ASMSTART
	v_dot2_f32_f16 v89, v11, v25, v89
	;;#ASMEND
	ds_load_b128 v[8:11], v124 offset:304
	ds_load_b128 v[12:15], v123 offset:17200
	ds_load_b128 v[22:25], v123 offset:17712
	s_wait_dscnt 0x1
	;;#ASMSTART
	v_dot2_f32_f16 v1, v8, v12, v1
	;;#ASMEND
	;;#ASMSTART
	v_dot2_f32_f16 v1, v9, v13, v1
	;;#ASMEND
	;;#ASMSTART
	v_dot2_f32_f16 v1, v10, v14, v1
	;;#ASMEND
	;;#ASMSTART
	v_dot2_f32_f16 v1, v11, v15, v1
	;;#ASMEND
	s_wait_dscnt 0x0
	;;#ASMSTART
	v_dot2_f32_f16 v89, v8, v22, v89
	;;#ASMEND
	;;#ASMSTART
	v_dot2_f32_f16 v89, v9, v23, v89
	;;#ASMEND
	;;#ASMSTART
	v_dot2_f32_f16 v89, v10, v24, v89
	;;#ASMEND
	;;#ASMSTART
	v_dot2_f32_f16 v89, v11, v25, v89
	;;#ASMEND
	ds_load_b128 v[8:11], v124 offset:320
	ds_load_b128 v[12:15], v123 offset:17216
	ds_load_b128 v[22:25], v123 offset:17728
	s_wait_dscnt 0x1
	;;#ASMSTART
	v_dot2_f32_f16 v1, v8, v12, v1
	;;#ASMEND
	;;#ASMSTART
	v_dot2_f32_f16 v1, v9, v13, v1
	;;#ASMEND
	;;#ASMSTART
	v_dot2_f32_f16 v1, v10, v14, v1
	;;#ASMEND
	;;#ASMSTART
	v_dot2_f32_f16 v1, v11, v15, v1
	;;#ASMEND
	s_wait_dscnt 0x0
	;;#ASMSTART
	v_dot2_f32_f16 v89, v8, v22, v89
	;;#ASMEND
	;;#ASMSTART
	v_dot2_f32_f16 v89, v9, v23, v89
	;;#ASMEND
	;;#ASMSTART
	v_dot2_f32_f16 v89, v10, v24, v89
	;;#ASMEND
	;;#ASMSTART
	v_dot2_f32_f16 v89, v11, v25, v89
	;;#ASMEND
	ds_load_b128 v[8:11], v124 offset:336
	ds_load_b128 v[12:15], v123 offset:17232
	ds_load_b128 v[22:25], v123 offset:17744
	s_wait_dscnt 0x1
	;;#ASMSTART
	v_dot2_f32_f16 v1, v8, v12, v1
	;;#ASMEND
	;;#ASMSTART
	v_dot2_f32_f16 v1, v9, v13, v1
	;;#ASMEND
	;;#ASMSTART
	v_dot2_f32_f16 v1, v10, v14, v1
	;;#ASMEND
	;;#ASMSTART
	v_dot2_f32_f16 v1, v11, v15, v1
	;;#ASMEND
	s_wait_dscnt 0x0
	;;#ASMSTART
	v_dot2_f32_f16 v89, v8, v22, v89
	;;#ASMEND
	;;#ASMSTART
	v_dot2_f32_f16 v89, v9, v23, v89
	;;#ASMEND
	;;#ASMSTART
	v_dot2_f32_f16 v89, v10, v24, v89
	;;#ASMEND
	;;#ASMSTART
	v_dot2_f32_f16 v89, v11, v25, v89
	;;#ASMEND
	ds_load_b128 v[8:11], v124 offset:352
	ds_load_b128 v[12:15], v123 offset:17248
	ds_load_b128 v[22:25], v123 offset:17760
	s_wait_dscnt 0x1
	;;#ASMSTART
	v_dot2_f32_f16 v1, v8, v12, v1
	;;#ASMEND
	;;#ASMSTART
	v_dot2_f32_f16 v1, v9, v13, v1
	;;#ASMEND
	;;#ASMSTART
	v_dot2_f32_f16 v1, v10, v14, v1
	;;#ASMEND
	;;#ASMSTART
	v_dot2_f32_f16 v1, v11, v15, v1
	;;#ASMEND
	s_wait_dscnt 0x0
	;;#ASMSTART
	v_dot2_f32_f16 v89, v8, v22, v89
	;;#ASMEND
	;;#ASMSTART
	v_dot2_f32_f16 v89, v9, v23, v89
	;;#ASMEND
	;;#ASMSTART
	v_dot2_f32_f16 v89, v10, v24, v89
	;;#ASMEND
	;;#ASMSTART
	v_dot2_f32_f16 v89, v11, v25, v89
	;;#ASMEND
	ds_load_b128 v[8:11], v124 offset:368
	ds_load_b128 v[12:15], v123 offset:17264
	ds_load_b128 v[22:25], v123 offset:17776
	s_wait_dscnt 0x1
	;;#ASMSTART
	v_dot2_f32_f16 v1, v8, v12, v1
	;;#ASMEND
	;;#ASMSTART
	v_dot2_f32_f16 v1, v9, v13, v1
	;;#ASMEND
	;;#ASMSTART
	v_dot2_f32_f16 v1, v10, v14, v1
	;;#ASMEND
	;;#ASMSTART
	v_dot2_f32_f16 v1, v11, v15, v1
	;;#ASMEND
	s_wait_dscnt 0x0
	;;#ASMSTART
	v_dot2_f32_f16 v89, v8, v22, v89
	;;#ASMEND
	;;#ASMSTART
	v_dot2_f32_f16 v89, v9, v23, v89
	;;#ASMEND
	;;#ASMSTART
	v_dot2_f32_f16 v89, v10, v24, v89
	;;#ASMEND
	;;#ASMSTART
	v_dot2_f32_f16 v89, v11, v25, v89
	;;#ASMEND
	ds_load_b128 v[8:11], v124 offset:384
	ds_load_b128 v[12:15], v123 offset:17280
	ds_load_b128 v[22:25], v123 offset:17792
	s_wait_dscnt 0x1
	;;#ASMSTART
	v_dot2_f32_f16 v1, v8, v12, v1
	;;#ASMEND
	;;#ASMSTART
	v_dot2_f32_f16 v1, v9, v13, v1
	;;#ASMEND
	;;#ASMSTART
	v_dot2_f32_f16 v1, v10, v14, v1
	;;#ASMEND
	;;#ASMSTART
	v_dot2_f32_f16 v1, v11, v15, v1
	;;#ASMEND
	s_wait_dscnt 0x0
	;;#ASMSTART
	v_dot2_f32_f16 v89, v8, v22, v89
	;;#ASMEND
	;;#ASMSTART
	v_dot2_f32_f16 v89, v9, v23, v89
	;;#ASMEND
	;;#ASMSTART
	v_dot2_f32_f16 v89, v10, v24, v89
	;;#ASMEND
	;;#ASMSTART
	v_dot2_f32_f16 v89, v11, v25, v89
	;;#ASMEND
	ds_load_b128 v[8:11], v124 offset:400
	ds_load_b128 v[12:15], v123 offset:17296
	ds_load_b128 v[22:25], v123 offset:17808
	s_wait_dscnt 0x1
	;;#ASMSTART
	v_dot2_f32_f16 v1, v8, v12, v1
	;;#ASMEND
	;;#ASMSTART
	v_dot2_f32_f16 v1, v9, v13, v1
	;;#ASMEND
	;;#ASMSTART
	v_dot2_f32_f16 v1, v10, v14, v1
	;;#ASMEND
	;;#ASMSTART
	v_dot2_f32_f16 v1, v11, v15, v1
	;;#ASMEND
	s_wait_dscnt 0x0
	;;#ASMSTART
	v_dot2_f32_f16 v89, v8, v22, v89
	;;#ASMEND
	;;#ASMSTART
	v_dot2_f32_f16 v89, v9, v23, v89
	;;#ASMEND
	;;#ASMSTART
	v_dot2_f32_f16 v89, v10, v24, v89
	;;#ASMEND
	;;#ASMSTART
	v_dot2_f32_f16 v89, v11, v25, v89
	;;#ASMEND
	ds_load_b128 v[8:11], v124 offset:416
	ds_load_b128 v[12:15], v123 offset:17312
	ds_load_b128 v[22:25], v123 offset:17824
	s_wait_dscnt 0x1
	;;#ASMSTART
	v_dot2_f32_f16 v1, v8, v12, v1
	;;#ASMEND
	;;#ASMSTART
	v_dot2_f32_f16 v1, v9, v13, v1
	;;#ASMEND
	;;#ASMSTART
	v_dot2_f32_f16 v1, v10, v14, v1
	;;#ASMEND
	;;#ASMSTART
	v_dot2_f32_f16 v1, v11, v15, v1
	;;#ASMEND
	s_wait_dscnt 0x0
	;;#ASMSTART
	v_dot2_f32_f16 v89, v8, v22, v89
	;;#ASMEND
	;;#ASMSTART
	v_dot2_f32_f16 v89, v9, v23, v89
	;;#ASMEND
	;;#ASMSTART
	v_dot2_f32_f16 v89, v10, v24, v89
	;;#ASMEND
	;;#ASMSTART
	v_dot2_f32_f16 v89, v11, v25, v89
	;;#ASMEND
	ds_load_b128 v[8:11], v124 offset:432
	ds_load_b128 v[12:15], v123 offset:17328
	ds_load_b128 v[22:25], v123 offset:17840
	s_wait_dscnt 0x1
	;;#ASMSTART
	v_dot2_f32_f16 v1, v8, v12, v1
	;;#ASMEND
	;;#ASMSTART
	v_dot2_f32_f16 v1, v9, v13, v1
	;;#ASMEND
	;;#ASMSTART
	v_dot2_f32_f16 v1, v10, v14, v1
	;;#ASMEND
	;;#ASMSTART
	v_dot2_f32_f16 v1, v11, v15, v1
	;;#ASMEND
	s_wait_dscnt 0x0
	;;#ASMSTART
	v_dot2_f32_f16 v89, v8, v22, v89
	;;#ASMEND
	;;#ASMSTART
	v_dot2_f32_f16 v89, v9, v23, v89
	;;#ASMEND
	;;#ASMSTART
	v_dot2_f32_f16 v89, v10, v24, v89
	;;#ASMEND
	;;#ASMSTART
	v_dot2_f32_f16 v89, v11, v25, v89
	;;#ASMEND
	ds_load_b128 v[8:11], v124 offset:448
	ds_load_b128 v[12:15], v123 offset:17344
	ds_load_b128 v[22:25], v123 offset:17856
	s_wait_dscnt 0x1
	;;#ASMSTART
	v_dot2_f32_f16 v1, v8, v12, v1
	;;#ASMEND
	;;#ASMSTART
	v_dot2_f32_f16 v1, v9, v13, v1
	;;#ASMEND
	;;#ASMSTART
	v_dot2_f32_f16 v1, v10, v14, v1
	;;#ASMEND
	;;#ASMSTART
	v_dot2_f32_f16 v1, v11, v15, v1
	;;#ASMEND
	s_wait_dscnt 0x0
	;;#ASMSTART
	v_dot2_f32_f16 v89, v8, v22, v89
	;;#ASMEND
	;;#ASMSTART
	v_dot2_f32_f16 v89, v9, v23, v89
	;;#ASMEND
	;;#ASMSTART
	v_dot2_f32_f16 v89, v10, v24, v89
	;;#ASMEND
	;;#ASMSTART
	v_dot2_f32_f16 v89, v11, v25, v89
	;;#ASMEND
	ds_load_b128 v[8:11], v124 offset:464
	ds_load_b128 v[12:15], v123 offset:17360
	ds_load_b128 v[22:25], v123 offset:17872
	s_wait_dscnt 0x1
	;;#ASMSTART
	v_dot2_f32_f16 v1, v8, v12, v1
	;;#ASMEND
	;;#ASMSTART
	v_dot2_f32_f16 v1, v9, v13, v1
	;;#ASMEND
	;;#ASMSTART
	v_dot2_f32_f16 v1, v10, v14, v1
	;;#ASMEND
	;;#ASMSTART
	v_dot2_f32_f16 v1, v11, v15, v1
	;;#ASMEND
	s_wait_dscnt 0x0
	;;#ASMSTART
	v_dot2_f32_f16 v89, v8, v22, v89
	;;#ASMEND
	;;#ASMSTART
	v_dot2_f32_f16 v89, v9, v23, v89
	;;#ASMEND
	;;#ASMSTART
	v_dot2_f32_f16 v89, v10, v24, v89
	;;#ASMEND
	;;#ASMSTART
	v_dot2_f32_f16 v89, v11, v25, v89
	;;#ASMEND
	ds_load_b128 v[8:11], v124 offset:480
	ds_load_b128 v[12:15], v123 offset:17376
	ds_load_b128 v[22:25], v123 offset:17888
	s_wait_dscnt 0x1
	;;#ASMSTART
	v_dot2_f32_f16 v1, v8, v12, v1
	;;#ASMEND
	;;#ASMSTART
	v_dot2_f32_f16 v1, v9, v13, v1
	;;#ASMEND
	;;#ASMSTART
	v_dot2_f32_f16 v1, v10, v14, v1
	;;#ASMEND
	;;#ASMSTART
	v_dot2_f32_f16 v1, v11, v15, v1
	;;#ASMEND
	s_wait_dscnt 0x0
	;;#ASMSTART
	v_dot2_f32_f16 v89, v8, v22, v89
	;;#ASMEND
	;;#ASMSTART
	v_dot2_f32_f16 v89, v9, v23, v89
	;;#ASMEND
	;;#ASMSTART
	v_dot2_f32_f16 v89, v10, v24, v89
	;;#ASMEND
	;;#ASMSTART
	v_dot2_f32_f16 v89, v11, v25, v89
	;;#ASMEND
	ds_load_b128 v[8:11], v124 offset:496
	ds_load_b128 v[12:15], v123 offset:17392
	ds_load_b128 v[22:25], v123 offset:17904
	s_wait_dscnt 0x1
	;;#ASMSTART
	v_dot2_f32_f16 v1, v8, v12, v1
	;;#ASMEND
	;;#ASMSTART
	v_dot2_f32_f16 v1, v9, v13, v1
	;;#ASMEND
	;; [unrolled: 3-line block ×4, first 2 shown]
	v_cmp_ngt_f32_e64 s6, 0x3f200000, |v1|
	s_wait_dscnt 0x0
	;;#ASMSTART
	v_dot2_f32_f16 v89, v8, v22, v89
	;;#ASMEND
	;;#ASMSTART
	v_dot2_f32_f16 v89, v9, v23, v89
	;;#ASMEND
	;; [unrolled: 3-line block ×4, first 2 shown]
	s_and_saveexec_b32 s8, s6
	s_delay_alu instid0(SALU_CYCLE_1)
	s_xor_b32 s6, exec_lo, s8
	s_cbranch_execz .LBB71_31
; %bb.30:
	v_add_f32_e64 v0, |v1|, |v1|
	s_delay_alu instid0(VALU_DEP_1) | instskip(SKIP_1) | instid1(VALU_DEP_2)
	v_mul_f32_e32 v2, 0x3fb8aa3b, v0
	v_cmp_ngt_f32_e32 vcc_lo, 0xc2ce8ed0, v0
	v_rndne_f32_e32 v3, v2
	v_fma_f32 v7, 0x3fb8aa3b, v0, -v2
	s_delay_alu instid0(VALU_DEP_1) | instskip(SKIP_1) | instid1(VALU_DEP_2)
	v_dual_sub_f32 v2, v2, v3 :: v_dual_fmamk_f32 v7, v0, 0x32a5705f, v7
	v_cvt_i32_f32_e32 v3, v3
	v_add_f32_e32 v2, v2, v7
	s_delay_alu instid0(VALU_DEP_1) | instskip(SKIP_1) | instid1(TRANS32_DEP_1)
	v_exp_f32_e32 v2, v2
	v_nop
	v_ldexp_f32 v2, v2, v3
	s_delay_alu instid0(VALU_DEP_1) | instskip(SKIP_1) | instid1(VALU_DEP_2)
	v_cndmask_b32_e32 v2, 0, v2, vcc_lo
	v_cmp_nlt_f32_e32 vcc_lo, 0x42b17218, v0
	v_cndmask_b32_e32 v0, 0x7f800000, v2, vcc_lo
	s_delay_alu instid0(VALU_DEP_1) | instskip(NEXT) | instid1(VALU_DEP_1)
	v_add_f32_e32 v0, 1.0, v0
	v_rcp_f32_e32 v0, v0
	v_nop
	s_delay_alu instid0(TRANS32_DEP_1)
	v_fma_f32 v0, v0, -2.0, 1.0
.LBB71_31:
	s_and_not1_saveexec_b32 s6, s6
	s_cbranch_execz .LBB71_33
; %bb.32:
	v_mul_f32_e32 v0, v1, v1
	s_mov_b32 s8, 0xbbbac73d
	s_delay_alu instid0(VALU_DEP_1) | instid1(SALU_CYCLE_1)
	v_fmaak_f32 v2, s8, v0, 0x3ca908c9
	s_delay_alu instid0(VALU_DEP_1) | instskip(NEXT) | instid1(VALU_DEP_1)
	v_fmaak_f32 v2, v0, v2, 0xbd5c1c4e
	v_fmaak_f32 v2, v0, v2, 0x3e088382
	s_delay_alu instid0(VALU_DEP_1) | instskip(NEXT) | instid1(VALU_DEP_1)
	v_fmaak_f32 v2, v0, v2, 0xbeaaaa99
	v_mul_f32_e64 v2, |v1|, v2
	s_delay_alu instid0(VALU_DEP_1)
	v_fma_f32 v0, v0, v2, |v1|
.LBB71_33:
	s_or_b32 exec_lo, exec_lo, s6
	s_delay_alu instid0(VALU_DEP_1)
	v_bfi_b32 v0, 0x7fffffff, v0, v1
	s_cmp_lg_u64 s[30:31], 0
	v_mov_b64_e32 v[2:3], v[94:95]
	s_cselect_b32 s9, -1, 0
	v_cmp_gt_i32_e64 s6, s7, v117
	v_dual_mul_f32 v0, s11, v0 :: v_dual_add_nc_u32 v7, s26, v117
	v_cndmask_b32_e64 v8, 0, 1, s9
	v_mov_b32_e32 v1, v94
	s_and_saveexec_b32 s8, s6
	s_cbranch_execz .LBB71_38
; %bb.34:
	s_and_not1_b32 vcc_lo, exec_lo, s9
	s_cbranch_vccnz .LBB71_36
; %bb.35:
	v_mad_u32 v1, v92, s10, v7
	global_load_u16 v1, v1, s[30:31] scale_offset
	s_wait_loadcnt 0x0
	v_cvt_f32_f16_e32 v1, v1
	s_delay_alu instid0(VALU_DEP_1)
	v_mul_f32_e32 v1, v122, v1
	s_branch .LBB71_37
.LBB71_36:
	v_mov_b32_e32 v1, 0
.LBB71_37:
	s_delay_alu instid0(VALU_DEP_1) | instskip(NEXT) | instid1(VALU_DEP_1)
	v_dual_add_f32 v0, v0, v1 :: v_dual_max_num_f32 v1, v94, v94
	v_add_f32_e32 v2, 0x40051340, v0
	s_delay_alu instid0(VALU_DEP_1)
	v_max_num_f32_e32 v1, v1, v2
	v_mov_b64_e32 v[2:3], v[94:95]
.LBB71_38:
	s_or_b32 exec_lo, exec_lo, s8
	v_xor_b32_e32 v125, 16, v118
	v_dual_mov_b32 v127, 32 :: v_dual_bitop2_b32 v128, 4, v118 bitop3:0x14
	v_cmp_ngt_f32_e64 s8, 0x3f200000, |v89|
	v_xor_b32_e32 v126, 8, v118
	s_delay_alu instid0(VALU_DEP_4) | instskip(SKIP_2) | instid1(VALU_DEP_4)
	v_cmp_gt_i32_e32 vcc_lo, 32, v125
	v_xor_b32_e32 v129, 2, v118
	v_dual_cndmask_b32 v2, v118, v125, vcc_lo :: v_dual_bitop2_b32 v130, 1, v118 bitop3:0x14
	v_cmp_gt_i32_e32 vcc_lo, 32, v126
	s_delay_alu instid0(VALU_DEP_2)
	v_lshlrev_b32_e32 v2, 2, v2
	ds_bpermute_b32 v9, v2, v1
	v_max_num_f32_e32 v1, v1, v1
	s_wait_dscnt 0x0
	v_dual_max_num_f32 v11, v9, v9 :: v_dual_cndmask_b32 v10, v118, v126
	v_cmp_gt_i32_e32 vcc_lo, 32, v128
	s_delay_alu instid0(VALU_DEP_2)
	v_dual_max_num_f32 v1, v1, v11 :: v_dual_lshlrev_b32 v9, 2, v10
	v_cndmask_b32_e32 v11, v118, v128, vcc_lo
	v_cmp_gt_i32_e32 vcc_lo, 32, v129
	ds_bpermute_b32 v10, v9, v1
	s_wait_dscnt 0x0
	v_dual_max_num_f32 v12, v10, v10 :: v_dual_lshlrev_b32 v10, 2, v11
	s_delay_alu instid0(VALU_DEP_1) | instskip(SKIP_4) | instid1(VALU_DEP_1)
	v_dual_max_num_f32 v1, v1, v12 :: v_dual_cndmask_b32 v12, v118, v129
	v_cmp_gt_i32_e32 vcc_lo, 32, v130
	ds_bpermute_b32 v11, v10, v1
	s_wait_dscnt 0x0
	v_dual_max_num_f32 v13, v11, v11 :: v_dual_lshlrev_b32 v11, 2, v12
	v_max_num_f32_e32 v1, v1, v13
	ds_bpermute_b32 v12, v11, v1
	s_wait_dscnt 0x0
	v_dual_cndmask_b32 v13, v118, v130 :: v_dual_max_num_f32 v14, v12, v12
	s_delay_alu instid0(VALU_DEP_1) | instskip(SKIP_2) | instid1(SALU_CYCLE_1)
	v_dual_max_num_f32 v1, v1, v14 :: v_dual_lshlrev_b32 v12, 2, v13
                                        ; implicit-def: $vgpr14
	ds_bpermute_b32 v13, v12, v1
	s_and_saveexec_b32 s9, s8
	s_xor_b32 s8, exec_lo, s9
	s_cbranch_execz .LBB71_40
; %bb.39:
	v_add_f32_e64 v14, |v89|, |v89|
	s_delay_alu instid0(VALU_DEP_1) | instskip(SKIP_1) | instid1(VALU_DEP_2)
	v_mul_f32_e32 v15, 0x3fb8aa3b, v14
	v_cmp_ngt_f32_e32 vcc_lo, 0xc2ce8ed0, v14
	v_rndne_f32_e32 v22, v15
	v_fma_f32 v23, 0x3fb8aa3b, v14, -v15
	s_delay_alu instid0(VALU_DEP_2) | instskip(NEXT) | instid1(VALU_DEP_2)
	v_sub_f32_e32 v15, v15, v22
	v_fmamk_f32 v23, v14, 0x32a5705f, v23
	v_cvt_i32_f32_e32 v22, v22
	s_delay_alu instid0(VALU_DEP_2) | instskip(NEXT) | instid1(VALU_DEP_1)
	v_add_f32_e32 v15, v15, v23
	v_exp_f32_e32 v15, v15
	v_nop
	s_delay_alu instid0(TRANS32_DEP_1) | instskip(NEXT) | instid1(VALU_DEP_1)
	v_ldexp_f32 v15, v15, v22
	v_cndmask_b32_e32 v15, 0, v15, vcc_lo
	v_cmp_nlt_f32_e32 vcc_lo, 0x42b17218, v14
	s_delay_alu instid0(VALU_DEP_2) | instskip(NEXT) | instid1(VALU_DEP_1)
	v_cndmask_b32_e32 v14, 0x7f800000, v15, vcc_lo
	v_add_f32_e32 v14, 1.0, v14
	s_delay_alu instid0(VALU_DEP_1) | instskip(SKIP_1) | instid1(TRANS32_DEP_1)
	v_rcp_f32_e32 v14, v14
	v_nop
	v_fma_f32 v14, v14, -2.0, 1.0
.LBB71_40:
	s_and_not1_saveexec_b32 s8, s8
	s_cbranch_execz .LBB71_42
; %bb.41:
	v_mul_f32_e32 v14, v89, v89
	s_mov_b32 s9, 0xbbbac73d
	s_delay_alu instid0(VALU_DEP_1) | instid1(SALU_CYCLE_1)
	v_fmaak_f32 v15, s9, v14, 0x3ca908c9
	s_delay_alu instid0(VALU_DEP_1) | instskip(NEXT) | instid1(VALU_DEP_1)
	v_fmaak_f32 v15, v14, v15, 0xbd5c1c4e
	v_fmaak_f32 v15, v14, v15, 0x3e088382
	s_delay_alu instid0(VALU_DEP_1) | instskip(NEXT) | instid1(VALU_DEP_1)
	v_fmaak_f32 v15, v14, v15, 0xbeaaaa99
	v_mul_f32_e64 v15, |v89|, v15
	s_delay_alu instid0(VALU_DEP_1)
	v_fma_f32 v14, v14, v15, |v89|
.LBB71_42:
	s_or_b32 exec_lo, exec_lo, s8
	v_max_num_f32_e32 v1, v1, v1
	s_delay_alu instid0(VALU_DEP_2) | instskip(SKIP_2) | instid1(VALU_DEP_1)
	v_bfi_b32 v14, 0x7fffffff, v14, v89
	s_wait_dscnt 0x0
	v_max_num_f32_e32 v13, v13, v13
	v_dual_max_num_f32 v110, v1, v13 :: v_dual_mul_f32 v1, s11, v14
	s_and_saveexec_b32 s8, s6
	s_cbranch_execz .LBB71_47
; %bb.43:
	v_cmp_ne_u32_e32 vcc_lo, 1, v8
	s_cbranch_vccnz .LBB71_45
; %bb.44:
	v_dual_mov_b32 v15, 0 :: v_dual_bitop2_b32 v14, 1, v116 bitop3:0x54
	s_delay_alu instid0(VALU_DEP_1) | instskip(NEXT) | instid1(VALU_DEP_1)
	v_mul_u64_e32 v[22:23], s[34:35], v[14:15]
	v_add_nc_u32_e32 v8, v14, v23
	s_delay_alu instid0(VALU_DEP_1) | instskip(NEXT) | instid1(VALU_DEP_1)
	v_lshrrev_b32_e32 v8, s21, v8
	v_mul_lo_u32 v8, v8, s22
	s_delay_alu instid0(VALU_DEP_1) | instskip(NEXT) | instid1(VALU_DEP_1)
	v_sub_nc_u32_e32 v8, v14, v8
	v_mad_u32 v7, v8, s10, v7
	global_load_u16 v7, v7, s[30:31] scale_offset
	s_wait_loadcnt 0x0
	v_cvt_f32_f16_e32 v7, v7
	s_delay_alu instid0(VALU_DEP_1)
	v_mul_f32_e32 v7, v122, v7
	s_branch .LBB71_46
.LBB71_45:
	v_mov_b32_e32 v7, 0
.LBB71_46:
	v_max_num_f32_e32 v3, v3, v3
	s_delay_alu instid0(VALU_DEP_2) | instskip(NEXT) | instid1(VALU_DEP_1)
	v_add_f32_e32 v1, v1, v7
	v_add_f32_e32 v7, 0x40051340, v1
	s_delay_alu instid0(VALU_DEP_1)
	v_max_num_f32_e32 v3, v3, v7
.LBB71_47:
	s_or_b32 exec_lo, exec_lo, s8
	ds_bpermute_b32 v2, v2, v3
	v_max_num_f32_e32 v3, v3, v3
	s_ashr_i32 s15, s14, 31
	s_mov_b32 s8, 0
	s_mul_u64 s[10:11], s[26:27], s[14:15]
	s_mov_b32 s9, s8
	s_lshl_b64 s[10:11], s[10:11], 2
	s_wait_dscnt 0x0
	s_add_nc_u64 s[24:25], s[24:25], s[10:11]
	s_mov_b32 s10, s8
	s_barrier_signal -1
	s_barrier_wait -1
	v_lshl_add_u32 v5, v5, 9, v88
	v_add_nc_u32_e32 v123, 0x2800, v93
	v_dual_sub_f32 v7, v0, v110 :: v_dual_add_nc_u32 v124, 0x3000, v93
	v_dual_mov_b32 v89, 0 :: v_dual_lshlrev_b32 v122, 7, v121
	v_max_num_f32_e32 v2, v2, v2
	s_delay_alu instid0(VALU_DEP_3) | instskip(NEXT) | instid1(VALU_DEP_2)
	v_cmp_ngt_f32_e32 vcc_lo, 0xc2ce8ed0, v7
	v_max_num_f32_e32 v2, v3, v2
	ds_bpermute_b32 v3, v9, v2
	s_wait_dscnt 0x0
	v_max_num_f32_e32 v3, v3, v3
	s_delay_alu instid0(VALU_DEP_1) | instskip(SKIP_3) | instid1(VALU_DEP_1)
	v_max_num_f32_e32 v2, v2, v3
	ds_bpermute_b32 v3, v10, v2
	s_wait_dscnt 0x0
	v_max_num_f32_e32 v3, v3, v3
	v_max_num_f32_e32 v2, v2, v3
	ds_bpermute_b32 v3, v11, v2
	v_mbcnt_lo_u32_b32 v11, -1, 0
	s_wait_dscnt 0x0
	v_max_num_f32_e32 v3, v3, v3
	s_delay_alu instid0(VALU_DEP_1) | instskip(SKIP_3) | instid1(VALU_DEP_1)
	v_max_num_f32_e32 v2, v2, v3
	ds_bpermute_b32 v3, v12, v2
	s_wait_dscnt 0x0
	v_max_num_f32_e32 v3, v3, v3
	v_max_num_f32_e32 v111, v2, v3
	s_delay_alu instid0(VALU_DEP_1) | instskip(NEXT) | instid1(VALU_DEP_1)
	v_sub_f32_e32 v8, v1, v111
	v_dual_mul_f32 v0, 0x3fb8aa3b, v7 :: v_dual_mul_f32 v1, 0x3fb8aa3b, v8
	s_delay_alu instid0(VALU_DEP_1) | instskip(SKIP_2) | instid1(VALU_DEP_4)
	v_fma_f32 v2, 0x3fb8aa3b, v7, -v0
	v_rndne_f32_e32 v3, v0
	v_cmp_nlt_f32_e64 s6, 0x42b17218, v8
	v_fma_f32 v9, 0x3fb8aa3b, v8, -v1
	v_rndne_f32_e32 v10, v1
	v_fmac_f32_e32 v2, 0x32a5705f, v7
	v_sub_f32_e32 v0, v0, v3
	v_cvt_i32_f32_e32 v3, v3
	v_fmac_f32_e32 v9, 0x32a5705f, v8
	v_sub_f32_e32 v1, v1, v10
	v_cvt_i32_f32_e32 v10, v10
	v_dual_add_f32 v2, v0, v2 :: v_dual_mov_b32 v0, 0
	s_delay_alu instid0(VALU_DEP_3) | instskip(NEXT) | instid1(VALU_DEP_2)
	v_add_f32_e32 v1, v1, v9
	v_exp_f32_e32 v2, v2
	s_delay_alu instid0(VALU_DEP_1) | instskip(NEXT) | instid1(TRANS32_DEP_2)
	v_exp_f32_e32 v9, v1
	v_ldexp_f32 v2, v2, v3
	v_lshlrev_b32_e32 v1, 20, v11
	s_delay_alu instid0(TRANS32_DEP_1) | instskip(NEXT) | instid1(VALU_DEP_3)
	v_ldexp_f32 v9, v9, v10
	v_cndmask_b32_e32 v10, 0, v2, vcc_lo
	v_cmp_ngt_f32_e32 vcc_lo, 0xc2ce8ed0, v8
	v_lshl_add_u64 v[2:3], v[90:91], 2, s[24:25]
	v_add_nc_u64_e32 v[14:15], src_flat_scratch_base_lo, v[0:1]
	v_cndmask_b32_e32 v9, 0, v9, vcc_lo
	v_cmp_nlt_f32_e32 vcc_lo, 0x42b17218, v7
	s_delay_alu instid0(VALU_DEP_4) | instskip(SKIP_3) | instid1(VALU_DEP_4)
	v_add_nc_u64_e32 v[0:1], v[2:3], v[88:89]
	v_add3_u32 v2, 0x6200, v122, v115
	v_cndmask_b32_e32 v7, 0x7f800000, v10, vcc_lo
	v_cmp_gt_u32_e32 vcc_lo, s7, v117
	v_dual_mov_b32 v12, s10 :: v_dual_cndmask_b32 v1, v15, v1, s2
	v_cndmask_b32_e64 v0, v14, v0, s2
	s_lshl_b32 s2, s14, 3
	v_cndmask_b32_e32 v8, 0, v7, vcc_lo
	v_cndmask_b32_e64 v9, 0x7f800000, v9, s6
	v_dual_mov_b32 v11, s9 :: v_dual_mov_b32 v10, s8
	s_clause 0x1
	scratch_store_b32 off, v89, off
	scratch_store_b96 off, v[10:12], off offset:4
	v_dual_cndmask_b32 v7, 0, v9 :: v_dual_add_nc_u32 v22, s2, v90
	v_lshl_add_u32 v9, v121, 9, v88
	v_add_nc_u32_e32 v121, 0x3800, v93
	s_delay_alu instid0(VALU_DEP_3) | instskip(NEXT) | instid1(VALU_DEP_4)
	v_cvt_pk_f16_f32 v3, v8, v7
	v_ashrrev_i32_e32 v23, 31, v22
	ds_store_b32 v2, v3
	flat_load_b128 v[0:3], v[0:1]
	v_lshl_add_u64 v[24:25], v[22:23], 2, s[24:25]
	s_clause 0x1
	scratch_store_b32 off, v89, off
	scratch_store_b96 off, v[10:12], off offset:4
	v_add_nc_u64_e32 v[24:25], v[24:25], v[88:89]
	s_delay_alu instid0(VALU_DEP_1) | instskip(SKIP_1) | instid1(VALU_DEP_1)
	v_dual_cndmask_b32 v25, v15, v25, s3 :: v_dual_cndmask_b32 v24, v14, v24, s3
	v_add_nc_u32_e32 v22, s2, v22
	v_ashrrev_i32_e32 v23, 31, v22
	s_wait_loadcnt_dscnt 0x0
	ds_store_b128 v9, v[0:3]
	flat_load_b128 v[0:3], v[24:25]
	s_wait_xcnt 0x0
	v_lshl_add_u64 v[24:25], v[22:23], 2, s[24:25]
	s_clause 0x1
	scratch_store_b32 off, v89, off
	scratch_store_b96 off, v[10:12], off offset:4
	v_add_nc_u64_e32 v[24:25], v[24:25], v[88:89]
	s_delay_alu instid0(VALU_DEP_1) | instskip(SKIP_1) | instid1(VALU_DEP_1)
	v_dual_cndmask_b32 v25, v15, v25, s4 :: v_dual_cndmask_b32 v24, v14, v24, s4
	v_add_nc_u32_e32 v22, s2, v22
	v_ashrrev_i32_e32 v23, 31, v22
	s_delay_alu instid0(VALU_DEP_1) | instskip(NEXT) | instid1(VALU_DEP_1)
	v_lshl_add_u64 v[22:23], v[22:23], 2, s[24:25]
	v_add_nc_u64_e32 v[22:23], v[22:23], v[88:89]
	s_delay_alu instid0(VALU_DEP_1)
	v_dual_cndmask_b32 v15, v15, v23, s5 :: v_dual_cndmask_b32 v14, v14, v22, s5
	s_wait_loadcnt_dscnt 0x0
	ds_store_b128 v5, v[0:3]
	flat_load_b128 v[0:3], v[24:25]
	v_lshl_add_u32 v5, v6, 9, v88
	s_clause 0x1
	scratch_store_b32 off, v89, off
	scratch_store_b96 off, v[10:12], off offset:4
	v_sub_f32_e32 v6, v95, v111
	s_wait_xcnt 0x2
	v_add_nc_u32_e32 v24, 0x1800, v93
	v_add_nc_u32_e32 v25, 0x2000, v93
	s_wait_xcnt 0x0
	v_mul_f32_e32 v10, 0x3fb8aa3b, v6
	s_delay_alu instid0(VALU_DEP_1) | instskip(NEXT) | instid1(VALU_DEP_1)
	v_fma_f32 v13, 0x3fb8aa3b, v6, -v10
	v_fmac_f32_e32 v13, 0x32a5705f, v6
	s_wait_loadcnt_dscnt 0x0
	ds_store_b128 v5, v[0:3]
	flat_load_b128 v[0:3], v[14:15]
	v_sub_f32_e32 v5, v94, v110
	s_wait_xcnt 0x0
	v_rndne_f32_e32 v14, v10
	s_delay_alu instid0(VALU_DEP_1) | instskip(NEXT) | instid1(VALU_DEP_1)
	v_dual_mul_f32 v9, 0x3fb8aa3b, v5 :: v_dual_sub_f32 v10, v10, v14
	v_fma_f32 v11, 0x3fb8aa3b, v5, -v9
	v_rndne_f32_e32 v12, v9
	s_delay_alu instid0(VALU_DEP_1) | instskip(NEXT) | instid1(VALU_DEP_3)
	v_dual_add_f32 v10, v10, v13 :: v_dual_sub_f32 v9, v9, v12
	v_fmac_f32_e32 v11, 0x32a5705f, v5
	s_delay_alu instid0(VALU_DEP_2) | instskip(SKIP_1) | instid1(VALU_DEP_2)
	v_exp_f32_e32 v10, v10
	v_cmp_ngt_f32_e32 vcc_lo, 0xc2ce8ed0, v5
	v_add_f32_e32 v9, v9, v11
	v_cvt_i32_f32_e32 v11, v12
	v_cvt_i32_f32_e32 v12, v14
	s_delay_alu instid0(VALU_DEP_3)
	v_exp_f32_e32 v9, v9
	s_delay_alu instid0(TRANS32_DEP_2) | instid1(VALU_DEP_1)
	v_ldexp_f32 v10, v10, v12
	s_delay_alu instid0(TRANS32_DEP_1) | instskip(SKIP_1) | instid1(VALU_DEP_2)
	v_ldexp_f32 v9, v9, v11
	v_add_nc_u32_e32 v11, 0x1000, v93
	v_cndmask_b32_e32 v9, 0, v9, vcc_lo
	v_cmp_ngt_f32_e32 vcc_lo, 0xc2ce8ed0, v6
	v_cndmask_b32_e32 v10, 0, v10, vcc_lo
	v_cmp_nlt_f32_e32 vcc_lo, 0x42b17218, v5
	v_lshl_add_u32 v5, v4, 9, v88
	v_add_nc_u32_e32 v4, 0x800, v93
	v_cndmask_b32_e32 v9, 0x7f800000, v9, vcc_lo
	v_cmp_nlt_f32_e32 vcc_lo, 0x42b17218, v6
	v_cndmask_b32_e32 v6, 0x7f800000, v10, vcc_lo
	s_delay_alu instid0(VALU_DEP_3) | instskip(NEXT) | instid1(VALU_DEP_2)
	v_cvt_f16_f32_e32 v10, v9
	v_dual_fma_f32 v108, v108, v9, v8 :: v_dual_fma_f32 v109, v109, v6, v7
	v_cvt_f16_f32_e32 v12, v6
	s_delay_alu instid0(VALU_DEP_3) | instskip(NEXT) | instid1(VALU_DEP_2)
	v_and_b32_e32 v10, 0xffff, v10
	v_and_b32_e32 v12, 0xffff, v12
	s_delay_alu instid0(VALU_DEP_2) | instskip(NEXT) | instid1(VALU_DEP_2)
	v_mul_u32_u24_e32 v140, 0x10001, v10
	v_mul_u32_u24_e32 v141, 0x10001, v12
	s_delay_alu instid0(VALU_DEP_2) | instskip(SKIP_2) | instid1(VALU_DEP_4)
	v_pk_mul_f16 v142, v21, v140
	v_pk_mul_f16 v143, v20, v140
	v_pk_mul_f16 v144, v19, v140
	v_pk_mul_f16 v145, v18, v141
	v_pk_mul_f16 v146, v17, v141
	v_pk_mul_f16 v147, v16, v141
	s_wait_loadcnt_dscnt 0x0
	ds_store_b128 v5, v[0:3]
	s_wait_storecnt_dscnt 0x0
	s_barrier_signal -1
	s_barrier_wait -1
	ds_load_2addr_b64 v[72:75], v93 offset1:32
	ds_load_b128 v[132:135], v122 offset:25088
	ds_load_b128 v[136:139], v122 offset:25104
	;; [unrolled: 1-line block ×4, first 2 shown]
	ds_load_2addr_b64 v[84:87], v93 offset0:64 offset1:96
	ds_load_2addr_b64 v[80:83], v93 offset0:128 offset1:160
	ds_load_2addr_b64 v[92:95], v93 offset0:192 offset1:224
	ds_load_2addr_b64 v[88:91], v4 offset1:32
	ds_load_2addr_b64 v[76:79], v4 offset0:64 offset1:96
	ds_load_2addr_b64 v[64:67], v4 offset0:128 offset1:160
	ds_load_2addr_b64 v[60:63], v4 offset0:192 offset1:224
	ds_load_2addr_b64 v[52:55], v11 offset1:32
	;; [unrolled: 4-line block ×5, first 2 shown]
	ds_load_b128 v[104:107], v122 offset:25152
	ds_load_b128 v[96:99], v122 offset:25168
	ds_load_2addr_b64 v[48:51], v123 offset0:64 offset1:96
	ds_load_2addr_b64 v[56:59], v123 offset0:128 offset1:160
	s_wait_dscnt 0x1b
	v_and_b32_e32 v148, 0xffff, v132
	v_dual_lshrrev_b32 v149, 16, v132 :: v_dual_lshrrev_b32 v150, 16, v133
	v_and_b32_e32 v151, 0xffff, v133
	s_wait_dscnt 0x19
	v_dual_lshrrev_b32 v157, 16, v139 :: v_dual_lshrrev_b32 v132, 16, v100
	v_and_b32_e32 v158, 0xffff, v100
	v_and_b32_e32 v131, 0xffff, v101
	v_dual_lshrrev_b32 v133, 16, v101 :: v_dual_lshrrev_b32 v160, 16, v102
	v_mul_u32_u24_e32 v100, 0x10001, v148
	v_mul_u32_u24_e32 v101, 0x10001, v149
	v_and_b32_e32 v159, 0xffff, v102
	s_wait_dscnt 0x18
	v_dual_lshrrev_b32 v162, 16, v103 :: v_dual_lshrrev_b32 v163, 16, v68
	v_and_b32_e32 v164, 0xffff, v68
	v_dual_lshrrev_b32 v165, 16, v69 :: v_dual_lshrrev_b32 v167, 16, v70
	v_and_b32_e32 v166, 0xffff, v69
	v_and_b32_e32 v168, 0xffff, v70
	v_lshrrev_b32_e32 v148, 16, v71
	v_and_b32_e32 v169, 0xffff, v71
	ds_load_2addr_b64 v[68:71], v123 offset0:192 offset1:224
	v_pk_fma_f16 v123, v73, v100, v142
	v_pk_fma_f16 v142, v74, v100, v143
	;; [unrolled: 1-line block ×3, first 2 shown]
	v_pk_mul_f16 v100, v72, v100
	v_pk_mul_f16 v102, v72, v101
	v_lshrrev_b32_e32 v152, 16, v134
	v_and_b32_e32 v134, 0xffff, v134
	v_pk_fma_f16 v144, v73, v101, v145
	v_pk_fma_f16 v145, v74, v101, v146
	;; [unrolled: 1-line block ×3, first 2 shown]
	v_mul_u32_u24_e32 v147, 0x10001, v151
	v_pk_fma_f16 v120, v120, v140, v100
	v_pk_fma_f16 v119, v119, v141, v102
	v_mul_u32_u24_e32 v141, 0x10001, v150
	v_lshrrev_b32_e32 v153, 16, v135
	v_and_b32_e32 v135, 0xffff, v135
	s_wait_dscnt 0x18
	v_pk_fma_f16 v123, v85, v147, v123
	v_pk_fma_f16 v142, v86, v147, v142
	;; [unrolled: 1-line block ×8, first 2 shown]
	v_mul_u32_u24_e32 v84, 0x10001, v134
	v_mul_u32_u24_e32 v149, 0x10001, v152
	v_and_b32_e32 v154, 0xffff, v136
	v_lshrrev_b32_e32 v136, 16, v136
	v_mul_u32_u24_e32 v135, 0x10001, v135
	s_wait_dscnt 0x17
	v_pk_fma_f16 v123, v81, v84, v123
	v_pk_fma_f16 v142, v82, v84, v142
	;; [unrolled: 1-line block ×8, first 2 shown]
	v_mul_u32_u24_e32 v150, 0x10001, v153
	v_and_b32_e32 v155, 0xffff, v137
	s_wait_dscnt 0x4
	v_dual_lshrrev_b32 v137, 16, v137 :: v_dual_lshrrev_b32 v134, 16, v107
	s_wait_dscnt 0x3
	v_lshrrev_b32_e32 v149, 16, v96
	v_pk_fma_f16 v123, v93, v135, v123
	v_pk_fma_f16 v142, v94, v135, v142
	;; [unrolled: 1-line block ×4, first 2 shown]
	v_and_b32_e32 v135, 0xffff, v96
	v_pk_fma_f16 v96, v93, v150, v144
	v_pk_fma_f16 v144, v94, v150, v145
	v_pk_fma_f16 v145, v95, v150, v146
	v_pk_fma_f16 v119, v92, v150, v119
	v_dual_lshrrev_b32 v146, 16, v97 :: v_dual_lshrrev_b32 v151, 16, v98
	v_and_b32_e32 v150, 0xffff, v97
	v_and_b32_e32 v152, 0xffff, v98
	v_mul_u32_u24_e32 v97, 0x10001, v154
	v_mul_u32_u24_e32 v98, 0x10001, v136
	v_and_b32_e32 v156, 0xffff, v138
	v_lshrrev_b32_e32 v138, 16, v138
	v_and_b32_e32 v161, 0xffff, v103
	ds_load_2addr_b64 v[72:75], v124 offset1:32
	ds_load_b128 v[100:103], v122 offset:25184
	ds_load_2addr_b64 v[84:87], v124 offset0:64 offset1:96
	ds_load_2addr_b64 v[80:83], v124 offset0:128 offset1:160
	v_lshrrev_b32_e32 v153, 16, v99
	v_and_b32_e32 v154, 0xffff, v99
	ds_load_2addr_b64 v[92:95], v124 offset0:192 offset1:224
	v_mul_u32_u24_e32 v99, 0x10001, v155
	v_pk_fma_f16 v123, v89, v97, v123
	v_pk_fma_f16 v124, v90, v97, v142
	;; [unrolled: 1-line block ×8, first 2 shown]
	v_mul_u32_u24_e32 v120, 0x10001, v137
	v_and_b32_e32 v139, 0xffff, v139
	v_pk_fma_f16 v123, v77, v99, v123
	v_pk_fma_f16 v124, v78, v99, v124
	;; [unrolled: 1-line block ×4, first 2 shown]
	ds_load_b128 v[96:99], v122 offset:25200
	v_mul_u32_u24_e32 v122, 0x10001, v156
	v_pk_fma_f16 v142, v77, v120, v142
	v_pk_fma_f16 v143, v78, v120, v143
	;; [unrolled: 1-line block ×4, first 2 shown]
	v_mul_u32_u24_e32 v138, 0x10001, v138
	v_pk_fma_f16 v123, v65, v122, v123
	v_pk_fma_f16 v124, v66, v122, v124
	;; [unrolled: 1-line block ×8, first 2 shown]
	v_mul_u32_u24_e32 v64, 0x10001, v139
	v_mul_u32_u24_e32 v145, 0x10001, v157
	;; [unrolled: 1-line block ×5, first 2 shown]
	v_pk_fma_f16 v123, v61, v64, v123
	v_pk_fma_f16 v124, v62, v64, v124
	;; [unrolled: 1-line block ×16, first 2 shown]
	v_mul_u32_u24_e32 v133, 0x10001, v133
	v_mul_u32_u24_e32 v137, 0x10001, v159
	;; [unrolled: 1-line block ×3, first 2 shown]
	v_pk_fma_f16 v123, v41, v131, v123
	v_pk_fma_f16 v124, v42, v131, v124
	v_pk_fma_f16 v136, v43, v131, v136
	v_pk_fma_f16 v41, v41, v133, v53
	v_pk_fma_f16 v42, v42, v133, v54
	v_pk_fma_f16 v43, v43, v133, v55
	v_pk_fma_f16 v53, v40, v131, v122
	v_pk_fma_f16 v40, v40, v133, v52
	v_mul_u32_u24_e32 v143, 0x10001, v161
	v_mul_u32_u24_e32 v155, 0x10001, v162
	v_pk_fma_f16 v52, v33, v137, v123
	v_pk_fma_f16 v54, v34, v137, v124
	v_pk_fma_f16 v55, v35, v137, v136
	v_pk_fma_f16 v33, v33, v142, v41
	v_pk_fma_f16 v34, v34, v142, v42
	v_pk_fma_f16 v35, v35, v142, v43
	v_pk_fma_f16 v41, v32, v137, v53
	v_pk_fma_f16 v32, v32, v142, v40
	v_mul_u32_u24_e32 v156, 0x10001, v164
	v_mul_u32_u24_e32 v157, 0x10001, v163
	;; [unrolled: 10-line block ×4, first 2 shown]
	v_pk_fma_f16 v20, v5, v158, v32
	v_pk_fma_f16 v22, v6, v158, v34
	;; [unrolled: 1-line block ×8, first 2 shown]
	v_lshrrev_b32_e32 v140, 16, v104
	v_and_b32_e32 v104, 0xffff, v104
	v_mul_u32_u24_e32 v162, 0x10001, v169
	v_mul_u32_u24_e32 v148, 0x10001, v148
	v_pk_fma_f16 v12, v1, v160, v20
	v_pk_fma_f16 v14, v2, v160, v22
	;; [unrolled: 1-line block ×8, first 2 shown]
	v_dual_lshrrev_b32 v141, 16, v105 :: v_dual_lshrrev_b32 v147, 16, v106
	v_and_b32_e32 v105, 0xffff, v105
	v_mul_u32_u24_e32 v104, 0x10001, v104
	v_mul_u32_u24_e32 v140, 0x10001, v140
	v_pk_fma_f16 v4, v17, v162, v12
	v_pk_fma_f16 v6, v18, v162, v14
	v_pk_fma_f16 v7, v19, v162, v15
	v_pk_fma_f16 v1, v17, v148, v1
	v_pk_fma_f16 v2, v18, v148, v2
	v_pk_fma_f16 v3, v19, v148, v3
	v_pk_fma_f16 v5, v16, v162, v5
	v_pk_fma_f16 v0, v16, v148, v0
	v_and_b32_e32 v106, 0xffff, v106
	v_mul_u32_u24_e32 v105, 0x10001, v105
	v_mul_u32_u24_e32 v141, 0x10001, v141
	v_pk_fma_f16 v4, v9, v104, v4
	v_pk_fma_f16 v6, v10, v104, v6
	v_pk_fma_f16 v7, v11, v104, v7
	v_pk_fma_f16 v1, v9, v140, v1
	v_pk_fma_f16 v2, v10, v140, v2
	v_pk_fma_f16 v3, v11, v140, v3
	v_pk_fma_f16 v5, v8, v104, v5
	v_pk_fma_f16 v0, v8, v140, v0
	;; [unrolled: 11-line block ×3, first 2 shown]
	v_mul_u32_u24_e32 v107, 0x10001, v107
	v_mul_u32_u24_e32 v134, 0x10001, v134
	v_pk_fma_f16 v4, v37, v106, v4
	v_pk_fma_f16 v1, v37, v147, v1
	v_pk_fma_f16 v6, v38, v106, v6
	v_pk_fma_f16 v2, v38, v147, v2
	v_pk_fma_f16 v7, v39, v106, v7
	v_pk_fma_f16 v3, v39, v147, v3
	v_pk_fma_f16 v5, v36, v106, v5
	v_pk_fma_f16 v0, v36, v147, v0
	v_mul_u32_u24_e32 v135, 0x10001, v135
	v_mul_u32_u24_e32 v149, 0x10001, v149
	v_pk_fma_f16 v4, v25, v107, v4
	v_pk_fma_f16 v1, v25, v134, v1
	v_pk_fma_f16 v6, v26, v107, v6
	v_pk_fma_f16 v2, v26, v134, v2
	v_pk_fma_f16 v7, v27, v107, v7
	v_pk_fma_f16 v3, v27, v134, v3
	v_pk_fma_f16 v5, v24, v107, v5
	v_pk_fma_f16 v0, v24, v134, v0
	;; [unrolled: 10-line block ×3, first 2 shown]
	v_mul_u32_u24_e32 v152, 0x10001, v152
	v_mul_u32_u24_e32 v151, 0x10001, v151
	s_wait_dscnt 0x8
	v_pk_fma_f16 v4, v49, v150, v4
	v_pk_fma_f16 v1, v49, v146, v1
	;; [unrolled: 1-line block ×8, first 2 shown]
	s_wait_dscnt 0x4
	v_lshrrev_b32_e32 v120, 16, v100
	v_and_b32_e32 v100, 0xffff, v100
	v_mul_u32_u24_e32 v154, 0x10001, v154
	v_mul_u32_u24_e32 v153, 0x10001, v153
	v_pk_fma_f16 v4, v57, v152, v4
	v_pk_fma_f16 v1, v57, v151, v1
	;; [unrolled: 1-line block ×8, first 2 shown]
	v_dual_lshrrev_b32 v138, 16, v101 :: v_dual_lshrrev_b32 v144, 16, v102
	v_and_b32_e32 v101, 0xffff, v101
	v_mul_u32_u24_e32 v100, 0x10001, v100
	v_mul_u32_u24_e32 v120, 0x10001, v120
	v_pk_fma_f16 v4, v69, v154, v4
	v_pk_fma_f16 v1, v69, v153, v1
	;; [unrolled: 1-line block ×8, first 2 shown]
	ds_load_2addr_b64 v[88:91], v121 offset1:32
	v_and_b32_e32 v102, 0xffff, v102
	v_mul_u32_u24_e32 v101, 0x10001, v101
	v_mul_u32_u24_e32 v138, 0x10001, v138
	v_pk_fma_f16 v4, v73, v100, v4
	v_pk_fma_f16 v1, v73, v120, v1
	;; [unrolled: 1-line block ×8, first 2 shown]
	ds_load_2addr_b64 v[76:79], v121 offset0:64 offset1:96
	v_lshrrev_b32_e32 v139, 16, v103
	v_and_b32_e32 v103, 0xffff, v103
	v_mul_u32_u24_e32 v102, 0x10001, v102
	v_mul_u32_u24_e32 v144, 0x10001, v144
	s_wait_dscnt 0x5
	v_pk_fma_f16 v4, v85, v101, v4
	v_pk_fma_f16 v1, v85, v138, v1
	;; [unrolled: 1-line block ×8, first 2 shown]
	ds_load_2addr_b64 v[64:67], v121 offset0:128 offset1:160
	ds_load_2addr_b64 v[60:63], v121 offset0:192 offset1:224
	s_wait_dscnt 0x4
	v_lshrrev_b32_e32 v121, 16, v96
	v_and_b32_e32 v96, 0xffff, v96
	v_mul_u32_u24_e32 v103, 0x10001, v103
	v_mul_u32_u24_e32 v139, 0x10001, v139
	v_pk_fma_f16 v4, v81, v102, v4
	v_pk_fma_f16 v1, v81, v144, v1
	;; [unrolled: 1-line block ×8, first 2 shown]
	v_dual_lshrrev_b32 v145, 16, v97 :: v_dual_lshrrev_b32 v119, 16, v98
	v_and_b32_e32 v97, 0xffff, v97
	v_mul_u32_u24_e32 v96, 0x10001, v96
	v_mul_u32_u24_e32 v121, 0x10001, v121
	v_pk_fma_f16 v4, v93, v103, v4
	v_pk_fma_f16 v1, v93, v139, v1
	;; [unrolled: 1-line block ×8, first 2 shown]
	v_and_b32_e32 v98, 0xffff, v98
	v_mul_u32_u24_e32 v97, 0x10001, v97
	v_mul_u32_u24_e32 v145, 0x10001, v145
	s_wait_dscnt 0x3
	v_pk_fma_f16 v4, v89, v96, v4
	v_pk_fma_f16 v1, v89, v121, v1
	;; [unrolled: 1-line block ×8, first 2 shown]
	v_lshrrev_b32_e32 v132, 16, v99
	v_and_b32_e32 v99, 0xffff, v99
	v_mul_u32_u24_e32 v98, 0x10001, v98
	v_mul_u32_u24_e32 v119, 0x10001, v119
	s_wait_dscnt 0x2
	v_pk_fma_f16 v4, v77, v97, v4
	v_pk_fma_f16 v1, v77, v145, v1
	;; [unrolled: 1-line block ×8, first 2 shown]
	v_mul_u32_u24_e32 v99, 0x10001, v99
	v_mul_u32_u24_e32 v132, 0x10001, v132
	s_wait_dscnt 0x1
	v_pk_fma_f16 v4, v65, v98, v4
	v_pk_fma_f16 v1, v65, v119, v1
	;; [unrolled: 1-line block ×8, first 2 shown]
	v_mov_b64_e32 v[94:95], v[110:111]
	s_wait_dscnt 0x0
	v_pk_fma_f16 v21, v61, v99, v4
	v_pk_fma_f16 v18, v61, v132, v1
	;; [unrolled: 1-line block ×8, first 2 shown]
	s_barrier_signal -1
	s_barrier_wait -1
.LBB71_48:
	v_cmp_lt_i32_e32 vcc_lo, v125, v127
	s_cmp_eq_u64 s[12:13], 0
	s_cselect_b32 s2, -1, 0
	s_cmp_lg_u32 s20, 0
	v_cndmask_b32_e32 v0, v118, v125, vcc_lo
	v_cmp_lt_i32_e32 vcc_lo, v126, v127
	s_cselect_b32 s3, -1, 0
	s_delay_alu instid0(SALU_CYCLE_1) | instskip(NEXT) | instid1(VALU_DEP_2)
	s_or_b32 s2, s3, s2
	v_dual_cndmask_b32 v2, v118, v126 :: v_dual_lshlrev_b32 v1, 2, v0
	v_cmp_lt_i32_e32 vcc_lo, v128, v127
	s_delay_alu instid0(VALU_DEP_2) | instskip(SKIP_4) | instid1(VALU_DEP_2)
	v_lshlrev_b32_e32 v3, 2, v2
	ds_bpermute_b32 v0, v1, v108
	ds_bpermute_b32 v1, v1, v109
	v_cndmask_b32_e32 v4, v118, v128, vcc_lo
	v_cmp_lt_i32_e32 vcc_lo, v129, v127
	v_lshlrev_b32_e32 v4, 2, v4
	s_wait_dscnt 0x0
	v_pk_add_f32 v[0:1], v[108:109], v[0:1]
	ds_bpermute_b32 v2, v3, v0
	ds_bpermute_b32 v3, v3, v1
	s_wait_dscnt 0x0
	v_pk_add_f32 v[0:1], v[0:1], v[2:3]
	ds_bpermute_b32 v2, v4, v0
	ds_bpermute_b32 v3, v4, v1
	v_cndmask_b32_e32 v4, v118, v129, vcc_lo
	v_cmp_lt_i32_e32 vcc_lo, v130, v127
	s_delay_alu instid0(VALU_DEP_2)
	v_lshlrev_b32_e32 v4, 2, v4
	s_wait_dscnt 0x0
	v_pk_add_f32 v[0:1], v[0:1], v[2:3]
	ds_bpermute_b32 v2, v4, v0
	ds_bpermute_b32 v3, v4, v1
	v_cndmask_b32_e32 v4, v118, v130, vcc_lo
	s_and_b32 vcc_lo, exec_lo, s2
	s_delay_alu instid0(VALU_DEP_1)
	v_lshlrev_b32_e32 v4, 2, v4
	s_wait_dscnt 0x0
	v_pk_add_f32 v[0:1], v[0:1], v[2:3]
	ds_bpermute_b32 v2, v4, v0
	ds_bpermute_b32 v3, v4, v1
	s_wait_dscnt 0x0
	v_pk_add_f32 v[0:1], v[0:1], v[2:3]
	s_cbranch_vccnz .LBB71_50
; %bb.49:
	v_dual_mov_b32 v2, s33 :: v_dual_max_num_f32 v5, v95, v95
	global_load_b32 v4, v2, s[12:13] scale_offset
	s_wait_loadcnt 0x0
	v_dual_max_num_f32 v2, v94, v94 :: v_dual_max_num_f32 v3, v4, v4
	s_delay_alu instid0(VALU_DEP_1) | instskip(NEXT) | instid1(VALU_DEP_1)
	v_dual_max_num_f32 v2, v2, v3 :: v_dual_max_num_f32 v3, v5, v3
	v_dual_sub_f32 v5, v94, v2 :: v_dual_sub_f32 v6, v4, v2
	s_delay_alu instid0(VALU_DEP_2) | instskip(SKIP_1) | instid1(VALU_DEP_3)
	v_dual_sub_f32 v7, v95, v3 :: v_dual_sub_f32 v8, v4, v3
	v_mov_b64_e32 v[94:95], v[2:3]
	v_dual_mul_f32 v4, 0x3fb8aa3b, v5 :: v_dual_mul_f32 v9, 0x3fb8aa3b, v6
	s_delay_alu instid0(VALU_DEP_3) | instskip(SKIP_1) | instid1(VALU_DEP_3)
	v_dual_mul_f32 v10, 0x3fb8aa3b, v7 :: v_dual_mul_f32 v11, 0x3fb8aa3b, v8
	v_cmp_ngt_f32_e32 vcc_lo, 0xc2ce8ed0, v5
	v_fma_f32 v12, 0x3fb8aa3b, v5, -v4
	v_rndne_f32_e32 v13, v4
	v_rndne_f32_e32 v15, v9
	v_fma_f32 v22, 0x3fb8aa3b, v7, -v10
	v_rndne_f32_e32 v23, v10
	v_fmac_f32_e32 v12, 0x32a5705f, v5
	v_sub_f32_e32 v4, v4, v13
	v_rndne_f32_e32 v25, v11
	v_fma_f32 v14, 0x3fb8aa3b, v6, -v9
	v_fma_f32 v24, 0x3fb8aa3b, v8, -v11
	v_fmac_f32_e32 v22, 0x32a5705f, v7
	v_sub_f32_e32 v10, v10, v23
	v_dual_sub_f32 v9, v9, v15 :: v_dual_sub_f32 v11, v11, v25
	v_add_f32_e32 v4, v4, v12
	v_cvt_i32_f32_e32 v12, v13
	s_delay_alu instid0(VALU_DEP_4)
	v_add_f32_e32 v10, v10, v22
	v_cvt_i32_f32_e32 v13, v23
	v_fmac_f32_e32 v24, 0x32a5705f, v8
	v_exp_f32_e32 v4, v4
	v_fmac_f32_e32 v14, 0x32a5705f, v6
	v_exp_f32_e32 v10, v10
	s_delay_alu instid0(VALU_DEP_1) | instskip(NEXT) | instid1(TRANS32_DEP_2)
	v_dual_add_f32 v11, v11, v24 :: v_dual_add_f32 v9, v9, v14
	v_ldexp_f32 v4, v4, v12
	v_cvt_i32_f32_e32 v14, v15
	s_delay_alu instid0(TRANS32_DEP_1) | instskip(NEXT) | instid1(VALU_DEP_4)
	v_ldexp_f32 v10, v10, v13
	v_exp_f32_e32 v11, v11
	v_exp_f32_e32 v9, v9
	v_cndmask_b32_e32 v4, 0, v4, vcc_lo
	v_cmp_ngt_f32_e32 vcc_lo, 0xc2ce8ed0, v7
	v_cvt_i32_f32_e32 v12, v25
	v_cndmask_b32_e32 v10, 0, v10, vcc_lo
	v_cmp_nlt_f32_e32 vcc_lo, 0x42b17218, v5
	s_delay_alu instid0(TRANS32_DEP_1) | instskip(NEXT) | instid1(VALU_DEP_4)
	v_ldexp_f32 v9, v9, v14
	v_ldexp_f32 v11, v11, v12
	v_cndmask_b32_e32 v4, 0x7f800000, v4, vcc_lo
	v_cmp_nlt_f32_e32 vcc_lo, 0x42b17218, v7
	s_delay_alu instid0(VALU_DEP_2) | instskip(SKIP_2) | instid1(VALU_DEP_3)
	v_cvt_f16_f32_e32 v7, v4
	v_cndmask_b32_e32 v5, 0x7f800000, v10, vcc_lo
	v_cmp_ngt_f32_e32 vcc_lo, 0xc2ce8ed0, v6
	v_and_b32_e32 v12, 0xffff, v7
	v_cndmask_b32_e32 v9, 0, v9, vcc_lo
	v_cmp_ngt_f32_e32 vcc_lo, 0xc2ce8ed0, v8
	v_cndmask_b32_e32 v10, 0, v11, vcc_lo
	v_cmp_nlt_f32_e32 vcc_lo, 0x42b17218, v6
	v_cvt_f16_f32_e32 v11, v5
	v_cndmask_b32_e32 v6, 0x7f800000, v9, vcc_lo
	v_cmp_nlt_f32_e32 vcc_lo, 0x42b17218, v8
	s_delay_alu instid0(VALU_DEP_3) | instskip(SKIP_2) | instid1(VALU_DEP_2)
	v_and_b32_e32 v8, 0xffff, v11
	v_mul_u32_u24_e32 v9, 0x10001, v12
	v_cndmask_b32_e32 v7, 0x7f800000, v10, vcc_lo
	v_pk_mul_f16 v120, v120, v9
	v_pk_mul_f16 v21, v21, v9
	;; [unrolled: 1-line block ×3, first 2 shown]
	s_delay_alu instid0(VALU_DEP_4) | instskip(SKIP_2) | instid1(VALU_DEP_2)
	v_pk_fma_f32 v[0:1], v[0:1], v[4:5], v[6:7]
	v_mul_u32_u24_e32 v4, 0x10001, v8
	v_pk_mul_f16 v19, v19, v9
	v_pk_mul_f16 v119, v119, v4
	;; [unrolled: 1-line block ×5, first 2 shown]
.LBB71_50:
	s_mov_b32 s2, exec_lo
	v_cmpx_gt_i32_e64 s22, v116
	s_cbranch_execz .LBB71_60
; %bb.51:
	s_load_b32 s0, s[0:1], 0xd4
	v_mov_b32_e32 v2, 1.0
	s_wait_kmcnt 0x0
	s_cmp_lg_u32 s0, 1
	s_cselect_b32 s3, -1, 0
	s_cmp_eq_u32 s0, 1
	s_cselect_b32 s1, -1, 0
	s_and_b32 vcc_lo, exec_lo, s3
	s_cbranch_vccnz .LBB71_53
; %bb.52:
	v_div_scale_f32 v2, null, v0, v0, 1.0
	s_delay_alu instid0(VALU_DEP_1) | instskip(SKIP_1) | instid1(TRANS32_DEP_1)
	v_rcp_f32_e32 v3, v2
	v_nop
	v_fma_f32 v4, -v2, v3, 1.0
	s_delay_alu instid0(VALU_DEP_1) | instskip(SKIP_1) | instid1(VALU_DEP_1)
	v_fmac_f32_e32 v3, v4, v3
	v_div_scale_f32 v4, vcc_lo, 1.0, v0, 1.0
	v_mul_f32_e32 v5, v4, v3
	s_delay_alu instid0(VALU_DEP_1) | instskip(NEXT) | instid1(VALU_DEP_1)
	v_fma_f32 v6, -v2, v5, v4
	v_fmac_f32_e32 v5, v6, v3
	s_delay_alu instid0(VALU_DEP_1) | instskip(NEXT) | instid1(VALU_DEP_1)
	v_fma_f32 v2, -v2, v5, v4
	v_div_fmas_f32 v2, v2, v3, v5
	s_delay_alu instid0(VALU_DEP_1)
	v_div_fixup_f32 v2, v2, v0, 1.0
.LBB71_53:
	s_mul_i32 s2, s28, s22
	v_dual_lshrrev_b32 v5, 16, v120 :: v_dual_lshrrev_b32 v7, 16, v21
	s_add_co_i32 s2, s2, s38
	s_delay_alu instid0(SALU_CYCLE_1) | instskip(SKIP_3) | instid1(VALU_DEP_4)
	v_dual_mov_b32 v11, 0 :: v_dual_add_nc_u32 v3, s2, v114
	v_dual_lshrrev_b32 v9, 16, v20 :: v_dual_lshrrev_b32 v13, 16, v19
	v_cvt_f32_f16_e32 v4, v120
	v_cvt_f32_f16_e32 v6, v21
	v_mad_u32 v3, v3, s23, s33
	v_cvt_f32_f16_e32 v5, v5
	v_cvt_f32_f16_e32 v7, v7
	;; [unrolled: 1-line block ×6, first 2 shown]
	v_cmp_eq_u32_e32 vcc_lo, 0, v117
	v_mad_u32 v3, s0, v3, s20
	s_and_b32 s3, vcc_lo, s3
	s_delay_alu instid0(VALU_DEP_1) | instskip(SKIP_3) | instid1(VALU_DEP_4)
	v_lshl_add_u32 v10, v3, 8, v115
	v_pk_mul_f32 v[4:5], v[2:3], v[4:5] op_sel_hi:[0,1]
	v_pk_mul_f32 v[6:7], v[2:3], v[6:7] op_sel_hi:[0,1]
	;; [unrolled: 1-line block ×3, first 2 shown]
	v_lshl_add_u64 v[14:15], v[10:11], 2, s[16:17]
	v_add_nc_u32_e32 v10, 0x80, v10
	s_delay_alu instid0(VALU_DEP_1)
	v_lshl_add_u64 v[20:21], v[10:11], 2, s[16:17]
	v_pk_mul_f32 v[10:11], v[2:3], v[12:13] op_sel_hi:[0,1]
	s_clause 0x1
	global_store_b128 v[14:15], v[4:7], off
	global_store_b128 v[20:21], v[8:11], off
	s_wait_xcnt 0x0
	s_and_saveexec_b32 s4, s3
	s_cbranch_execz .LBB71_55
; %bb.54:
	v_dual_mov_b32 v4, v94 :: v_dual_mov_b32 v5, v0
	global_store_b64 v3, v[4:5], s[18:19] scale_offset
.LBB71_55:
	s_wait_xcnt 0x0
	s_or_b32 exec_lo, exec_lo, s4
	v_cmp_gt_i32_e32 vcc_lo, s22, v113
	s_and_b32 exec_lo, exec_lo, vcc_lo
	s_cbranch_execz .LBB71_60
; %bb.56:
	v_mov_b32_e32 v0, 1.0
	s_and_not1_b32 vcc_lo, exec_lo, s1
	s_cbranch_vccnz .LBB71_58
; %bb.57:
	v_div_scale_f32 v0, null, v1, v1, 1.0
	s_delay_alu instid0(VALU_DEP_1) | instskip(SKIP_1) | instid1(TRANS32_DEP_1)
	v_rcp_f32_e32 v2, v0
	v_nop
	v_fma_f32 v3, -v0, v2, 1.0
	s_delay_alu instid0(VALU_DEP_1) | instskip(SKIP_1) | instid1(VALU_DEP_1)
	v_fmac_f32_e32 v2, v3, v2
	v_div_scale_f32 v3, vcc_lo, 1.0, v1, 1.0
	v_mul_f32_e32 v4, v3, v2
	s_delay_alu instid0(VALU_DEP_1) | instskip(NEXT) | instid1(VALU_DEP_1)
	v_fma_f32 v5, -v0, v4, v3
	v_fmac_f32_e32 v4, v5, v2
	s_delay_alu instid0(VALU_DEP_1) | instskip(NEXT) | instid1(VALU_DEP_1)
	v_fma_f32 v0, -v0, v4, v3
	v_div_fmas_f32 v0, v0, v2, v4
	s_delay_alu instid0(VALU_DEP_1)
	v_div_fixup_f32 v0, v0, v1, 1.0
.LBB71_58:
	v_dual_mov_b32 v11, 0 :: v_dual_add_nc_u32 v2, s2, v112
	v_dual_lshrrev_b32 v3, 16, v119 :: v_dual_lshrrev_b32 v7, 16, v18
	v_dual_lshrrev_b32 v9, 16, v17 :: v_dual_lshrrev_b32 v13, 16, v16
	s_delay_alu instid0(VALU_DEP_3)
	v_mad_u32 v2, v2, s23, s33
	v_cvt_f32_f16_e32 v4, v119
	v_cvt_f32_f16_e32 v6, v18
	;; [unrolled: 1-line block ×8, first 2 shown]
	v_pk_mul_f32 v[4:5], v[0:1], v[4:5] op_sel_hi:[0,1]
	v_pk_mul_f32 v[6:7], v[0:1], v[6:7] op_sel_hi:[0,1]
	v_mad_u32 v2, s0, v2, s20
	v_pk_mul_f32 v[8:9], v[0:1], v[8:9] op_sel_hi:[0,1]
	s_delay_alu instid0(VALU_DEP_2) | instskip(NEXT) | instid1(VALU_DEP_1)
	v_lshl_add_u32 v10, v2, 8, v115
	v_lshl_add_u64 v[14:15], v[10:11], 2, s[16:17]
	v_add_nc_u32_e32 v10, 0x80, v10
	s_delay_alu instid0(VALU_DEP_1)
	v_lshl_add_u64 v[16:17], v[10:11], 2, s[16:17]
	v_pk_mul_f32 v[10:11], v[0:1], v[12:13] op_sel_hi:[0,1]
	s_clause 0x1
	global_store_b128 v[14:15], v[4:7], off
	global_store_b128 v[16:17], v[8:11], off
	s_wait_xcnt 0x0
	s_and_b32 exec_lo, exec_lo, s3
	s_cbranch_execz .LBB71_60
; %bb.59:
	v_mov_b32_e32 v0, v95
	global_store_b64 v2, v[0:1], s[18:19] scale_offset
.LBB71_60:
	s_sendmsg sendmsg(MSG_DEALLOC_VGPRS)
	s_endpgm
	.section	.rodata,"a",@progbits
	.p2align	6, 0x0
	.amdhsa_kernel _ZL15flash_attn_tileILi256ELi256ELi16ELi1ELb1EEvPKcS1_S1_S1_S1_PKiPfP15HIP_vector_typeIfLj2EEffffjfiS5_IjLj3EEiiiiiiiiiiiliiliiiiil
		.amdhsa_group_segment_fixed_size 26112
		.amdhsa_private_segment_fixed_size 32
		.amdhsa_kernarg_size 464
		.amdhsa_user_sgpr_count 2
		.amdhsa_user_sgpr_dispatch_ptr 0
		.amdhsa_user_sgpr_queue_ptr 0
		.amdhsa_user_sgpr_kernarg_segment_ptr 1
		.amdhsa_user_sgpr_dispatch_id 0
		.amdhsa_user_sgpr_kernarg_preload_length 0
		.amdhsa_user_sgpr_kernarg_preload_offset 0
		.amdhsa_user_sgpr_private_segment_size 0
		.amdhsa_wavefront_size32 1
		.amdhsa_uses_dynamic_stack 0
		.amdhsa_enable_private_segment 1
		.amdhsa_system_sgpr_workgroup_id_x 1
		.amdhsa_system_sgpr_workgroup_id_y 1
		.amdhsa_system_sgpr_workgroup_id_z 1
		.amdhsa_system_sgpr_workgroup_info 0
		.amdhsa_system_vgpr_workitem_id 1
		.amdhsa_next_free_vgpr 170
		.amdhsa_next_free_sgpr 48
		.amdhsa_named_barrier_count 0
		.amdhsa_reserve_vcc 1
		.amdhsa_float_round_mode_32 0
		.amdhsa_float_round_mode_16_64 0
		.amdhsa_float_denorm_mode_32 3
		.amdhsa_float_denorm_mode_16_64 3
		.amdhsa_fp16_overflow 0
		.amdhsa_memory_ordered 1
		.amdhsa_forward_progress 1
		.amdhsa_inst_pref_size 148
		.amdhsa_round_robin_scheduling 0
		.amdhsa_exception_fp_ieee_invalid_op 0
		.amdhsa_exception_fp_denorm_src 0
		.amdhsa_exception_fp_ieee_div_zero 0
		.amdhsa_exception_fp_ieee_overflow 0
		.amdhsa_exception_fp_ieee_underflow 0
		.amdhsa_exception_fp_ieee_inexact 0
		.amdhsa_exception_int_div_zero 0
	.end_amdhsa_kernel
	.section	.text._ZL15flash_attn_tileILi256ELi256ELi16ELi1ELb1EEvPKcS1_S1_S1_S1_PKiPfP15HIP_vector_typeIfLj2EEffffjfiS5_IjLj3EEiiiiiiiiiiiliiliiiiil,"axG",@progbits,_ZL15flash_attn_tileILi256ELi256ELi16ELi1ELb1EEvPKcS1_S1_S1_S1_PKiPfP15HIP_vector_typeIfLj2EEffffjfiS5_IjLj3EEiiiiiiiiiiiliiliiiiil,comdat
.Lfunc_end71:
	.size	_ZL15flash_attn_tileILi256ELi256ELi16ELi1ELb1EEvPKcS1_S1_S1_S1_PKiPfP15HIP_vector_typeIfLj2EEffffjfiS5_IjLj3EEiiiiiiiiiiiliiliiiiil, .Lfunc_end71-_ZL15flash_attn_tileILi256ELi256ELi16ELi1ELb1EEvPKcS1_S1_S1_S1_PKiPfP15HIP_vector_typeIfLj2EEffffjfiS5_IjLj3EEiiiiiiiiiiiliiliiiiil
                                        ; -- End function
	.set _ZL15flash_attn_tileILi256ELi256ELi16ELi1ELb1EEvPKcS1_S1_S1_S1_PKiPfP15HIP_vector_typeIfLj2EEffffjfiS5_IjLj3EEiiiiiiiiiiiliiliiiiil.num_vgpr, 170
	.set _ZL15flash_attn_tileILi256ELi256ELi16ELi1ELb1EEvPKcS1_S1_S1_S1_PKiPfP15HIP_vector_typeIfLj2EEffffjfiS5_IjLj3EEiiiiiiiiiiiliiliiiiil.num_agpr, 0
	.set _ZL15flash_attn_tileILi256ELi256ELi16ELi1ELb1EEvPKcS1_S1_S1_S1_PKiPfP15HIP_vector_typeIfLj2EEffffjfiS5_IjLj3EEiiiiiiiiiiiliiliiiiil.numbered_sgpr, 48
	.set _ZL15flash_attn_tileILi256ELi256ELi16ELi1ELb1EEvPKcS1_S1_S1_S1_PKiPfP15HIP_vector_typeIfLj2EEffffjfiS5_IjLj3EEiiiiiiiiiiiliiliiiiil.num_named_barrier, 0
	.set _ZL15flash_attn_tileILi256ELi256ELi16ELi1ELb1EEvPKcS1_S1_S1_S1_PKiPfP15HIP_vector_typeIfLj2EEffffjfiS5_IjLj3EEiiiiiiiiiiiliiliiiiil.private_seg_size, 32
	.set _ZL15flash_attn_tileILi256ELi256ELi16ELi1ELb1EEvPKcS1_S1_S1_S1_PKiPfP15HIP_vector_typeIfLj2EEffffjfiS5_IjLj3EEiiiiiiiiiiiliiliiiiil.uses_vcc, 1
	.set _ZL15flash_attn_tileILi256ELi256ELi16ELi1ELb1EEvPKcS1_S1_S1_S1_PKiPfP15HIP_vector_typeIfLj2EEffffjfiS5_IjLj3EEiiiiiiiiiiiliiliiiiil.uses_flat_scratch, 1
	.set _ZL15flash_attn_tileILi256ELi256ELi16ELi1ELb1EEvPKcS1_S1_S1_S1_PKiPfP15HIP_vector_typeIfLj2EEffffjfiS5_IjLj3EEiiiiiiiiiiiliiliiiiil.has_dyn_sized_stack, 0
	.set _ZL15flash_attn_tileILi256ELi256ELi16ELi1ELb1EEvPKcS1_S1_S1_S1_PKiPfP15HIP_vector_typeIfLj2EEffffjfiS5_IjLj3EEiiiiiiiiiiiliiliiiiil.has_recursion, 0
	.set _ZL15flash_attn_tileILi256ELi256ELi16ELi1ELb1EEvPKcS1_S1_S1_S1_PKiPfP15HIP_vector_typeIfLj2EEffffjfiS5_IjLj3EEiiiiiiiiiiiliiliiiiil.has_indirect_call, 0
	.section	.AMDGPU.csdata,"",@progbits
; Kernel info:
; codeLenInByte = 18844
; TotalNumSgprs: 50
; NumVgprs: 170
; ScratchSize: 32
; MemoryBound: 0
; FloatMode: 240
; IeeeMode: 1
; LDSByteSize: 26112 bytes/workgroup (compile time only)
; SGPRBlocks: 0
; VGPRBlocks: 10
; NumSGPRsForWavesPerEU: 50
; NumVGPRsForWavesPerEU: 170
; NamedBarCnt: 0
; Occupancy: 5
; WaveLimiterHint : 1
; COMPUTE_PGM_RSRC2:SCRATCH_EN: 1
; COMPUTE_PGM_RSRC2:USER_SGPR: 2
; COMPUTE_PGM_RSRC2:TRAP_HANDLER: 0
; COMPUTE_PGM_RSRC2:TGID_X_EN: 1
; COMPUTE_PGM_RSRC2:TGID_Y_EN: 1
; COMPUTE_PGM_RSRC2:TGID_Z_EN: 1
; COMPUTE_PGM_RSRC2:TIDIG_COMP_CNT: 1
	.section	.text._ZL15flash_attn_tileILi256ELi256ELi8ELi1ELb1EEvPKcS1_S1_S1_S1_PKiPfP15HIP_vector_typeIfLj2EEffffjfiS5_IjLj3EEiiiiiiiiiiiliiliiiiil,"axG",@progbits,_ZL15flash_attn_tileILi256ELi256ELi8ELi1ELb1EEvPKcS1_S1_S1_S1_PKiPfP15HIP_vector_typeIfLj2EEffffjfiS5_IjLj3EEiiiiiiiiiiiliiliiiiil,comdat
	.globl	_ZL15flash_attn_tileILi256ELi256ELi8ELi1ELb1EEvPKcS1_S1_S1_S1_PKiPfP15HIP_vector_typeIfLj2EEffffjfiS5_IjLj3EEiiiiiiiiiiiliiliiiiil ; -- Begin function _ZL15flash_attn_tileILi256ELi256ELi8ELi1ELb1EEvPKcS1_S1_S1_S1_PKiPfP15HIP_vector_typeIfLj2EEffffjfiS5_IjLj3EEiiiiiiiiiiiliiliiiiil
	.p2align	8
	.type	_ZL15flash_attn_tileILi256ELi256ELi8ELi1ELb1EEvPKcS1_S1_S1_S1_PKiPfP15HIP_vector_typeIfLj2EEffffjfiS5_IjLj3EEiiiiiiiiiiiliiliiiiil,@function
_ZL15flash_attn_tileILi256ELi256ELi8ELi1ELb1EEvPKcS1_S1_S1_S1_PKiPfP15HIP_vector_typeIfLj2EEffffjfiS5_IjLj3EEiiiiiiiiiiiliiliiiiil: ; @_ZL15flash_attn_tileILi256ELi256ELi8ELi1ELb1EEvPKcS1_S1_S1_S1_PKiPfP15HIP_vector_typeIfLj2EEffffjfiS5_IjLj3EEiiiiiiiiiiiliiliiiiil
; %bb.0:
	s_clause 0x1
	s_load_b128 s[20:23], s[0:1], 0x5c
	s_load_b64 s[2:3], s[0:1], 0x80
	s_bfe_u32 s6, ttmp6, 0x40014
	s_lshr_b32 s5, ttmp7, 16
	s_add_co_i32 s6, s6, 1
	s_bfe_u32 s7, ttmp6, 0x40008
	s_mul_i32 s6, s5, s6
	s_getreg_b32 s40, hwreg(HW_REG_IB_STS2, 6, 4)
	s_add_co_i32 s7, s7, s6
	s_load_b64 s[38:39], s[0:1], 0xb8
	s_mov_b32 s35, 0
	s_mov_b64 s[30:31], 0
	s_wait_kmcnt 0x0
	s_cvt_f32_u32 s4, s23
	s_sub_co_i32 s8, 0, s23
	s_delay_alu instid0(SALU_CYCLE_2) | instskip(SKIP_1) | instid1(TRANS32_DEP_1)
	v_rcp_iflag_f32_e32 v1, s4
	v_nop
	v_readfirstlane_b32 s4, v1
	s_mul_f32 s4, s4, 0x4f7ffffe
	s_delay_alu instid0(SALU_CYCLE_3) | instskip(NEXT) | instid1(SALU_CYCLE_3)
	s_cvt_u32_f32 s4, s4
	s_mul_i32 s8, s8, s4
	s_delay_alu instid0(SALU_CYCLE_1) | instskip(NEXT) | instid1(SALU_CYCLE_1)
	s_mul_hi_u32 s8, s4, s8
	s_add_co_i32 s4, s4, s8
	s_cmp_eq_u32 s40, 0
	s_cselect_b32 s5, s5, s7
	s_delay_alu instid0(SALU_CYCLE_1) | instskip(NEXT) | instid1(SALU_CYCLE_1)
	s_mul_hi_u32 s4, s5, s4
	s_mul_i32 s6, s4, s23
	s_add_co_i32 s7, s4, 1
	s_sub_co_i32 s6, s5, s6
	s_delay_alu instid0(SALU_CYCLE_1)
	s_sub_co_i32 s8, s6, s23
	s_cmp_ge_u32 s6, s23
	s_cselect_b32 s4, s7, s4
	s_cselect_b32 s6, s8, s6
	s_add_co_i32 s7, s4, 1
	s_cmp_ge_u32 s6, s23
	s_cselect_b32 s28, s7, s4
	s_abs_i32 s4, s3
	s_mul_i32 s8, s28, s23
	s_cvt_f32_u32 s6, s4
	s_sub_co_i32 s7, 0, s4
	s_abs_i32 s9, s23
	s_sub_co_i32 s33, s5, s8
	v_rcp_iflag_f32_e32 v1, s6
	s_xor_b32 s3, s23, s3
	s_delay_alu instid0(SALU_CYCLE_1) | instskip(SKIP_1) | instid1(TRANS32_DEP_1)
	s_ashr_i32 s3, s3, 31
	v_nop
	v_readfirstlane_b32 s6, v1
	s_mul_f32 s6, s6, 0x4f7ffffe
	s_delay_alu instid0(SALU_CYCLE_3) | instskip(NEXT) | instid1(SALU_CYCLE_3)
	s_cvt_u32_f32 s6, s6
	s_mul_i32 s7, s7, s6
	s_delay_alu instid0(SALU_CYCLE_1) | instskip(NEXT) | instid1(SALU_CYCLE_1)
	s_mul_hi_u32 s7, s6, s7
	s_add_co_i32 s6, s6, s7
	s_delay_alu instid0(SALU_CYCLE_1) | instskip(NEXT) | instid1(SALU_CYCLE_1)
	s_mul_hi_u32 s5, s9, s6
	s_mul_i32 s6, s5, s4
	s_add_co_i32 s7, s5, 1
	s_sub_co_i32 s6, s9, s6
	s_delay_alu instid0(SALU_CYCLE_1)
	s_sub_co_i32 s8, s6, s4
	s_cmp_ge_u32 s6, s4
	s_cselect_b32 s5, s7, s5
	s_cselect_b32 s6, s8, s6
	s_add_co_i32 s7, s5, 1
	s_cmp_ge_u32 s6, s4
	s_cselect_b32 s4, s7, s5
	s_abs_i32 s34, s33
	s_xor_b32 s4, s4, s3
	s_delay_alu instid0(SALU_CYCLE_1) | instskip(NEXT) | instid1(SALU_CYCLE_1)
	s_sub_co_i32 s29, s4, s3
	s_abs_i32 s3, s29
	s_delay_alu instid0(SALU_CYCLE_1) | instskip(SKIP_1) | instid1(SALU_CYCLE_2)
	s_cvt_f32_u32 s4, s3
	s_sub_co_i32 s25, 0, s3
	v_rcp_iflag_f32_e32 v1, s4
	s_load_b512 s[4:19], s[0:1], 0x0
	v_nop
	s_delay_alu instid0(TRANS32_DEP_1) | instskip(SKIP_1) | instid1(SALU_CYCLE_3)
	v_readfirstlane_b32 s24, v1
	s_mul_f32 s24, s24, 0x4f7ffffe
	s_cvt_u32_f32 s24, s24
	s_delay_alu instid0(SALU_CYCLE_3) | instskip(NEXT) | instid1(SALU_CYCLE_1)
	s_mul_i32 s25, s25, s24
	s_mul_hi_u32 s25, s24, s25
	s_delay_alu instid0(SALU_CYCLE_1)
	s_add_co_i32 s36, s24, s25
	s_wait_kmcnt 0x0
	s_cmp_eq_u64 s[10:11], 0
	s_cbranch_scc1 .LBB72_2
; %bb.1:
	s_abs_i32 s26, s38
	s_abs_i32 s27, s28
	s_cvt_f32_u32 s24, s26
	s_sub_co_i32 s25, 0, s26
	s_delay_alu instid0(SALU_CYCLE_2) | instskip(SKIP_1) | instid1(TRANS32_DEP_1)
	v_rcp_iflag_f32_e32 v1, s24
	v_nop
	v_readfirstlane_b32 s24, v1
	s_mul_f32 s24, s24, 0x4f7ffffe
	s_delay_alu instid0(SALU_CYCLE_3) | instskip(NEXT) | instid1(SALU_CYCLE_3)
	s_cvt_u32_f32 s24, s24
	s_mul_i32 s25, s25, s24
	s_delay_alu instid0(SALU_CYCLE_1) | instskip(NEXT) | instid1(SALU_CYCLE_1)
	s_mul_hi_u32 s25, s24, s25
	s_add_co_i32 s24, s24, s25
	s_delay_alu instid0(SALU_CYCLE_1) | instskip(SKIP_2) | instid1(SALU_CYCLE_1)
	s_mul_hi_u32 s30, s27, s24
	s_load_b64 s[24:25], s[0:1], 0xc8
	s_mul_i32 s30, s30, s26
	s_sub_co_i32 s27, s27, s30
	s_ashr_i32 s30, s28, 31
	s_sub_co_i32 s31, s27, s26
	s_cmp_ge_u32 s27, s26
	s_cselect_b32 s27, s31, s27
	s_delay_alu instid0(SALU_CYCLE_1) | instskip(SKIP_2) | instid1(SALU_CYCLE_1)
	s_sub_co_i32 s31, s27, s26
	s_cmp_ge_u32 s27, s26
	s_cselect_b32 s26, s31, s27
	s_xor_b32 s26, s26, s30
	s_delay_alu instid0(SALU_CYCLE_1) | instskip(NEXT) | instid1(SALU_CYCLE_1)
	s_sub_co_i32 s26, s26, s30
	s_ashr_i32 s27, s26, 31
	s_wait_kmcnt 0x0
	s_mul_u64 s[24:25], s[24:25], s[26:27]
	s_delay_alu instid0(SALU_CYCLE_1)
	s_add_nc_u64 s[30:31], s[10:11], s[24:25]
.LBB72_2:
	s_clause 0x1
	s_load_b128 s[24:27], s[0:1], 0x40
	s_load_b64 s[10:11], s[0:1], 0x50
	v_mov_b32_e32 v61, 1.0
	s_mov_b32 s37, s35
	s_wait_kmcnt 0x0
	s_cmp_le_f32 s25, 0
	s_cbranch_scc1 .LBB72_4
; %bb.3:
	v_sub_co_u32 v1, s10, s33, s10
	s_and_b32 s38, s10, exec_lo
	s_cselect_b32 s26, s26, s27
	s_add_co_i32 s27, s33, 1
	v_readfirstlane_b32 s25, v1
	s_lshl_b32 s25, s25, 1
	s_delay_alu instid0(SALU_CYCLE_1) | instskip(SKIP_4) | instid1(SALU_CYCLE_3)
	s_or_b32 s25, s25, 1
	s_and_b32 s10, s10, exec_lo
	s_cselect_b32 s10, s27, s25
	s_cmp_neq_f32 s26, 1.0
	s_cvt_f32_i32 s10, s10
	s_cselect_b32 s25, s10, 1.0
	s_delay_alu instid0(SALU_CYCLE_1) | instskip(SKIP_1) | instid1(SALU_CYCLE_1)
	s_cmp_neq_f32 s25, 0
	s_cselect_b32 s10, s26, 1.0
	v_cvt_f64_f32_e64 v[2:3], |s10|
	s_delay_alu instid0(VALU_DEP_1) | instskip(SKIP_1) | instid1(VALU_DEP_1)
	v_frexp_exp_i32_f64_e32 v1, v[2:3]
	v_frexp_mant_f32_e64 v2, |s10|
	v_readfirstlane_b32 s26, v2
	s_cmp_lt_f32 s26, 0x3f2aaaab
	s_cselect_b32 vcc_lo, -1, 0
	s_delay_alu instid0(SALU_CYCLE_1) | instskip(SKIP_1) | instid1(SALU_CYCLE_1)
	s_and_b32 s27, vcc_lo, exec_lo
	s_cselect_b32 s27, 2.0, 1.0
	s_mul_f32 s26, s26, s27
	s_delay_alu instid0(SALU_CYCLE_3) | instskip(SKIP_1) | instid1(SALU_CYCLE_2)
	s_add_f32 s27, s26, 1.0
	s_add_f32 s41, s26, -1.0
	v_s_rcp_f32 s38, s27
	s_add_f32 s44, s27, -1.0
	v_subrev_co_ci_u32_e64 v1, null, 0, v1, vcc_lo
	s_delay_alu instid0(SALU_CYCLE_2) | instskip(NEXT) | instid1(TRANS32_DEP_1)
	s_sub_f32 s26, s26, s44
	s_mul_f32 s42, s41, s38
	v_cvt_f32_i32_e32 v1, v1
	s_delay_alu instid0(SALU_CYCLE_2) | instskip(NEXT) | instid1(SALU_CYCLE_3)
	s_mul_f32 s43, s27, s42
	v_dual_mov_b32 v3, s41 :: v_dual_mov_b32 v4, s43
	s_xor_b32 s45, s43, 0x80000000
	s_delay_alu instid0(SALU_CYCLE_1) | instskip(NEXT) | instid1(SALU_CYCLE_3)
	s_fmac_f32 s45, s42, s27
	s_fmac_f32 s45, s42, s26
	s_delay_alu instid0(SALU_CYCLE_3) | instskip(SKIP_2) | instid1(SALU_CYCLE_1)
	s_add_f32 s26, s43, s45
	v_mov_b32_e32 v6, s45
	s_mov_b32 s43, 0x3e76c4e1
	s_sub_f32 s27, s41, s26
	v_dual_mov_b32 v2, s26 :: v_dual_mov_b32 v7, s26
	s_delay_alu instid0(SALU_CYCLE_2) | instskip(NEXT) | instid1(VALU_DEP_1)
	v_mov_b32_e32 v5, s27
	v_pk_add_f32 v[2:3], v[2:3], v[4:5] neg_lo:[0,1] neg_hi:[0,1]
	s_delay_alu instid0(VALU_DEP_1) | instskip(NEXT) | instid1(VALU_DEP_1)
	v_pk_add_f32 v[2:3], v[2:3], v[6:7] neg_lo:[0,1] neg_hi:[0,1]
	v_readfirstlane_b32 s26, v3
	s_delay_alu instid0(VALU_DEP_2) | instskip(SKIP_1) | instid1(SALU_CYCLE_3)
	v_readfirstlane_b32 s41, v2
	s_add_f32 s26, s41, s26
	s_add_f32 s26, s27, s26
	s_delay_alu instid0(SALU_CYCLE_3) | instskip(NEXT) | instid1(SALU_CYCLE_3)
	s_mul_f32 s27, s38, s26
	s_add_f32 s26, s42, s27
	s_delay_alu instid0(SALU_CYCLE_3) | instskip(SKIP_1) | instid1(SALU_CYCLE_2)
	s_sub_f32 s38, s26, s42
	s_mul_f32 s41, s26, s26
	s_sub_f32 s38, s27, s38
	s_delay_alu instid0(SALU_CYCLE_2) | instskip(NEXT) | instid1(SALU_CYCLE_1)
	s_xor_b32 s27, s41, 0x80000000
	s_fmac_f32 s27, s26, s26
	s_delay_alu instid0(SALU_CYCLE_1) | instskip(NEXT) | instid1(SALU_CYCLE_3)
	s_add_f32 s42, s38, s38
	s_fmac_f32 s27, s26, s42
	s_delay_alu instid0(SALU_CYCLE_3) | instskip(NEXT) | instid1(SALU_CYCLE_3)
	s_add_f32 s42, s41, s27
	s_fmaak_f32 s43, s42, s43, 0x3e91f4c4
	s_sub_f32 s41, s42, s41
	s_delay_alu instid0(SALU_CYCLE_2) | instskip(NEXT) | instid1(SALU_CYCLE_2)
	s_fmaak_f32 s43, s42, s43, 0x3ecccdef
	s_sub_f32 s41, s27, s41
	s_delay_alu instid0(SALU_CYCLE_2) | instskip(NEXT) | instid1(SALU_CYCLE_3)
	s_mul_f32 s44, s42, s43
	s_xor_b32 s45, s44, 0x80000000
	s_delay_alu instid0(SALU_CYCLE_1) | instskip(NEXT) | instid1(SALU_CYCLE_3)
	s_fmac_f32 s45, s42, s43
	s_fmac_f32 s45, s41, s43
	s_delay_alu instid0(SALU_CYCLE_3) | instskip(NEXT) | instid1(SALU_CYCLE_3)
	s_add_f32 s43, s44, s45
	s_sub_f32 s27, s43, s44
	s_add_f32 s44, s43, 0x3f2aaaaa
	s_delay_alu instid0(SALU_CYCLE_2) | instskip(NEXT) | instid1(SALU_CYCLE_2)
	s_sub_f32 s27, s45, s27
	s_add_f32 s45, s44, 0xbf2aaaaa
	s_delay_alu instid0(SALU_CYCLE_2) | instskip(NEXT) | instid1(SALU_CYCLE_2)
	s_add_f32 s27, s27, 0x31739010
	s_sub_f32 s43, s43, s45
	s_delay_alu instid0(SALU_CYCLE_2) | instskip(NEXT) | instid1(SALU_CYCLE_2)
	v_mov_b64_e32 v[2:3], s[26:27]
	v_mov_b64_e32 v[4:5], s[42:43]
	s_delay_alu instid0(VALU_DEP_1) | instskip(SKIP_2) | instid1(VALU_DEP_3)
	v_pk_mul_f32 v[6:7], v[2:3], v[4:5]
	v_pk_add_f32 v[2:3], v[2:3], v[4:5]
	v_mov_b32_e32 v9, s44
	v_xor_b32_e32 v8, 0x80000000, v6
	s_delay_alu instid0(VALU_DEP_3) | instskip(NEXT) | instid1(VALU_DEP_2)
	v_mov_b32_e32 v7, v3
	v_fmac_f32_e64 v8, s42, s26
	s_delay_alu instid0(VALU_DEP_1) | instskip(NEXT) | instid1(VALU_DEP_1)
	v_fmac_f32_e64 v8, s42, s38
	v_fmac_f32_e64 v8, s41, s26
	s_delay_alu instid0(VALU_DEP_1) | instskip(NEXT) | instid1(VALU_DEP_1)
	v_pk_add_f32 v[4:5], v[6:7], v[8:9]
	v_dual_mov_b32 v2, v5 :: v_dual_sub_f32 v7, s44, v5
	v_mul_f32_e32 v12, 0x3f317218, v1
	s_delay_alu instid0(VALU_DEP_2) | instskip(NEXT) | instid1(VALU_DEP_3)
	v_pk_mul_f32 v[10:11], v[4:5], v[2:3]
	v_add_f32_e32 v3, v3, v7
	s_delay_alu instid0(VALU_DEP_3) | instskip(NEXT) | instid1(VALU_DEP_3)
	v_xor_b32_e32 v7, 0x80000000, v12
	v_xor_b32_e32 v2, 0x80000000, v10
	s_delay_alu instid0(VALU_DEP_2) | instskip(NEXT) | instid1(VALU_DEP_2)
	v_dual_sub_f32 v6, v4, v6 :: v_dual_fmac_f32 v7, 0x3f317218, v1
	v_fmac_f32_e32 v2, v4, v5
	s_delay_alu instid0(VALU_DEP_2) | instskip(NEXT) | instid1(VALU_DEP_2)
	v_sub_f32_e32 v6, v8, v6
	v_fmac_f32_e32 v2, v4, v3
	s_delay_alu instid0(VALU_DEP_1) | instskip(SKIP_3) | instid1(VALU_DEP_2)
	v_fmac_f32_e32 v2, v6, v5
	v_fmamk_f32 v4, v1, 0xb102e308, v7
	v_ldexp_f32 v5, s26, 1
	v_ldexp_f32 v1, s38, 1
	v_dual_add_f32 v13, v10, v2 :: v_dual_mov_b32 v11, v5
	s_delay_alu instid0(VALU_DEP_1) | instskip(SKIP_1) | instid1(VALU_DEP_2)
	v_pk_add_f32 v[6:7], v[12:13], v[4:5]
	v_dual_mov_b32 v8, v13 :: v_dual_mov_b32 v3, v13
	v_dual_mov_b32 v9, v7 :: v_dual_mov_b32 v5, v6
	v_mov_b32_e32 v14, v7
	s_delay_alu instid0(VALU_DEP_2) | instskip(NEXT) | instid1(VALU_DEP_1)
	v_pk_add_f32 v[8:9], v[8:9], v[10:11] neg_lo:[0,1] neg_hi:[0,1]
	v_pk_add_f32 v[2:3], v[2:3], v[8:9] neg_lo:[0,1] neg_hi:[0,1]
	s_delay_alu instid0(VALU_DEP_1) | instskip(NEXT) | instid1(VALU_DEP_1)
	v_add_f32_e32 v1, v1, v2
	v_add_f32_e32 v13, v1, v3
	s_delay_alu instid0(VALU_DEP_1) | instskip(SKIP_1) | instid1(VALU_DEP_2)
	v_pk_add_f32 v[2:3], v[6:7], v[12:13]
	v_pk_add_f32 v[8:9], v[6:7], v[12:13] neg_lo:[0,1] neg_hi:[0,1]
	v_mov_b32_e32 v9, v3
	s_delay_alu instid0(VALU_DEP_1) | instskip(SKIP_2) | instid1(VALU_DEP_3)
	v_pk_add_f32 v[10:11], v[4:5], v[8:9]
	v_pk_add_f32 v[4:5], v[4:5], v[8:9] neg_lo:[0,1] neg_hi:[0,1]
	v_dual_mov_b32 v16, v3 :: v_dual_mov_b32 v5, v6
	v_dual_mov_b32 v12, v11 :: v_dual_mov_b32 v17, v11
	s_delay_alu instid0(VALU_DEP_3) | instskip(NEXT) | instid1(VALU_DEP_2)
	v_readfirstlane_b32 s26, v4
	v_pk_add_f32 v[8:9], v[12:13], v[6:7] neg_lo:[0,1] neg_hi:[0,1]
	s_delay_alu instid0(VALU_DEP_2) | instskip(NEXT) | instid1(VALU_DEP_2)
	v_dual_mov_b32 v4, v13 :: v_dual_mov_b32 v10, s26
	v_dual_mov_b32 v15, v8 :: v_dual_mov_b32 v1, v8
	s_delay_alu instid0(VALU_DEP_1) | instskip(NEXT) | instid1(VALU_DEP_2)
	v_pk_add_f32 v[6:7], v[16:17], v[14:15] neg_lo:[0,1] neg_hi:[0,1]
	v_pk_add_f32 v[2:3], v[2:3], v[0:1] neg_lo:[0,1] neg_hi:[0,1]
	v_mov_b32_e32 v2, s26
	s_delay_alu instid0(VALU_DEP_3) | instskip(NEXT) | instid1(VALU_DEP_1)
	v_pk_add_f32 v[4:5], v[4:5], v[6:7] neg_lo:[0,1] neg_hi:[0,1]
	v_pk_add_f32 v[2:3], v[2:3], v[4:5]
	s_delay_alu instid0(VALU_DEP_1) | instskip(NEXT) | instid1(VALU_DEP_2)
	v_readfirstlane_b32 s27, v2
	v_mov_b32_e32 v6, v3
	s_delay_alu instid0(VALU_DEP_1) | instskip(NEXT) | instid1(VALU_DEP_3)
	v_pk_add_f32 v[6:7], v[2:3], v[6:7]
	v_mov_b32_e32 v2, s27
	s_delay_alu instid0(VALU_DEP_2) | instskip(SKIP_1) | instid1(VALU_DEP_2)
	v_pk_add_f32 v[8:9], v[12:13], v[6:7]
	v_mov_b32_e32 v5, v6
	v_readfirstlane_b32 s38, v8
	s_delay_alu instid0(VALU_DEP_1) | instskip(NEXT) | instid1(VALU_DEP_1)
	v_mov_b32_e32 v3, s38
	v_pk_add_f32 v[2:3], v[2:3], v[10:11] neg_lo:[0,1] neg_hi:[0,1]
	s_delay_alu instid0(VALU_DEP_1) | instskip(NEXT) | instid1(VALU_DEP_2)
	v_readfirstlane_b32 s41, v2
	v_pk_add_f32 v[2:3], v[4:5], v[2:3] neg_lo:[0,1] neg_hi:[0,1]
	s_sub_f32 s27, s27, s41
	s_delay_alu instid0(VALU_DEP_1) | instskip(NEXT) | instid1(SALU_CYCLE_2)
	v_readfirstlane_b32 s41, v2
	s_sub_f32 s26, s26, s27
	v_readfirstlane_b32 s27, v3
	s_delay_alu instid0(SALU_CYCLE_2) | instskip(NEXT) | instid1(SALU_CYCLE_3)
	s_add_f32 s26, s41, s26
	s_add_f32 s26, s26, s27
	s_delay_alu instid0(SALU_CYCLE_3) | instskip(NEXT) | instid1(SALU_CYCLE_3)
	s_add_f32 s27, s38, s26
	s_mul_f32 s41, s25, s27
	s_sub_f32 s38, s27, s38
	s_delay_alu instid0(SALU_CYCLE_2) | instskip(NEXT) | instid1(SALU_CYCLE_2)
	s_xor_b32 s42, s41, 0x80000000
	s_sub_f32 s26, s26, s38
	s_fmac_f32 s42, s25, s27
	s_delay_alu instid0(SALU_CYCLE_3) | instskip(SKIP_1) | instid1(SALU_CYCLE_2)
	s_fmac_f32 s42, s25, s26
	v_cmp_class_f32_e64 s26, s41, 0x204
	s_add_f32 s27, s41, s42
	s_and_b32 s26, s26, exec_lo
	s_delay_alu instid0(SALU_CYCLE_2) | instskip(SKIP_1) | instid1(SALU_CYCLE_1)
	s_sub_f32 s26, s27, s41
	s_cselect_b32 s27, s41, s27
	s_and_b32 s38, s27, 0x7fffffff
	s_delay_alu instid0(SALU_CYCLE_1) | instskip(SKIP_1) | instid1(SALU_CYCLE_2)
	s_sub_f32 s26, s42, s26
	s_cmp_neq_f32 s38, 0x7f800000
	s_cselect_b32 s26, s26, 0
	s_cmp_eq_f32 s27, 0x42b17218
	s_cselect_b32 s38, 0x37000000, 0
	s_delay_alu instid0(SALU_CYCLE_1) | instskip(SKIP_1) | instid1(SALU_CYCLE_2)
	s_sub_f32 s27, s27, s38
	s_add_f32 s26, s38, s26
	s_mul_f32 s41, s27, 0x3fb8aa3b
	s_delay_alu instid0(SALU_CYCLE_3) | instskip(SKIP_3) | instid1(SALU_CYCLE_1)
	s_xor_b32 s42, s41, 0x80000000
	s_rndne_f32 s43, s41
	s_fmamk_f32 s42, s27, 0x3fb8aa3b, s42
	s_cmp_nlt_f32 s27, 0xc2ce8ed0
	s_sub_f32 s41, s41, s43
	s_delay_alu instid0(SALU_CYCLE_1)
	s_fmamk_f32 s42, s27, 0x32a5705f, s42
	s_cselect_b32 vcc_lo, -1, 0
	s_cmp_ngt_f32 s27, 0x42b17218
	s_trunc_f32 s27, s25
	s_add_f32 s41, s41, s42
	s_cvt_i32_f32 s42, s43
	s_delay_alu instid0(SALU_CYCLE_2)
	v_s_exp_f32 s41, s41
	v_nop
	s_delay_alu instid0(TRANS32_DEP_1) | instid1(SALU_CYCLE_1)
	v_ldexp_f32 v1, s41, s42
	s_mul_f32 s41, s25, 0.5
	s_delay_alu instid0(VALU_DEP_1) | instskip(SKIP_3) | instid1(VALU_DEP_1)
	v_cndmask_b32_e32 v1, 0, v1, vcc_lo
	s_cselect_b32 vcc_lo, -1, 0
	s_cmp_eq_f32 s27, s25
	s_trunc_f32 s42, s41
	v_cndmask_b32_e32 v1, 0x7f800000, v1, vcc_lo
	s_cselect_b32 s43, -1, 0
	s_delay_alu instid0(SALU_CYCLE_1) | instskip(NEXT) | instid1(VALU_DEP_1)
	s_cmp_neq_f32 s42, s41
	v_fma_f32 v2, s26, v1, v1
	v_cmp_class_f32_e64 vcc_lo, v1, 0x204
	s_cselect_b32 s38, -1, 0
	s_delay_alu instid0(SALU_CYCLE_1)
	s_and_b32 s26, s43, s38
	v_cndmask_b32_e32 v1, v2, v1, vcc_lo
	s_and_b32 s38, s26, exec_lo
	s_cselect_b32 s38, s10, 1.0
	s_cmp_eq_f32 s27, s25
	v_cmp_class_f32_e64 s27, s10, 0x204
	v_bfi_b32 v1, 0x7fffffff, v1, s38
	s_cselect_b32 vcc_lo, -1, 0
	s_cmp_lt_f32 s10, 0
	s_delay_alu instid0(VALU_DEP_1) | instskip(SKIP_2) | instid1(VALU_DEP_1)
	v_cndmask_b32_e32 v2, 0x7fc00000, v1, vcc_lo
	s_cselect_b32 vcc_lo, -1, 0
	s_cmp_eq_f32 s10, 0
	v_cndmask_b32_e32 v1, v1, v2, vcc_lo
	s_cselect_b32 s38, -1, 0
	s_delay_alu instid0(SALU_CYCLE_1) | instskip(SKIP_2) | instid1(SALU_CYCLE_1)
	s_or_b32 vcc_lo, s38, s27
	s_cmp_lt_f32 s25, 0
	s_cselect_b32 s25, -1, 0
	s_xor_b32 s25, s25, s38
	s_delay_alu instid0(SALU_CYCLE_1)
	s_and_b32 s25, s25, exec_lo
	s_cselect_b32 s25, 0, 0x7f800000
	s_and_b32 s26, s26, exec_lo
	s_cselect_b32 s26, s10, 0
	s_cmp_o_f32 s10, s10
	v_mov_b32_e32 v2, s26
	s_delay_alu instid0(VALU_DEP_1) | instskip(NEXT) | instid1(VALU_DEP_1)
	v_bfi_b32 v2, 0x7fffffff, s25, v2
	v_cndmask_b32_e32 v1, v1, v2, vcc_lo
	s_cselect_b32 vcc_lo, -1, 0
	s_delay_alu instid0(VALU_DEP_1)
	v_cndmask_b32_e32 v61, 0x7fc00000, v1, vcc_lo
.LBB72_4:
	s_bfe_u32 s25, ttmp6, 0x4000c
	v_bfe_u32 v60, v0, 10, 10
	s_add_co_i32 s25, s25, 1
	s_and_b32 s26, ttmp6, 15
	s_mul_i32 s25, ttmp9, s25
	s_ashr_i32 s10, s33, 31
	s_ashr_i32 s41, s29, 31
	s_add_co_i32 s26, s26, s25
	s_cmp_eq_u32 s40, 0
	v_lshlrev_b32_e32 v54, 1, v60
	s_cselect_b32 s25, ttmp9, s26
	s_load_b96 s[44:46], s[0:1], 0x70
	s_lshl_b32 s38, s25, 3
	v_and_b32_e32 v57, 0x3ff, v0
	v_dual_mov_b32 v13, 0 :: v_dual_add_nc_u32 v56, s38, v54
	s_delay_alu instid0(VALU_DEP_2) | instskip(NEXT) | instid1(VALU_DEP_2)
	v_lshlrev_b32_e32 v12, 4, v57
	v_mul_hi_u32 v1, v56, s20
	v_dual_lshlrev_b32 v59, 3, v57 :: v_dual_lshlrev_b32 v55, 2, v57
	s_delay_alu instid0(VALU_DEP_2)
	v_dual_add_nc_u32 v1, v56, v1 :: v_dual_bitop2_b32 v52, 1, v54 bitop3:0x54
	s_wait_kmcnt 0x0
	s_mul_i32 s26, s28, s46
	s_mul_i32 s42, s33, s45
	s_ashr_i32 s27, s26, 31
	v_dual_lshrrev_b32 v1, s21, v1 :: v_dual_add_nc_u32 v53, s38, v52
	s_ashr_i32 s43, s42, 31
	s_add_nc_u64 s[4:5], s[4:5], s[26:27]
	s_ashr_i32 s45, s44, 31
	s_delay_alu instid0(VALU_DEP_1)
	v_mul_lo_u32 v1, v1, s22
	v_mul_hi_u32 v2, v53, s20
	v_mov_b32_e32 v19, v13
	s_add_nc_u64 s[4:5], s[4:5], s[42:43]
	s_lshr_b64 s[26:27], s[44:45], 2
	v_add_nc_u64_e32 v[4:5], s[4:5], v[12:13]
	s_mul_u64 s[4:5], s[34:35], s[36:37]
	s_mov_b32 s37, 0
	s_cmp_eq_u64 s[14:15], 0
	s_delay_alu instid0(VALU_DEP_3) | instskip(NEXT) | instid1(VALU_DEP_1)
	v_dual_sub_nc_u32 v18, v56, v1 :: v_dual_add_nc_u32 v0, v53, v2
	v_lshrrev_b32_e32 v0, s21, v0
	s_delay_alu instid0(VALU_DEP_1) | instskip(NEXT) | instid1(VALU_DEP_3)
	v_mul_lo_u32 v2, v0, s22
	v_mul_u64_e32 v[0:1], s[26:27], v[18:19]
	s_delay_alu instid0(VALU_DEP_2) | instskip(NEXT) | instid1(VALU_DEP_1)
	v_sub_nc_u32_e32 v12, v53, v2
	v_mul_u64_e32 v[6:7], s[26:27], v[12:13]
	v_add_nc_u32_e32 v12, 0x4200, v59
	s_delay_alu instid0(VALU_DEP_4)
	v_lshl_add_u64 v[20:21], v[0:1], 2, v[4:5]
	global_load_b128 v[0:3], v[20:21], off
	v_lshl_add_u64 v[22:23], v[6:7], 2, v[4:5]
	s_clause 0x2
	global_load_b128 v[4:7], v[20:21], off offset:512
	global_load_b128 v[8:11], v[22:23], off
	global_load_b128 v[14:17], v[22:23], off offset:512
	s_wait_loadcnt 0x3
	v_fma_mixlo_f16 v0, s24, v0, 0
	v_fma_mixlo_f16 v1, s24, v1, 0
	v_lshlrev_b32_e32 v19, 10, v60
	v_fma_mixlo_f16 v2, s24, v2, 0
	v_fma_mixlo_f16 v3, s24, v3, 0
	v_and_b32_e32 v0, 0xffff, v0
	v_lshlrev_b32_e32 v1, 16, v1
	s_delay_alu instid0(VALU_DEP_4) | instskip(NEXT) | instid1(VALU_DEP_2)
	v_and_b32_e32 v2, 0xffff, v2
	v_or_b32_e32 v0, v1, v0
	s_wait_loadcnt 0x2
	v_fma_mixlo_f16 v4, s24, v4, 0
	v_fma_mixlo_f16 v5, s24, v5, 0
	;; [unrolled: 1-line block ×4, first 2 shown]
	s_wait_loadcnt 0x1
	v_fma_mixlo_f16 v8, s24, v8, 0
	v_fma_mixlo_f16 v9, s24, v9, 0
	s_wait_loadcnt 0x0
	v_fma_mixlo_f16 v14, s24, v14, 0
	v_fma_mixlo_f16 v15, s24, v15, 0
	v_dual_add_nc_u32 v20, v12, v19 :: v_dual_lshlrev_b32 v5, 16, v5
	v_fma_mixlo_f16 v11, s24, v11, 0
	v_dual_lshlrev_b32 v3, 16, v3 :: v_dual_lshlrev_b32 v9, 16, v9
	v_and_b32_e32 v4, 0xffff, v4
	v_fma_mixlo_f16 v10, s24, v10, 0
	v_fma_mixlo_f16 v16, s24, v16, 0
	v_fma_mixlo_f16 v17, s24, v17, 0
	v_lshlrev_b32_e32 v7, 16, v7
	v_and_b32_e32 v6, 0xffff, v6
	v_and_b32_e32 v8, 0xffff, v8
	v_lshlrev_b32_e32 v15, 16, v15
	v_and_b32_e32 v14, 0xffff, v14
	v_lshlrev_b32_e32 v11, 16, v11
	v_or3_b32 v1, v3, v2, 0
	v_or_b32_e32 v2, v5, v4
	v_and_b32_e32 v10, 0xffff, v10
	v_lshlrev_b32_e32 v17, 16, v17
	v_and_b32_e32 v16, 0xffff, v16
	v_or3_b32 v3, v7, v6, 0
	v_or_b32_e32 v4, v9, v8
	v_or_b32_e32 v6, v15, v14
	v_or3_b32 v0, 0, 0, v0
	v_or3_b32 v2, 0, 0, v2
	v_lshl_add_u32 v12, v52, 9, v12
	v_or3_b32 v5, v11, v10, 0
	v_or3_b32 v7, v17, v16, 0
	;; [unrolled: 1-line block ×4, first 2 shown]
	ds_store_2addr_b64 v20, v[0:1], v[2:3] offset1:32
	ds_store_2addr_b64 v12, v[4:5], v[6:7] offset1:32
	s_wait_dscnt 0x0
	s_barrier_signal -1
	s_barrier_wait -1
	s_cbranch_scc1 .LBB72_6
; %bb.5:
	s_load_b32 s2, s[0:1], 0xd0
	s_wait_kmcnt 0x0
	s_mul_i32 s2, s2, s28
	s_delay_alu instid0(SALU_CYCLE_1)
	s_add_co_i32 s2, s2, s25
	s_load_b32 s2, s[14:15], s2 offset:0x0 scale_offset
.LBB72_6:
	s_wait_xcnt 0x0
	s_clause 0x2
	s_load_b64 s[14:15], s[0:1], 0x8c
	s_load_b128 s[24:27], s[0:1], 0x98
	s_load_b64 s[42:43], s[0:1], 0xa8
	s_mul_i32 s4, s5, s3
	s_xor_b32 s10, s10, s41
	s_sub_co_i32 s41, s34, s4
	s_mov_b32 s36, s20
	s_ashr_i32 s39, s39, 1
	s_ashr_i32 s29, s28, 31
	s_add_co_i32 s20, s5, 1
	s_sub_co_i32 s44, s41, s3
	v_mul_u32_u24_e32 v62, 0x210, v57
	v_mbcnt_lo_u32_b32 v58, -1, 0
	s_wait_kmcnt 0x0
	s_ashr_i32 s4, s14, 2
	s_ashr_i32 s14, s26, 2
	s_cmp_ge_u32 s41, s3
	s_mul_u64 s[24:25], s[24:25], s[28:29]
	s_cselect_b32 s5, s20, s5
	s_cselect_b32 s20, s44, s41
	s_add_nc_u64 s[6:7], s[6:7], s[24:25]
	s_add_co_i32 s24, s5, 1
	s_cmp_ge_u32 s20, s3
	v_mul_lo_u32 v22, s4, v60
	s_cselect_b32 s3, s24, s5
	v_mul_lo_u32 v16, s14, v60
	s_bfe_u32 s20, ttmp6, 0x40010
	s_xor_b32 s3, s3, s10
	s_and_b32 s5, ttmp7, 0xffff
	s_add_co_i32 s20, s20, 1
	s_sub_co_i32 s3, s3, s10
	s_mul_u64 s[34:35], s[42:43], s[28:29]
	s_bfe_u32 s25, ttmp6, 0x40004
	s_mul_i32 s10, s5, s20
	s_mul_i32 s24, s3, s15
	;; [unrolled: 1-line block ×3, first 2 shown]
	s_add_co_i32 s3, s25, s10
	s_ashr_i32 s25, s24, 31
	s_ashr_i32 s43, s42, 31
	s_cmp_eq_u32 s40, 0
	v_dual_lshlrev_b32 v14, 2, v55 :: v_dual_ashrrev_i32 v23, 31, v22
	s_cselect_b32 s20, s5, s3
	v_ashrrev_i32_e32 v17, 31, v16
	s_sub_co_i32 s3, s2, 32
	s_lshl_b32 s26, s20, 5
	s_add_nc_u64 s[8:9], s[8:9], s[34:35]
	s_add_nc_u64 s[6:7], s[6:7], s[24:25]
	s_cmp_ge_i32 s26, s3
	s_add_nc_u64 s[34:35], s[8:9], s[42:43]
	s_cbranch_scc1 .LBB72_24
; %bb.7:
	v_dual_mov_b32 v15, 0 :: v_dual_bitop2_b32 v2, 1, v56 bitop3:0x54
	s_ashr_i32 s5, s4, 31
	s_lshl_b32 s8, s4, 2
	s_cmp_lg_u64 s[30:31], 0
	s_delay_alu instid0(VALU_DEP_1) | instskip(SKIP_2) | instid1(SALU_CYCLE_1)
	v_dual_mov_b32 v3, v15 :: v_dual_add_nc_u32 v66, 0x4200, v19
	s_cselect_b32 s10, -1, 0
	s_lshl_b32 s9, s14, 2
	v_dual_add_nc_u32 v24, s8, v22 :: v_dual_add_nc_u32 v26, s9, v16
	s_delay_alu instid0(VALU_DEP_2) | instskip(SKIP_2) | instid1(VALU_DEP_4)
	v_mul_u64_e32 v[0:1], s[36:37], v[2:3]
	v_mul_lo_u32 v67, v18, s39
	v_mad_u32_u24 v65, 0x210, v60, v14
	v_dual_add_nc_u32 v28, s8, v24 :: v_dual_add_nc_u32 v30, s9, v26
	v_lshl_add_u32 v69, v60, 9, v14
	v_lshl_add_u32 v68, v60, 7, 0x5200
	v_dual_mov_b32 v0, 0xfeffffff :: v_dual_mov_b32 v13, v15
	s_delay_alu instid0(VALU_DEP_4) | instskip(SKIP_3) | instid1(VALU_DEP_4)
	v_dual_add_nc_u32 v32, s8, v28 :: v_dual_add_nc_u32 v34, s9, v30
	v_ashrrev_i32_e32 v27, 31, v26
	v_mbcnt_lo_u32_b32 v70, -1, 0
	v_dual_mov_b32 v12, v15 :: v_dual_add_nc_u32 v71, 0x840, v65
	v_add_nc_u32_e32 v36, s8, v32
	v_dual_mov_b32 v5, v15 :: v_dual_add_nc_u32 v72, 0x1080, v65
	v_dual_mov_b32 v4, v15 :: v_dual_add_nc_u32 v73, 0x18c0, v65
	;; [unrolled: 1-line block ×8, first 2 shown]
	v_dual_add_nc_u32 v1, v2, v1 :: v_dual_ashrrev_i32 v25, 31, v24
	v_add_nc_u32_e32 v38, s9, v34
	v_add_nc_u32_e32 v80, 0x1800, v69
	;; [unrolled: 1-line block ×3, first 2 shown]
	s_delay_alu instid0(VALU_DEP_4) | instskip(NEXT) | instid1(VALU_DEP_4)
	v_dual_lshrrev_b32 v1, s21, v1 :: v_dual_add_nc_u32 v40, s8, v36
	v_dual_add_nc_u32 v42, s9, v38 :: v_dual_ashrrev_i32 v37, 31, v36
	v_ashrrev_i32_e32 v39, 31, v38
	s_delay_alu instid0(VALU_DEP_3) | instskip(NEXT) | instid1(VALU_DEP_3)
	v_mul_lo_u32 v1, v1, s22
	v_dual_add_nc_u32 v44, s8, v40 :: v_dual_add_nc_u32 v46, s9, v42
	v_add_nc_u32_e32 v82, 0x2800, v69
	v_add_nc_u32_e32 v83, 0x3000, v69
	;; [unrolled: 1-line block ×3, first 2 shown]
	s_delay_alu instid0(VALU_DEP_4) | instskip(SKIP_4) | instid1(VALU_DEP_3)
	v_dual_add_nc_u32 v48, s8, v44 :: v_dual_add_nc_u32 v50, s9, v46
	v_dual_ashrrev_i32 v29, 31, v28 :: v_dual_ashrrev_i32 v31, 31, v30
	v_dual_ashrrev_i32 v45, 31, v44 :: v_dual_sub_nc_u32 v1, v2, v1
	v_dual_ashrrev_i32 v33, 31, v32 :: v_dual_ashrrev_i32 v35, 31, v34
	v_dual_ashrrev_i32 v41, 31, v40 :: v_dual_ashrrev_i32 v43, 31, v42
	v_mul_lo_u32 v85, v1, s39
	v_dual_ashrrev_i32 v47, 31, v46 :: v_dual_ashrrev_i32 v49, 31, v48
	v_ashrrev_i32_e32 v51, 31, v50
	v_mov_b32_e32 v1, 0xfeffffff
	s_add_nc_u64 s[8:9], s[0:1], 0xd0
	s_mov_b32 s24, 0xbbbac73d
	s_ashr_i32 s15, s14, 31
.LBB72_8:                               ; =>This Inner Loop Header: Depth=1
	s_ashr_i32 s27, s26, 31
	s_delay_alu instid0(SALU_CYCLE_1) | instskip(NEXT) | instid1(SALU_CYCLE_1)
	s_mul_u64 s[40:41], s[26:27], s[4:5]
	s_lshl_b64 s[40:41], s[40:41], 2
	s_delay_alu instid0(SALU_CYCLE_1) | instskip(NEXT) | instid1(SALU_CYCLE_1)
	s_add_nc_u64 s[40:41], s[6:7], s[40:41]
	v_lshl_add_u64 v[2:3], v[22:23], 2, s[40:41]
	v_lshl_add_u64 v[10:11], v[24:25], 2, s[40:41]
	;; [unrolled: 1-line block ×6, first 2 shown]
	v_add_nc_u64_e32 v[2:3], v[2:3], v[14:15]
	v_lshl_add_u64 v[92:93], v[44:45], 2, s[40:41]
	v_lshl_add_u64 v[94:95], v[48:49], 2, s[40:41]
	v_add_nc_u64_e32 v[10:11], v[10:11], v[14:15]
	v_add_nc_u64_e32 v[20:21], v[20:21], v[14:15]
	;; [unrolled: 1-line block ×7, first 2 shown]
	s_clause 0x7
	global_load_b128 v[86:89], v[2:3], off
	global_load_b128 v[90:93], v[10:11], off
	;; [unrolled: 1-line block ×8, first 2 shown]
	s_wait_xcnt 0x6
	v_mov_b32_e32 v11, 0
                                        ; implicit-def: $vgpr10
	s_wait_loadcnt 0x7
	ds_store_b128 v65, v[86:89]
	s_wait_loadcnt 0x6
	ds_store_b128 v71, v[90:93]
	;; [unrolled: 2-line block ×8, first 2 shown]
	s_wait_dscnt 0x0
	s_barrier_signal -1
	s_barrier_wait -1
	ds_load_b128 v[86:89], v62
	ds_load_b128 v[92:95], v66
	ds_load_b128 v[96:99], v66 offset:512
	v_mov_b32_e32 v90, 0
	s_wait_dscnt 0x1
	;;#ASMSTART
	v_dot2_f32_f16 v11, v86, v92, v11
	;;#ASMEND
	;;#ASMSTART
	v_dot2_f32_f16 v11, v87, v93, v11
	;;#ASMEND
	;;#ASMSTART
	v_dot2_f32_f16 v11, v88, v94, v11
	;;#ASMEND
	;;#ASMSTART
	v_dot2_f32_f16 v11, v89, v95, v11
	;;#ASMEND
	s_wait_dscnt 0x0
	;;#ASMSTART
	v_dot2_f32_f16 v90, v86, v96, v90
	;;#ASMEND
	;;#ASMSTART
	v_dot2_f32_f16 v90, v87, v97, v90
	;;#ASMEND
	;;#ASMSTART
	v_dot2_f32_f16 v90, v88, v98, v90
	;;#ASMEND
	;;#ASMSTART
	v_dot2_f32_f16 v90, v89, v99, v90
	;;#ASMEND
	ds_load_b128 v[86:89], v62 offset:16
	ds_load_b128 v[92:95], v66 offset:16
	ds_load_b128 v[96:99], v66 offset:528
	s_wait_dscnt 0x1
	;;#ASMSTART
	v_dot2_f32_f16 v11, v86, v92, v11
	;;#ASMEND
	;;#ASMSTART
	v_dot2_f32_f16 v11, v87, v93, v11
	;;#ASMEND
	;;#ASMSTART
	v_dot2_f32_f16 v11, v88, v94, v11
	;;#ASMEND
	;;#ASMSTART
	v_dot2_f32_f16 v11, v89, v95, v11
	;;#ASMEND
	s_wait_dscnt 0x0
	;;#ASMSTART
	v_dot2_f32_f16 v90, v86, v96, v90
	;;#ASMEND
	;;#ASMSTART
	v_dot2_f32_f16 v90, v87, v97, v90
	;;#ASMEND
	;;#ASMSTART
	v_dot2_f32_f16 v90, v88, v98, v90
	;;#ASMEND
	;;#ASMSTART
	v_dot2_f32_f16 v90, v89, v99, v90
	;;#ASMEND
	ds_load_b128 v[86:89], v62 offset:32
	ds_load_b128 v[92:95], v66 offset:32
	ds_load_b128 v[96:99], v66 offset:544
	;; [unrolled: 29-line block ×31, first 2 shown]
	s_wait_dscnt 0x1
	;;#ASMSTART
	v_dot2_f32_f16 v11, v86, v92, v11
	;;#ASMEND
	;;#ASMSTART
	v_dot2_f32_f16 v11, v87, v93, v11
	;;#ASMEND
	;;#ASMSTART
	v_dot2_f32_f16 v11, v88, v94, v11
	;;#ASMEND
	;;#ASMSTART
	v_dot2_f32_f16 v11, v89, v95, v11
	;;#ASMEND
	v_cmp_ngt_f32_e64 s25, 0x3f200000, |v11|
	s_wait_dscnt 0x0
	;;#ASMSTART
	v_dot2_f32_f16 v90, v86, v96, v90
	;;#ASMEND
	;;#ASMSTART
	v_dot2_f32_f16 v90, v87, v97, v90
	;;#ASMEND
	;;#ASMSTART
	v_dot2_f32_f16 v90, v88, v98, v90
	;;#ASMEND
	;;#ASMSTART
	v_dot2_f32_f16 v90, v89, v99, v90
	;;#ASMEND
	s_and_saveexec_b32 s29, s25
	s_delay_alu instid0(SALU_CYCLE_1)
	s_xor_b32 s25, exec_lo, s29
	s_cbranch_execnz .LBB72_12
; %bb.9:                                ;   in Loop: Header=BB72_8 Depth=1
	s_and_not1_saveexec_b32 s25, s25
	s_cbranch_execnz .LBB72_13
.LBB72_10:                              ;   in Loop: Header=BB72_8 Depth=1
	s_or_b32 exec_lo, exec_lo, s25
	v_add_nc_u32_e32 v3, s26, v57
	s_and_not1_b32 vcc_lo, exec_lo, s10
	s_cbranch_vccnz .LBB72_14
.LBB72_11:                              ;   in Loop: Header=BB72_8 Depth=1
	s_delay_alu instid0(VALU_DEP_1) | instskip(SKIP_3) | instid1(VALU_DEP_1)
	v_add_nc_u32_e32 v2, v3, v67
	global_load_u16 v2, v2, s[30:31] scale_offset
	s_wait_loadcnt 0x0
	v_cvt_f32_f16_e32 v2, v2
	v_mul_f32_e32 v2, v61, v2
	s_branch .LBB72_15
.LBB72_12:                              ;   in Loop: Header=BB72_8 Depth=1
	v_add_f32_e64 v2, |v11|, |v11|
	s_delay_alu instid0(VALU_DEP_1) | instskip(SKIP_1) | instid1(VALU_DEP_2)
	v_mul_f32_e32 v3, 0x3fb8aa3b, v2
	v_cmp_ngt_f32_e32 vcc_lo, 0xc2ce8ed0, v2
	v_rndne_f32_e32 v10, v3
	v_fma_f32 v20, 0x3fb8aa3b, v2, -v3
	s_delay_alu instid0(VALU_DEP_2) | instskip(NEXT) | instid1(VALU_DEP_2)
	v_sub_f32_e32 v3, v3, v10
	v_fmac_f32_e32 v20, 0x32a5705f, v2
	v_cvt_i32_f32_e32 v10, v10
	s_delay_alu instid0(VALU_DEP_2) | instskip(NEXT) | instid1(VALU_DEP_1)
	v_add_f32_e32 v3, v3, v20
	v_exp_f32_e32 v3, v3
	v_nop
	s_delay_alu instid0(TRANS32_DEP_1) | instskip(NEXT) | instid1(VALU_DEP_1)
	v_ldexp_f32 v3, v3, v10
	v_cndmask_b32_e32 v3, 0, v3, vcc_lo
	v_cmp_nlt_f32_e32 vcc_lo, 0x42b17218, v2
	s_delay_alu instid0(VALU_DEP_2) | instskip(NEXT) | instid1(VALU_DEP_1)
	v_cndmask_b32_e32 v2, 0x7f800000, v3, vcc_lo
	v_add_f32_e32 v2, 1.0, v2
	s_delay_alu instid0(VALU_DEP_1) | instskip(SKIP_1) | instid1(TRANS32_DEP_1)
	v_rcp_f32_e32 v2, v2
	v_nop
	v_fma_f32 v10, v2, -2.0, 1.0
	s_and_not1_saveexec_b32 s25, s25
	s_cbranch_execz .LBB72_10
.LBB72_13:                              ;   in Loop: Header=BB72_8 Depth=1
	v_mul_f32_e32 v2, v11, v11
	s_delay_alu instid0(VALU_DEP_1) | instskip(NEXT) | instid1(VALU_DEP_1)
	v_fmaak_f32 v3, s24, v2, 0x3ca908c9
	v_fmaak_f32 v3, v2, v3, 0xbd5c1c4e
	s_delay_alu instid0(VALU_DEP_1) | instskip(NEXT) | instid1(VALU_DEP_1)
	v_fmaak_f32 v3, v2, v3, 0x3e088382
	v_fmaak_f32 v3, v2, v3, 0xbeaaaa99
	s_delay_alu instid0(VALU_DEP_1) | instskip(NEXT) | instid1(VALU_DEP_1)
	v_mul_f32_e64 v3, |v11|, v3
	v_fma_f32 v10, v2, v3, |v11|
	s_or_b32 exec_lo, exec_lo, s25
	v_add_nc_u32_e32 v3, s26, v57
	s_and_not1_b32 vcc_lo, exec_lo, s10
	s_cbranch_vccz .LBB72_11
.LBB72_14:                              ;   in Loop: Header=BB72_8 Depth=1
	v_mov_b32_e32 v2, 0
.LBB72_15:                              ;   in Loop: Header=BB72_8 Depth=1
	v_bfi_b32 v10, 0x7fffffff, v10, v11
	v_dual_max_num_f32 v20, v0, v0 :: v_dual_bitop2_b32 v11, 16, v70 bitop3:0x14
	v_cmp_ngt_f32_e64 s25, 0x3f200000, |v90|
	s_delay_alu instid0(VALU_DEP_2) | instskip(NEXT) | instid1(VALU_DEP_4)
	v_cmp_gt_i32_e32 vcc_lo, 32, v11
	v_dual_fmac_f32 v2, s11, v10 :: v_dual_cndmask_b32 v10, v70, v11, vcc_lo
	s_delay_alu instid0(VALU_DEP_1) | instskip(NEXT) | instid1(VALU_DEP_1)
	v_add_f32_e32 v11, 0x40051340, v2
	v_dual_lshlrev_b32 v10, 2, v10 :: v_dual_max_num_f32 v20, v20, v11
	ds_bpermute_b32 v11, v10, v20
	s_wait_dscnt 0x0
	v_dual_max_num_f32 v86, v11, v11 :: v_dual_bitop2_b32 v21, 8, v70 bitop3:0x14
	s_delay_alu instid0(VALU_DEP_1) | instskip(NEXT) | instid1(VALU_DEP_2)
	v_cmp_gt_i32_e32 vcc_lo, 32, v21
	v_dual_max_num_f32 v20, v20, v86 :: v_dual_cndmask_b32 v21, v70, v21
	s_delay_alu instid0(VALU_DEP_1) | instskip(NEXT) | instid1(VALU_DEP_1)
	v_dual_lshlrev_b32 v11, 2, v21 :: v_dual_bitop2_b32 v86, 4, v70 bitop3:0x14
	v_cmp_gt_i32_e32 vcc_lo, 32, v86
	ds_bpermute_b32 v21, v11, v20
	s_wait_dscnt 0x0
	v_dual_cndmask_b32 v86, v70, v86 :: v_dual_max_num_f32 v87, v21, v21
	s_delay_alu instid0(VALU_DEP_1) | instskip(NEXT) | instid1(VALU_DEP_1)
	v_dual_max_num_f32 v20, v20, v87 :: v_dual_bitop2_b32 v87, 2, v70 bitop3:0x14
	v_cmp_gt_i32_e32 vcc_lo, 32, v87
	s_delay_alu instid0(VALU_DEP_3) | instskip(SKIP_3) | instid1(VALU_DEP_1)
	v_dual_lshlrev_b32 v21, 2, v86 :: v_dual_cndmask_b32 v87, v70, v87, vcc_lo
	ds_bpermute_b32 v86, v21, v20
	s_wait_dscnt 0x0
	v_dual_max_num_f32 v88, v86, v86 :: v_dual_lshlrev_b32 v86, 2, v87
	v_max_num_f32_e32 v20, v20, v88
	ds_bpermute_b32 v87, v86, v20
	s_wait_dscnt 0x0
	v_dual_max_num_f32 v89, v87, v87 :: v_dual_bitop2_b32 v88, 1, v70 bitop3:0x14
	s_delay_alu instid0(VALU_DEP_1) | instskip(NEXT) | instid1(VALU_DEP_2)
	v_cmp_gt_i32_e32 vcc_lo, 32, v88
	v_dual_max_num_f32 v20, v20, v89 :: v_dual_cndmask_b32 v88, v70, v88, vcc_lo
                                        ; implicit-def: $vgpr89
	s_delay_alu instid0(VALU_DEP_1) | instskip(SKIP_2) | instid1(SALU_CYCLE_1)
	v_lshlrev_b32_e32 v87, 2, v88
	ds_bpermute_b32 v88, v87, v20
	s_and_saveexec_b32 s29, s25
	s_xor_b32 s25, exec_lo, s29
	s_cbranch_execnz .LBB72_19
; %bb.16:                               ;   in Loop: Header=BB72_8 Depth=1
	s_and_not1_saveexec_b32 s25, s25
	s_cbranch_execnz .LBB72_20
.LBB72_17:                              ;   in Loop: Header=BB72_8 Depth=1
	s_or_b32 exec_lo, exec_lo, s25
	s_delay_alu instid0(SALU_CYCLE_1)
	s_and_not1_b32 vcc_lo, exec_lo, s10
	s_cbranch_vccnz .LBB72_21
.LBB72_18:                              ;   in Loop: Header=BB72_8 Depth=1
	v_add_nc_u32_e32 v3, v3, v85
	global_load_u16 v3, v3, s[30:31] scale_offset
	s_wait_loadcnt 0x0
	v_cvt_f32_f16_e32 v3, v3
	s_delay_alu instid0(VALU_DEP_1)
	v_mul_f32_e32 v3, v61, v3
	s_branch .LBB72_22
.LBB72_19:                              ;   in Loop: Header=BB72_8 Depth=1
	v_add_f32_e64 v89, |v90|, |v90|
	s_delay_alu instid0(VALU_DEP_1) | instskip(SKIP_1) | instid1(VALU_DEP_2)
	v_mul_f32_e32 v91, 0x3fb8aa3b, v89
	v_cmp_ngt_f32_e32 vcc_lo, 0xc2ce8ed0, v89
	v_rndne_f32_e32 v92, v91
	v_fma_f32 v93, 0x3fb8aa3b, v89, -v91
	s_delay_alu instid0(VALU_DEP_2) | instskip(NEXT) | instid1(VALU_DEP_2)
	v_sub_f32_e32 v91, v91, v92
	v_fmac_f32_e32 v93, 0x32a5705f, v89
	v_cvt_i32_f32_e32 v92, v92
	s_delay_alu instid0(VALU_DEP_2) | instskip(NEXT) | instid1(VALU_DEP_1)
	v_add_f32_e32 v91, v91, v93
	v_exp_f32_e32 v91, v91
	v_nop
	s_delay_alu instid0(TRANS32_DEP_1) | instskip(NEXT) | instid1(VALU_DEP_1)
	v_ldexp_f32 v91, v91, v92
	v_cndmask_b32_e32 v91, 0, v91, vcc_lo
	v_cmp_nlt_f32_e32 vcc_lo, 0x42b17218, v89
	s_delay_alu instid0(VALU_DEP_2) | instskip(NEXT) | instid1(VALU_DEP_1)
	v_cndmask_b32_e32 v89, 0x7f800000, v91, vcc_lo
	v_add_f32_e32 v89, 1.0, v89
	s_delay_alu instid0(VALU_DEP_1) | instskip(SKIP_1) | instid1(TRANS32_DEP_1)
	v_rcp_f32_e32 v89, v89
	v_nop
	v_fma_f32 v89, v89, -2.0, 1.0
	s_and_not1_saveexec_b32 s25, s25
	s_cbranch_execz .LBB72_17
.LBB72_20:                              ;   in Loop: Header=BB72_8 Depth=1
	v_mul_f32_e32 v89, v90, v90
	s_delay_alu instid0(VALU_DEP_1) | instskip(NEXT) | instid1(VALU_DEP_1)
	v_fmaak_f32 v91, s24, v89, 0x3ca908c9
	v_fmaak_f32 v91, v89, v91, 0xbd5c1c4e
	s_delay_alu instid0(VALU_DEP_1) | instskip(NEXT) | instid1(VALU_DEP_1)
	v_fmaak_f32 v91, v89, v91, 0x3e088382
	v_fmaak_f32 v91, v89, v91, 0xbeaaaa99
	s_delay_alu instid0(VALU_DEP_1) | instskip(NEXT) | instid1(VALU_DEP_1)
	v_mul_f32_e64 v91, |v90|, v91
	v_fma_f32 v89, v89, v91, |v90|
	s_or_b32 exec_lo, exec_lo, s25
	s_delay_alu instid0(SALU_CYCLE_1)
	s_and_not1_b32 vcc_lo, exec_lo, s10
	s_cbranch_vccz .LBB72_18
.LBB72_21:                              ;   in Loop: Header=BB72_8 Depth=1
	v_mov_b32_e32 v3, 0
.LBB72_22:                              ;   in Loop: Header=BB72_8 Depth=1
	v_bfi_b32 v89, 0x7fffffff, v89, v90
	s_wait_dscnt 0x0
	v_max_num_f32_e32 v88, v88, v88
	v_max_num_f32_e32 v20, v20, v20
	s_mul_u64 s[40:41], s[26:27], s[14:15]
	v_fmac_f32_e32 v3, s11, v89
	s_delay_alu instid0(VALU_DEP_2) | instskip(SKIP_2) | instid1(VALU_DEP_2)
	v_dual_max_num_f32 v89, v1, v1 :: v_dual_max_num_f32 v20, v20, v88
	s_lshl_b64 s[40:41], s[40:41], 2
	s_barrier_signal -1
	v_add_f32_e32 v88, 0x40051340, v3
	s_add_nc_u64 s[40:41], s[34:35], s[40:41]
	s_barrier_wait -1
	s_delay_alu instid0(VALU_DEP_1)
	v_max_num_f32_e32 v88, v89, v88
	v_dual_sub_f32 v2, v2, v20 :: v_dual_sub_f32 v0, v0, v20
	ds_bpermute_b32 v10, v10, v88
	v_cmp_ngt_f32_e32 vcc_lo, 0xc2ce8ed0, v0
	s_wait_dscnt 0x0
	v_max_num_f32_e32 v10, v10, v10
	s_delay_alu instid0(VALU_DEP_1) | instskip(SKIP_3) | instid1(VALU_DEP_1)
	v_max_num_f32_e32 v10, v88, v10
	ds_bpermute_b32 v11, v11, v10
	s_wait_dscnt 0x0
	v_max_num_f32_e32 v11, v11, v11
	v_max_num_f32_e32 v10, v10, v11
	ds_bpermute_b32 v11, v21, v10
	s_wait_dscnt 0x0
	v_max_num_f32_e32 v11, v11, v11
	s_delay_alu instid0(VALU_DEP_1) | instskip(SKIP_3) | instid1(VALU_DEP_1)
	v_max_num_f32_e32 v10, v10, v11
	ds_bpermute_b32 v11, v86, v10
	s_wait_dscnt 0x0
	v_max_num_f32_e32 v11, v11, v11
	v_max_num_f32_e32 v10, v10, v11
	ds_bpermute_b32 v11, v87, v10
	s_wait_dscnt 0x0
	v_max_num_f32_e32 v11, v11, v11
	s_delay_alu instid0(VALU_DEP_1) | instskip(NEXT) | instid1(VALU_DEP_1)
	v_dual_max_num_f32 v21, v10, v11 :: v_dual_mul_f32 v10, 0x3fb8aa3b, v0
	v_sub_f32_e32 v1, v1, v21
	s_delay_alu instid0(VALU_DEP_2) | instskip(SKIP_2) | instid1(VALU_DEP_2)
	v_fma_f32 v11, 0x3fb8aa3b, v0, -v10
	v_rndne_f32_e32 v86, v10
	v_sub_f32_e32 v3, v3, v21
	v_dual_fmac_f32 v11, 0x32a5705f, v0 :: v_dual_sub_f32 v10, v10, v86
	s_delay_alu instid0(VALU_DEP_1) | instskip(SKIP_1) | instid1(VALU_DEP_2)
	v_add_f32_e32 v10, v10, v11
	v_cvt_i32_f32_e32 v11, v86
	v_exp_f32_e32 v10, v10
	v_nop
	s_delay_alu instid0(TRANS32_DEP_1) | instskip(NEXT) | instid1(VALU_DEP_1)
	v_ldexp_f32 v10, v10, v11
	v_cndmask_b32_e32 v10, 0, v10, vcc_lo
	v_cmp_nlt_f32_e32 vcc_lo, 0x42b17218, v0
	s_delay_alu instid0(VALU_DEP_2) | instskip(SKIP_2) | instid1(VALU_DEP_2)
	v_cndmask_b32_e32 v0, 0x7f800000, v10, vcc_lo
	v_mul_f32_e32 v10, 0x3fb8aa3b, v2
	v_cmp_ngt_f32_e32 vcc_lo, 0xc2ce8ed0, v2
	v_fma_f32 v11, 0x3fb8aa3b, v2, -v10
	v_rndne_f32_e32 v86, v10
	s_delay_alu instid0(VALU_DEP_2) | instskip(NEXT) | instid1(VALU_DEP_2)
	v_fmac_f32_e32 v11, 0x32a5705f, v2
	v_sub_f32_e32 v10, v10, v86
	s_delay_alu instid0(VALU_DEP_1) | instskip(SKIP_1) | instid1(VALU_DEP_2)
	v_add_f32_e32 v10, v10, v11
	v_cvt_i32_f32_e32 v11, v86
	v_exp_f32_e32 v10, v10
	v_nop
	s_delay_alu instid0(TRANS32_DEP_1) | instskip(NEXT) | instid1(VALU_DEP_1)
	v_ldexp_f32 v10, v10, v11
	v_cndmask_b32_e32 v10, 0, v10, vcc_lo
	v_cmp_nlt_f32_e32 vcc_lo, 0x42b17218, v2
	s_delay_alu instid0(VALU_DEP_2) | instskip(SKIP_2) | instid1(VALU_DEP_2)
	v_cndmask_b32_e32 v2, 0x7f800000, v10, vcc_lo
	v_cvt_f16_f32_e32 v10, v0
	v_cmp_ngt_f32_e32 vcc_lo, 0xc2ce8ed0, v1
	v_and_b32_e32 v10, 0xffff, v10
	s_delay_alu instid0(VALU_DEP_1) | instskip(NEXT) | instid1(VALU_DEP_1)
	v_mul_u32_u24_e32 v89, 0x10001, v10
	v_pk_mul_f16 v86, v7, v89
	v_mul_f32_e32 v7, 0x3fb8aa3b, v1
	v_pk_mul_f16 v88, v9, v89
	v_pk_mul_f16 v87, v8, v89
	s_delay_alu instid0(VALU_DEP_3) | instskip(SKIP_1) | instid1(VALU_DEP_2)
	v_fma_f32 v8, 0x3fb8aa3b, v1, -v7
	v_rndne_f32_e32 v9, v7
	v_fmac_f32_e32 v8, 0x32a5705f, v1
	s_delay_alu instid0(VALU_DEP_2) | instskip(NEXT) | instid1(VALU_DEP_1)
	v_sub_f32_e32 v7, v7, v9
	v_add_f32_e32 v7, v7, v8
	v_cvt_i32_f32_e32 v8, v9
	s_delay_alu instid0(VALU_DEP_2) | instskip(SKIP_1) | instid1(TRANS32_DEP_1)
	v_exp_f32_e32 v7, v7
	v_nop
	v_ldexp_f32 v7, v7, v8
	s_delay_alu instid0(VALU_DEP_1) | instskip(SKIP_1) | instid1(VALU_DEP_2)
	v_cndmask_b32_e32 v7, 0, v7, vcc_lo
	v_cmp_nlt_f32_e32 vcc_lo, 0x42b17218, v1
	v_cndmask_b32_e32 v1, 0x7f800000, v7, vcc_lo
	v_mul_f32_e32 v7, 0x3fb8aa3b, v3
	v_cmp_ngt_f32_e32 vcc_lo, 0xc2ce8ed0, v3
	s_delay_alu instid0(VALU_DEP_2) | instskip(SKIP_1) | instid1(VALU_DEP_1)
	v_fma_f32 v8, 0x3fb8aa3b, v3, -v7
	v_rndne_f32_e32 v9, v7
	v_dual_fmac_f32 v8, 0x32a5705f, v3 :: v_dual_sub_f32 v7, v7, v9
	s_delay_alu instid0(VALU_DEP_1) | instskip(SKIP_1) | instid1(VALU_DEP_2)
	v_add_f32_e32 v7, v7, v8
	v_cvt_i32_f32_e32 v8, v9
	v_exp_f32_e32 v7, v7
	v_nop
	s_delay_alu instid0(TRANS32_DEP_1) | instskip(NEXT) | instid1(VALU_DEP_1)
	v_ldexp_f32 v7, v7, v8
	v_cndmask_b32_e32 v7, 0, v7, vcc_lo
	v_cmp_nlt_f32_e32 vcc_lo, 0x42b17218, v3
	s_delay_alu instid0(VALU_DEP_2) | instskip(NEXT) | instid1(VALU_DEP_1)
	v_cndmask_b32_e32 v3, 0x7f800000, v7, vcc_lo
	v_pk_fma_f32 v[12:13], v[12:13], v[0:1], v[2:3]
	v_cvt_f16_f32_e32 v0, v1
	v_cvt_pk_f16_f32 v1, v2, v3
	v_lshl_add_u64 v[2:3], v[26:27], 2, s[40:41]
	s_delay_alu instid0(VALU_DEP_3) | instskip(NEXT) | instid1(VALU_DEP_1)
	v_and_b32_e32 v0, 0xffff, v0
	v_mul_u32_u24_e32 v93, 0x10001, v0
	v_add_nc_u32_e32 v0, v68, v55
	s_delay_alu instid0(VALU_DEP_2)
	v_pk_mul_f16 v91, v5, v93
	v_pk_mul_f16 v90, v4, v93
	v_add_nc_u64_e32 v[4:5], v[2:3], v[14:15]
	v_lshl_add_u64 v[2:3], v[30:31], 2, s[40:41]
	v_pk_mul_f16 v92, v6, v93
	ds_store_b32 v0, v1
	v_lshl_add_u64 v[0:1], v[16:17], 2, s[40:41]
	v_add_nc_u64_e32 v[6:7], v[2:3], v[14:15]
	v_lshl_add_u64 v[2:3], v[34:35], 2, s[40:41]
	s_delay_alu instid0(VALU_DEP_3) | instskip(NEXT) | instid1(VALU_DEP_2)
	v_add_nc_u64_e32 v[0:1], v[0:1], v[14:15]
	v_add_nc_u64_e32 v[8:9], v[2:3], v[14:15]
	v_lshl_add_u64 v[2:3], v[38:39], 2, s[40:41]
	s_delay_alu instid0(VALU_DEP_1) | instskip(SKIP_1) | instid1(VALU_DEP_1)
	v_add_nc_u64_e32 v[10:11], v[2:3], v[14:15]
	v_lshl_add_u64 v[2:3], v[42:43], 2, s[40:41]
	v_add_nc_u64_e32 v[94:95], v[2:3], v[14:15]
	v_lshl_add_u64 v[2:3], v[46:47], 2, s[40:41]
	s_delay_alu instid0(VALU_DEP_1) | instskip(SKIP_1) | instid1(VALU_DEP_1)
	v_add_nc_u64_e32 v[96:97], v[2:3], v[14:15]
	v_lshl_add_u64 v[2:3], v[50:51], 2, s[40:41]
	v_add_nc_u64_e32 v[98:99], v[2:3], v[14:15]
	global_load_b128 v[0:3], v[0:1], off
	s_wait_loadcnt 0x0
	ds_store_b128 v69, v[0:3]
	global_load_b128 v[0:3], v[4:5], off
	s_wait_loadcnt 0x0
	ds_store_b128 v78, v[0:3]
	;; [unrolled: 3-line block ×8, first 2 shown]
	s_wait_dscnt 0x0
	s_barrier_signal -1
	s_barrier_wait -1
	ds_load_2addr_b64 v[94:97], v59 offset1:32
	ds_load_b128 v[98:101], v68
	ds_load_b128 v[8:11], v68 offset:16
	ds_load_b128 v[4:7], v68 offset:32
	;; [unrolled: 1-line block ×3, first 2 shown]
	s_wait_dscnt 0x3
	v_lshrrev_b32_e32 v102, 16, v98
	v_and_b32_e32 v98, 0xffff, v98
	s_delay_alu instid0(VALU_DEP_2) | instskip(NEXT) | instid1(VALU_DEP_2)
	v_mul_u32_u24_e32 v102, 0x10001, v102
	v_mul_u32_u24_e32 v98, 0x10001, v98
	s_delay_alu instid0(VALU_DEP_2) | instskip(NEXT) | instid1(VALU_DEP_2)
	v_pk_fma_f16 v92, v95, v102, v92
	v_pk_mul_f16 v103, v94, v98
	v_pk_fma_f16 v91, v96, v102, v91
	v_pk_fma_f16 v90, v97, v102, v90
	s_delay_alu instid0(VALU_DEP_3) | instskip(SKIP_3) | instid1(VALU_DEP_3)
	v_pk_fma_f16 v64, v64, v89, v103
	v_pk_mul_f16 v89, v94, v102
	v_pk_fma_f16 v94, v96, v98, v87
	v_lshrrev_b32_e32 v96, 16, v99
	v_pk_fma_f16 v63, v63, v93, v89
	v_pk_fma_f16 v93, v95, v98, v88
	;; [unrolled: 1-line block ×3, first 2 shown]
	ds_load_2addr_b64 v[86:89], v59 offset0:64 offset1:96
	v_and_b32_e32 v97, 0xffff, v99
	v_mul_u32_u24_e32 v96, 0x10001, v96
	s_delay_alu instid0(VALU_DEP_2) | instskip(SKIP_1) | instid1(VALU_DEP_1)
	v_mul_u32_u24_e32 v97, 0x10001, v97
	s_wait_dscnt 0x0
	v_pk_fma_f16 v64, v86, v97, v64
	s_delay_alu instid0(VALU_DEP_3)
	v_pk_fma_f16 v63, v86, v96, v63
	v_pk_fma_f16 v93, v87, v97, v93
	;; [unrolled: 1-line block ×7, first 2 shown]
	ds_load_2addr_b64 v[86:89], v59 offset0:128 offset1:160
	v_lshrrev_b32_e32 v96, 16, v100
	v_and_b32_e32 v97, 0xffff, v100
	s_delay_alu instid0(VALU_DEP_2) | instskip(NEXT) | instid1(VALU_DEP_2)
	v_mul_u32_u24_e32 v96, 0x10001, v96
	v_mul_u32_u24_e32 v97, 0x10001, v97
	s_wait_dscnt 0x0
	s_delay_alu instid0(VALU_DEP_1) | instskip(NEXT) | instid1(VALU_DEP_3)
	v_pk_fma_f16 v64, v86, v97, v64
	v_pk_fma_f16 v63, v86, v96, v63
	;; [unrolled: 1-line block ×8, first 2 shown]
	ds_load_2addr_b64 v[86:89], v59 offset0:192 offset1:224
	v_lshrrev_b32_e32 v96, 16, v101
	v_and_b32_e32 v97, 0xffff, v101
	s_delay_alu instid0(VALU_DEP_2) | instskip(NEXT) | instid1(VALU_DEP_2)
	v_mul_u32_u24_e32 v96, 0x10001, v96
	v_mul_u32_u24_e32 v97, 0x10001, v97
	s_wait_dscnt 0x0
	s_delay_alu instid0(VALU_DEP_2)
	v_pk_fma_f16 v63, v86, v96, v63
	v_pk_fma_f16 v92, v87, v96, v92
	;; [unrolled: 1-line block ×4, first 2 shown]
	v_add_nc_u32_e32 v96, 0x800, v59
	v_pk_fma_f16 v64, v86, v97, v64
	v_pk_fma_f16 v93, v87, v97, v93
	v_pk_fma_f16 v94, v88, v97, v94
	v_pk_fma_f16 v95, v89, v97, v95
	ds_load_2addr_b64 v[86:89], v96 offset1:32
	v_lshrrev_b32_e32 v97, 16, v8
	v_and_b32_e32 v8, 0xffff, v8
	s_delay_alu instid0(VALU_DEP_2) | instskip(NEXT) | instid1(VALU_DEP_2)
	v_mul_u32_u24_e32 v97, 0x10001, v97
	v_mul_u32_u24_e32 v8, 0x10001, v8
	s_wait_dscnt 0x0
	s_delay_alu instid0(VALU_DEP_1) | instskip(NEXT) | instid1(VALU_DEP_3)
	v_pk_fma_f16 v64, v86, v8, v64
	v_pk_fma_f16 v63, v86, v97, v63
	;; [unrolled: 1-line block ×8, first 2 shown]
	ds_load_2addr_b64 v[86:89], v96 offset0:64 offset1:96
	v_lshrrev_b32_e32 v95, 16, v9
	v_and_b32_e32 v9, 0xffff, v9
	s_delay_alu instid0(VALU_DEP_2) | instskip(NEXT) | instid1(VALU_DEP_2)
	v_mul_u32_u24_e32 v95, 0x10001, v95
	v_mul_u32_u24_e32 v9, 0x10001, v9
	s_wait_dscnt 0x0
	s_delay_alu instid0(VALU_DEP_1) | instskip(NEXT) | instid1(VALU_DEP_3)
	v_pk_fma_f16 v64, v86, v9, v64
	v_pk_fma_f16 v63, v86, v95, v63
	v_pk_fma_f16 v93, v87, v9, v93
	v_pk_fma_f16 v92, v87, v95, v92
	v_pk_fma_f16 v94, v88, v9, v94
	v_pk_fma_f16 v91, v88, v95, v91
	v_pk_fma_f16 v8, v89, v9, v8
	v_pk_fma_f16 v9, v89, v95, v90
	ds_load_2addr_b64 v[86:89], v96 offset0:128 offset1:160
	v_lshrrev_b32_e32 v90, 16, v10
	v_and_b32_e32 v10, 0xffff, v10
	s_delay_alu instid0(VALU_DEP_1) | instskip(SKIP_1) | instid1(VALU_DEP_1)
	v_mul_u32_u24_e32 v10, 0x10001, v10
	s_wait_dscnt 0x0
	v_pk_fma_f16 v64, v86, v10, v64
	v_pk_fma_f16 v93, v87, v10, v93
	v_pk_fma_f16 v94, v88, v10, v94
	v_pk_fma_f16 v8, v89, v10, v8
	v_lshrrev_b32_e32 v10, 16, v11
	v_mul_u32_u24_e32 v90, 0x10001, v90
	v_and_b32_e32 v11, 0xffff, v11
	s_delay_alu instid0(VALU_DEP_3) | instskip(NEXT) | instid1(VALU_DEP_3)
	v_mul_u32_u24_e32 v10, 0x10001, v10
	v_pk_fma_f16 v63, v86, v90, v63
	v_pk_fma_f16 v92, v87, v90, v92
	;; [unrolled: 1-line block ×4, first 2 shown]
	ds_load_2addr_b64 v[86:89], v96 offset0:192 offset1:224
	v_mul_u32_u24_e32 v11, 0x10001, v11
	s_wait_dscnt 0x0
	s_delay_alu instid0(VALU_DEP_1)
	v_pk_fma_f16 v64, v86, v11, v64
	v_pk_fma_f16 v63, v86, v10, v63
	;; [unrolled: 1-line block ×4, first 2 shown]
	v_add_nc_u32_e32 v92, 0x1000, v59
	v_pk_fma_f16 v90, v88, v11, v94
	v_pk_fma_f16 v88, v88, v10, v91
	;; [unrolled: 1-line block ×4, first 2 shown]
	ds_load_2addr_b64 v[8:11], v92 offset1:32
	v_lshrrev_b32_e32 v93, 16, v4
	v_and_b32_e32 v4, 0xffff, v4
	s_delay_alu instid0(VALU_DEP_1) | instskip(SKIP_1) | instid1(VALU_DEP_1)
	v_mul_u32_u24_e32 v4, 0x10001, v4
	s_wait_dscnt 0x0
	v_pk_fma_f16 v64, v8, v4, v64
	v_pk_fma_f16 v86, v9, v4, v86
	v_pk_fma_f16 v90, v10, v4, v90
	v_pk_fma_f16 v4, v11, v4, v91
	v_lshrrev_b32_e32 v91, 16, v5
	v_mul_u32_u24_e32 v93, 0x10001, v93
	v_and_b32_e32 v5, 0xffff, v5
	s_delay_alu instid0(VALU_DEP_3) | instskip(NEXT) | instid1(VALU_DEP_3)
	v_mul_u32_u24_e32 v91, 0x10001, v91
	v_pk_fma_f16 v63, v8, v93, v63
	v_pk_fma_f16 v87, v9, v93, v87
	;; [unrolled: 1-line block ×4, first 2 shown]
	ds_load_2addr_b64 v[8:11], v92 offset0:64 offset1:96
	v_mul_u32_u24_e32 v5, 0x10001, v5
	s_wait_dscnt 0x0
	s_delay_alu instid0(VALU_DEP_1)
	v_pk_fma_f16 v64, v8, v5, v64
	v_pk_fma_f16 v63, v8, v91, v63
	;; [unrolled: 1-line block ×8, first 2 shown]
	ds_load_2addr_b64 v[8:11], v92 offset0:128 offset1:160
	v_lshrrev_b32_e32 v89, 16, v6
	v_and_b32_e32 v6, 0xffff, v6
	s_delay_alu instid0(VALU_DEP_1) | instskip(SKIP_1) | instid1(VALU_DEP_1)
	v_mul_u32_u24_e32 v6, 0x10001, v6
	s_wait_dscnt 0x0
	v_pk_fma_f16 v64, v8, v6, v64
	v_pk_fma_f16 v86, v9, v6, v86
	;; [unrolled: 1-line block ×4, first 2 shown]
	v_lshrrev_b32_e32 v6, 16, v7
	v_mul_u32_u24_e32 v89, 0x10001, v89
	v_and_b32_e32 v7, 0xffff, v7
	s_delay_alu instid0(VALU_DEP_3) | instskip(NEXT) | instid1(VALU_DEP_3)
	v_mul_u32_u24_e32 v6, 0x10001, v6
	v_pk_fma_f16 v63, v8, v89, v63
	v_pk_fma_f16 v87, v9, v89, v87
	;; [unrolled: 1-line block ×4, first 2 shown]
	ds_load_2addr_b64 v[8:11], v92 offset0:192 offset1:224
	v_mul_u32_u24_e32 v7, 0x10001, v7
	v_lshrrev_b32_e32 v89, 16, v0
	v_and_b32_e32 v0, 0xffff, v0
	s_delay_alu instid0(VALU_DEP_1)
	v_mul_u32_u24_e32 v0, 0x10001, v0
	s_wait_dscnt 0x0
	v_pk_fma_f16 v64, v8, v7, v64
	v_pk_fma_f16 v8, v8, v6, v63
	;; [unrolled: 1-line block ×5, first 2 shown]
	v_add_nc_u32_e32 v88, 0x1800, v59
	v_pk_fma_f16 v9, v9, v6, v87
	v_pk_fma_f16 v87, v11, v7, v4
	;; [unrolled: 1-line block ×3, first 2 shown]
	ds_load_2addr_b64 v[4:7], v88 offset1:32
	s_wait_dscnt 0x0
	v_pk_fma_f16 v64, v4, v0, v64
	v_pk_fma_f16 v63, v5, v0, v63
	;; [unrolled: 1-line block ×4, first 2 shown]
	v_lshrrev_b32_e32 v87, 16, v1
	v_mul_u32_u24_e32 v89, 0x10001, v89
	v_and_b32_e32 v1, 0xffff, v1
	s_delay_alu instid0(VALU_DEP_3) | instskip(NEXT) | instid1(VALU_DEP_3)
	v_mul_u32_u24_e32 v87, 0x10001, v87
	v_pk_fma_f16 v8, v4, v89, v8
	v_pk_fma_f16 v9, v5, v89, v9
	;; [unrolled: 1-line block ×4, first 2 shown]
	ds_load_2addr_b64 v[4:7], v88 offset0:64 offset1:96
	v_mul_u32_u24_e32 v1, 0x10001, v1
	s_wait_dscnt 0x0
	s_delay_alu instid0(VALU_DEP_1)
	v_pk_fma_f16 v64, v4, v1, v64
	v_pk_fma_f16 v8, v4, v87, v8
	v_pk_fma_f16 v63, v5, v1, v63
	v_pk_fma_f16 v9, v5, v87, v9
	v_pk_fma_f16 v86, v6, v1, v86
	v_pk_fma_f16 v10, v6, v87, v10
	v_pk_fma_f16 v0, v7, v1, v0
	v_pk_fma_f16 v1, v7, v87, v11
	ds_load_2addr_b64 v[4:7], v88 offset0:128 offset1:160
	v_lshrrev_b32_e32 v11, 16, v2
	v_and_b32_e32 v2, 0xffff, v2
	s_delay_alu instid0(VALU_DEP_1) | instskip(SKIP_1) | instid1(VALU_DEP_1)
	v_mul_u32_u24_e32 v2, 0x10001, v2
	s_wait_dscnt 0x0
	v_pk_fma_f16 v64, v4, v2, v64
	v_pk_fma_f16 v63, v5, v2, v63
	;; [unrolled: 1-line block ×4, first 2 shown]
	v_lshrrev_b32_e32 v2, 16, v3
	v_mul_u32_u24_e32 v11, 0x10001, v11
	v_and_b32_e32 v3, 0xffff, v3
	s_delay_alu instid0(VALU_DEP_3) | instskip(NEXT) | instid1(VALU_DEP_3)
	v_mul_u32_u24_e32 v2, 0x10001, v2
	v_pk_fma_f16 v8, v4, v11, v8
	v_pk_fma_f16 v9, v5, v11, v9
	;; [unrolled: 1-line block ×4, first 2 shown]
	ds_load_2addr_b64 v[4:7], v88 offset0:192 offset1:224
	v_mul_u32_u24_e32 v3, 0x10001, v3
	v_add_nc_u32_e32 v88, 0x2000, v59
	s_wait_dscnt 0x0
	s_delay_alu instid0(VALU_DEP_2)
	v_pk_fma_f16 v11, v4, v3, v64
	v_pk_fma_f16 v8, v4, v2, v8
	v_pk_fma_f16 v63, v5, v3, v63
	v_pk_fma_f16 v9, v5, v2, v9
	v_pk_fma_f16 v64, v6, v3, v86
	v_pk_fma_f16 v10, v6, v2, v10
	v_pk_fma_f16 v86, v7, v3, v0
	v_pk_fma_f16 v87, v7, v2, v1
	ds_load_2addr_b64 v[0:3], v88 offset1:32
	ds_load_b128 v[4:7], v68 offset:64
	s_wait_dscnt 0x0
	v_lshrrev_b32_e32 v89, 16, v4
	v_and_b32_e32 v4, 0xffff, v4
	s_delay_alu instid0(VALU_DEP_2) | instskip(NEXT) | instid1(VALU_DEP_2)
	v_mul_u32_u24_e32 v89, 0x10001, v89
	v_mul_u32_u24_e32 v4, 0x10001, v4
	s_delay_alu instid0(VALU_DEP_2) | instskip(NEXT) | instid1(VALU_DEP_2)
	v_pk_fma_f16 v8, v0, v89, v8
	v_pk_fma_f16 v11, v0, v4, v11
	;; [unrolled: 1-line block ×8, first 2 shown]
	ds_load_2addr_b64 v[0:3], v88 offset0:64 offset1:96
	v_lshrrev_b32_e32 v87, 16, v5
	v_and_b32_e32 v5, 0xffff, v5
	s_delay_alu instid0(VALU_DEP_2) | instskip(NEXT) | instid1(VALU_DEP_2)
	v_mul_u32_u24_e32 v87, 0x10001, v87
	v_mul_u32_u24_e32 v5, 0x10001, v5
	s_wait_dscnt 0x0
	s_delay_alu instid0(VALU_DEP_1) | instskip(NEXT) | instid1(VALU_DEP_3)
	v_pk_fma_f16 v11, v0, v5, v11
	v_pk_fma_f16 v8, v0, v87, v8
	;; [unrolled: 1-line block ×8, first 2 shown]
	ds_load_2addr_b64 v[0:3], v88 offset0:128 offset1:160
	v_lshrrev_b32_e32 v86, 16, v6
	v_and_b32_e32 v6, 0xffff, v6
	s_delay_alu instid0(VALU_DEP_1) | instskip(SKIP_1) | instid1(VALU_DEP_1)
	v_mul_u32_u24_e32 v6, 0x10001, v6
	s_wait_dscnt 0x0
	v_pk_fma_f16 v11, v0, v6, v11
	v_pk_fma_f16 v63, v1, v6, v63
	;; [unrolled: 1-line block ×4, first 2 shown]
	v_lshrrev_b32_e32 v6, 16, v7
	v_mul_u32_u24_e32 v86, 0x10001, v86
	v_and_b32_e32 v7, 0xffff, v7
	s_delay_alu instid0(VALU_DEP_3) | instskip(NEXT) | instid1(VALU_DEP_3)
	v_mul_u32_u24_e32 v6, 0x10001, v6
	v_pk_fma_f16 v8, v0, v86, v8
	v_pk_fma_f16 v9, v1, v86, v9
	v_pk_fma_f16 v10, v2, v86, v10
	v_pk_fma_f16 v5, v3, v86, v5
	ds_load_2addr_b64 v[0:3], v88 offset0:192 offset1:224
	v_mul_u32_u24_e32 v7, 0x10001, v7
	v_add_nc_u32_e32 v88, 0x2800, v59
	s_wait_dscnt 0x0
	s_delay_alu instid0(VALU_DEP_2)
	v_pk_fma_f16 v11, v0, v7, v11
	v_pk_fma_f16 v8, v0, v6, v8
	;; [unrolled: 1-line block ×8, first 2 shown]
	ds_load_2addr_b64 v[0:3], v88 offset1:32
	ds_load_b128 v[4:7], v68 offset:80
	s_wait_dscnt 0x0
	v_lshrrev_b32_e32 v89, 16, v4
	v_and_b32_e32 v4, 0xffff, v4
	s_delay_alu instid0(VALU_DEP_2) | instskip(NEXT) | instid1(VALU_DEP_2)
	v_mul_u32_u24_e32 v89, 0x10001, v89
	v_mul_u32_u24_e32 v4, 0x10001, v4
	s_delay_alu instid0(VALU_DEP_2) | instskip(NEXT) | instid1(VALU_DEP_2)
	v_pk_fma_f16 v8, v0, v89, v8
	v_pk_fma_f16 v11, v0, v4, v11
	;; [unrolled: 1-line block ×8, first 2 shown]
	ds_load_2addr_b64 v[0:3], v88 offset0:64 offset1:96
	v_lshrrev_b32_e32 v87, 16, v5
	v_and_b32_e32 v5, 0xffff, v5
	s_delay_alu instid0(VALU_DEP_2) | instskip(NEXT) | instid1(VALU_DEP_2)
	v_mul_u32_u24_e32 v87, 0x10001, v87
	v_mul_u32_u24_e32 v5, 0x10001, v5
	s_wait_dscnt 0x0
	s_delay_alu instid0(VALU_DEP_1) | instskip(NEXT) | instid1(VALU_DEP_3)
	v_pk_fma_f16 v11, v0, v5, v11
	v_pk_fma_f16 v8, v0, v87, v8
	;; [unrolled: 1-line block ×8, first 2 shown]
	ds_load_2addr_b64 v[0:3], v88 offset0:128 offset1:160
	v_lshrrev_b32_e32 v86, 16, v6
	v_and_b32_e32 v6, 0xffff, v6
	s_delay_alu instid0(VALU_DEP_1) | instskip(SKIP_1) | instid1(VALU_DEP_1)
	v_mul_u32_u24_e32 v6, 0x10001, v6
	s_wait_dscnt 0x0
	v_pk_fma_f16 v11, v0, v6, v11
	v_pk_fma_f16 v63, v1, v6, v63
	;; [unrolled: 1-line block ×4, first 2 shown]
	v_lshrrev_b32_e32 v6, 16, v7
	v_mul_u32_u24_e32 v86, 0x10001, v86
	v_and_b32_e32 v7, 0xffff, v7
	s_delay_alu instid0(VALU_DEP_3) | instskip(NEXT) | instid1(VALU_DEP_3)
	v_mul_u32_u24_e32 v6, 0x10001, v6
	v_pk_fma_f16 v8, v0, v86, v8
	v_pk_fma_f16 v9, v1, v86, v9
	;; [unrolled: 1-line block ×4, first 2 shown]
	ds_load_2addr_b64 v[0:3], v88 offset0:192 offset1:224
	v_mul_u32_u24_e32 v7, 0x10001, v7
	v_add_nc_u32_e32 v88, 0x3000, v59
	s_wait_dscnt 0x0
	s_delay_alu instid0(VALU_DEP_2)
	v_pk_fma_f16 v11, v0, v7, v11
	v_pk_fma_f16 v8, v0, v6, v8
	;; [unrolled: 1-line block ×8, first 2 shown]
	ds_load_2addr_b64 v[0:3], v88 offset1:32
	ds_load_b128 v[4:7], v68 offset:96
	s_wait_dscnt 0x0
	v_lshrrev_b32_e32 v89, 16, v4
	v_and_b32_e32 v4, 0xffff, v4
	s_delay_alu instid0(VALU_DEP_2) | instskip(NEXT) | instid1(VALU_DEP_2)
	v_mul_u32_u24_e32 v89, 0x10001, v89
	v_mul_u32_u24_e32 v4, 0x10001, v4
	s_delay_alu instid0(VALU_DEP_2) | instskip(NEXT) | instid1(VALU_DEP_2)
	v_pk_fma_f16 v8, v0, v89, v8
	v_pk_fma_f16 v11, v0, v4, v11
	;; [unrolled: 1-line block ×8, first 2 shown]
	ds_load_2addr_b64 v[0:3], v88 offset0:64 offset1:96
	v_lshrrev_b32_e32 v87, 16, v5
	v_and_b32_e32 v5, 0xffff, v5
	s_delay_alu instid0(VALU_DEP_2) | instskip(NEXT) | instid1(VALU_DEP_2)
	v_mul_u32_u24_e32 v87, 0x10001, v87
	v_mul_u32_u24_e32 v5, 0x10001, v5
	s_wait_dscnt 0x0
	s_delay_alu instid0(VALU_DEP_1) | instskip(NEXT) | instid1(VALU_DEP_3)
	v_pk_fma_f16 v11, v0, v5, v11
	v_pk_fma_f16 v8, v0, v87, v8
	;; [unrolled: 1-line block ×8, first 2 shown]
	ds_load_2addr_b64 v[0:3], v88 offset0:128 offset1:160
	v_lshrrev_b32_e32 v86, 16, v6
	v_and_b32_e32 v6, 0xffff, v6
	s_delay_alu instid0(VALU_DEP_1) | instskip(SKIP_1) | instid1(VALU_DEP_1)
	v_mul_u32_u24_e32 v6, 0x10001, v6
	s_wait_dscnt 0x0
	v_pk_fma_f16 v11, v0, v6, v11
	v_pk_fma_f16 v63, v1, v6, v63
	;; [unrolled: 1-line block ×4, first 2 shown]
	v_lshrrev_b32_e32 v6, 16, v7
	v_mul_u32_u24_e32 v86, 0x10001, v86
	v_and_b32_e32 v7, 0xffff, v7
	s_delay_alu instid0(VALU_DEP_3) | instskip(NEXT) | instid1(VALU_DEP_3)
	v_mul_u32_u24_e32 v6, 0x10001, v6
	v_pk_fma_f16 v8, v0, v86, v8
	v_pk_fma_f16 v87, v1, v86, v9
	v_pk_fma_f16 v89, v2, v86, v10
	v_pk_fma_f16 v5, v3, v86, v5
	ds_load_2addr_b64 v[0:3], v88 offset0:192 offset1:224
	v_mul_u32_u24_e32 v7, 0x10001, v7
	s_wait_dscnt 0x0
	v_pk_fma_f16 v10, v0, v6, v8
	v_add_nc_u32_e32 v8, 0x3800, v59
	s_delay_alu instid0(VALU_DEP_3)
	v_pk_fma_f16 v9, v0, v7, v11
	v_pk_fma_f16 v11, v1, v7, v63
	;; [unrolled: 1-line block ×7, first 2 shown]
	ds_load_2addr_b64 v[0:3], v8 offset1:32
	ds_load_b128 v[4:7], v68 offset:112
	s_wait_dscnt 0x0
	v_lshrrev_b32_e32 v89, 16, v4
	v_and_b32_e32 v4, 0xffff, v4
	s_delay_alu instid0(VALU_DEP_2) | instskip(NEXT) | instid1(VALU_DEP_2)
	v_mul_u32_u24_e32 v89, 0x10001, v89
	v_mul_u32_u24_e32 v4, 0x10001, v4
	s_delay_alu instid0(VALU_DEP_2) | instskip(NEXT) | instid1(VALU_DEP_2)
	v_pk_fma_f16 v10, v0, v89, v10
	v_pk_fma_f16 v9, v0, v4, v9
	;; [unrolled: 1-line block ×8, first 2 shown]
	ds_load_2addr_b64 v[0:3], v8 offset0:64 offset1:96
	v_lshrrev_b32_e32 v88, 16, v5
	v_and_b32_e32 v5, 0xffff, v5
	s_delay_alu instid0(VALU_DEP_2) | instskip(NEXT) | instid1(VALU_DEP_2)
	v_mul_u32_u24_e32 v88, 0x10001, v88
	v_mul_u32_u24_e32 v5, 0x10001, v5
	s_wait_dscnt 0x0
	s_delay_alu instid0(VALU_DEP_1) | instskip(NEXT) | instid1(VALU_DEP_3)
	v_pk_fma_f16 v9, v0, v5, v9
	v_pk_fma_f16 v10, v0, v88, v10
	;; [unrolled: 1-line block ×8, first 2 shown]
	ds_load_2addr_b64 v[0:3], v8 offset0:128 offset1:160
	v_lshrrev_b32_e32 v87, 16, v6
	v_and_b32_e32 v6, 0xffff, v6
	s_delay_alu instid0(VALU_DEP_2) | instskip(NEXT) | instid1(VALU_DEP_2)
	v_mul_u32_u24_e32 v87, 0x10001, v87
	v_mul_u32_u24_e32 v6, 0x10001, v6
	s_wait_dscnt 0x0
	s_delay_alu instid0(VALU_DEP_1) | instskip(NEXT) | instid1(VALU_DEP_3)
	v_pk_fma_f16 v9, v0, v6, v9
	v_pk_fma_f16 v10, v0, v87, v10
	;; [unrolled: 1-line block ×8, first 2 shown]
	ds_load_2addr_b64 v[0:3], v8 offset0:192 offset1:224
	s_wait_dscnt 0x0
	s_barrier_signal -1
	s_barrier_wait -1
	s_load_b32 s25, s[8:9], 0x4
	v_lshrrev_b32_e32 v5, 16, v7
	v_and_b32_e32 v6, 0xffff, v7
	s_delay_alu instid0(VALU_DEP_2) | instskip(NEXT) | instid1(VALU_DEP_2)
	v_mul_u32_u24_e32 v90, 0x10001, v5
	v_mul_u32_u24_e32 v7, 0x10001, v6
	s_delay_alu instid0(VALU_DEP_1) | instskip(NEXT) | instid1(VALU_DEP_3)
	v_pk_fma_f16 v64, v0, v7, v9
	v_pk_fma_f16 v63, v0, v90, v10
	;; [unrolled: 1-line block ×5, first 2 shown]
	s_wait_kmcnt 0x0
	s_lshl_b32 s25, s25, 5
	v_pk_fma_f16 v5, v2, v90, v86
	v_pk_fma_f16 v7, v3, v7, v4
	;; [unrolled: 1-line block ×3, first 2 shown]
	s_add_co_i32 s26, s25, s26
	s_delay_alu instid0(SALU_CYCLE_1)
	s_cmp_lt_i32 s26, s3
	s_cbranch_scc0 .LBB72_25
; %bb.23:                               ;   in Loop: Header=BB72_8 Depth=1
	v_dual_mov_b32 v0, v20 :: v_dual_mov_b32 v1, v21
	s_branch .LBB72_8
.LBB72_24:
	v_mov_b64_e32 v[20:21], 0xfefffffffeffffff
	v_dual_mov_b32 v64, 0 :: v_dual_mov_b32 v12, 0
	v_dual_mov_b32 v9, 0 :: v_dual_mov_b32 v8, 0
	;; [unrolled: 1-line block ×4, first 2 shown]
	v_mov_b32_e32 v4, 0
.LBB72_25:
	s_cmp_gt_i32 s2, s26
	s_cbranch_scc1 .LBB72_28
; %bb.26:
	v_mbcnt_lo_u32_b32 v0, -1, 0
	v_mov_b32_e32 v30, 32
	s_delay_alu instid0(VALU_DEP_2)
	v_xor_b32_e32 v28, 16, v0
	v_xor_b32_e32 v29, 8, v0
	;; [unrolled: 1-line block ×5, first 2 shown]
	s_cbranch_execz .LBB72_29
; %bb.27:
	v_mov_b32_e32 v58, v0
	s_branch .LBB72_48
.LBB72_28:
                                        ; implicit-def: $vgpr0
                                        ; implicit-def: $vgpr30
                                        ; implicit-def: $vgpr28
                                        ; implicit-def: $vgpr29
                                        ; implicit-def: $vgpr31
                                        ; implicit-def: $vgpr32
                                        ; implicit-def: $vgpr33
.LBB72_29:
	s_ashr_i32 s27, s26, 31
	s_ashr_i32 s5, s4, 31
	s_mov_b32 s40, 0
	s_mul_u64 s[8:9], s[26:27], s[4:5]
	v_dual_mov_b32 v0, 0 :: v_dual_lshlrev_b32 v1, 20, v58
	s_lshl_b64 s[8:9], s[8:9], 2
	s_mov_b32 s41, s40
	s_add_nc_u64 s[24:25], s[6:7], s[8:9]
	s_mov_b32 s42, s40
	v_dual_mov_b32 v15, 0 :: v_dual_mov_b32 v24, s40
	v_lshl_add_u64 v[2:3], v[22:23], 2, s[24:25]
	v_add_nc_u64_e32 v[28:29], src_flat_scratch_base_lo, v[0:1]
	s_sub_co_i32 s15, s2, s26
	v_dual_mov_b32 v25, s41 :: v_dual_mov_b32 v26, s42
	s_delay_alu instid0(VALU_DEP_3)
	v_add_nc_u64_e32 v[0:1], v[2:3], v[14:15]
	v_cmp_gt_i32_e64 s9, s15, v60
	s_clause 0x1
	scratch_store_b32 off, v15, off
	scratch_store_b96 off, v[24:26], off offset:4
	s_lshl_b32 s2, s4, 2
	s_delay_alu instid0(SALU_CYCLE_1) | instskip(SKIP_2) | instid1(VALU_DEP_3)
	v_dual_add_nc_u32 v10, 4, v60 :: v_dual_add_nc_u32 v22, s2, v22
	v_dual_cndmask_b32 v1, v29, v1, s9 :: v_dual_cndmask_b32 v0, v28, v0, s9
	v_mad_u32_u24 v27, 0x210, v60, v14
	v_cmp_gt_i32_e64 s8, s15, v10
	s_delay_alu instid0(VALU_DEP_4)
	v_dual_ashrrev_i32 v23, 31, v22 :: v_dual_add_nc_u32 v11, 8, v60
	flat_load_b128 v[0:3], v[0:1]
	s_clause 0x1
	scratch_store_b32 off, v15, off
	scratch_store_b96 off, v[24:26], off offset:4
	v_add_nc_u32_e32 v35, 12, v60
	v_lshl_add_u64 v[30:31], v[22:23], 2, s[24:25]
	v_cmp_gt_i32_e64 s7, s15, v11
	v_dual_add_nc_u32 v22, s2, v22 :: v_dual_add_nc_u32 v36, 16, v60
	s_delay_alu instid0(VALU_DEP_4) | instskip(NEXT) | instid1(VALU_DEP_4)
	v_cmp_gt_i32_e64 s6, s15, v35
	v_add_nc_u64_e32 v[30:31], v[30:31], v[14:15]
	s_delay_alu instid0(VALU_DEP_3) | instskip(NEXT) | instid1(VALU_DEP_4)
	v_dual_add_nc_u32 v37, 20, v60 :: v_dual_ashrrev_i32 v23, 31, v22
	v_cmp_gt_i32_e64 s5, s15, v36
	v_dual_add_nc_u32 v38, 24, v60 :: v_dual_add_nc_u32 v39, 28, v60
	s_delay_alu instid0(VALU_DEP_3) | instskip(SKIP_1) | instid1(VALU_DEP_3)
	v_cmp_gt_i32_e64 s4, s15, v37
	v_dual_cndmask_b32 v31, v29, v31, s8 :: v_dual_cndmask_b32 v30, v28, v30, s8
	v_cmp_gt_i32_e64 s3, s15, v38
	s_wait_loadcnt_dscnt 0x0
	ds_store_b128 v27, v[0:3]
	flat_load_b128 v[0:3], v[30:31]
	s_wait_xcnt 0x0
	v_lshl_add_u64 v[30:31], v[22:23], 2, s[24:25]
	s_clause 0x1
	scratch_store_b32 off, v15, off
	scratch_store_b96 off, v[24:26], off offset:4
	v_add_nc_u64_e32 v[30:31], v[30:31], v[14:15]
	s_delay_alu instid0(VALU_DEP_1) | instskip(SKIP_1) | instid1(VALU_DEP_1)
	v_dual_cndmask_b32 v31, v29, v31, s7 :: v_dual_cndmask_b32 v30, v28, v30, s7
	v_add_nc_u32_e32 v22, s2, v22
	v_ashrrev_i32_e32 v23, 31, v22
	s_wait_loadcnt_dscnt 0x0
	ds_store_b128 v27, v[0:3] offset:2112
	flat_load_b128 v[0:3], v[30:31]
	s_wait_xcnt 0x0
	v_lshl_add_u64 v[30:31], v[22:23], 2, s[24:25]
	s_clause 0x1
	scratch_store_b32 off, v15, off
	scratch_store_b96 off, v[24:26], off offset:4
	v_add_nc_u32_e32 v22, s2, v22
	v_add_nc_u64_e32 v[30:31], v[30:31], v[14:15]
	s_delay_alu instid0(VALU_DEP_1) | instskip(NEXT) | instid1(VALU_DEP_2)
	v_dual_ashrrev_i32 v23, 31, v22 :: v_dual_cndmask_b32 v31, v29, v31, s6
	v_cndmask_b32_e64 v30, v28, v30, s6
	s_wait_loadcnt_dscnt 0x0
	ds_store_b128 v27, v[0:3] offset:4224
	flat_load_b128 v[0:3], v[30:31]
	s_wait_xcnt 0x0
	v_lshl_add_u64 v[30:31], v[22:23], 2, s[24:25]
	s_clause 0x1
	scratch_store_b32 off, v15, off
	scratch_store_b96 off, v[24:26], off offset:4
	v_add_nc_u64_e32 v[30:31], v[30:31], v[14:15]
	s_delay_alu instid0(VALU_DEP_1) | instskip(SKIP_1) | instid1(VALU_DEP_1)
	v_dual_cndmask_b32 v31, v29, v31, s5 :: v_dual_cndmask_b32 v30, v28, v30, s5
	v_add_nc_u32_e32 v22, s2, v22
	v_ashrrev_i32_e32 v23, 31, v22
	s_wait_loadcnt_dscnt 0x0
	ds_store_b128 v27, v[0:3] offset:6336
	flat_load_b128 v[0:3], v[30:31]
	s_wait_xcnt 0x0
	v_lshl_add_u64 v[30:31], v[22:23], 2, s[24:25]
	s_clause 0x1
	scratch_store_b32 off, v15, off
	scratch_store_b96 off, v[24:26], off offset:4
	v_add_nc_u32_e32 v22, s2, v22
	v_add_nc_u64_e32 v[30:31], v[30:31], v[14:15]
	s_delay_alu instid0(VALU_DEP_1) | instskip(NEXT) | instid1(VALU_DEP_2)
	v_dual_ashrrev_i32 v23, 31, v22 :: v_dual_cndmask_b32 v31, v29, v31, s4
	v_cndmask_b32_e64 v30, v28, v30, s4
	s_wait_loadcnt_dscnt 0x0
	ds_store_b128 v27, v[0:3] offset:8448
	flat_load_b128 v[0:3], v[30:31]
	s_wait_xcnt 0x0
	v_lshl_add_u64 v[30:31], v[22:23], 2, s[24:25]
	s_clause 0x1
	scratch_store_b32 off, v15, off
	scratch_store_b96 off, v[24:26], off offset:4
	v_add_nc_u64_e32 v[30:31], v[30:31], v[14:15]
	s_delay_alu instid0(VALU_DEP_1) | instskip(SKIP_2) | instid1(VALU_DEP_2)
	v_dual_cndmask_b32 v31, v29, v31, s3 :: v_dual_cndmask_b32 v30, v28, v30, s3
	v_add_nc_u32_e32 v22, s2, v22
	v_cmp_gt_i32_e64 s2, s15, v39
	v_ashrrev_i32_e32 v23, 31, v22
	s_delay_alu instid0(VALU_DEP_1) | instskip(NEXT) | instid1(VALU_DEP_1)
	v_lshl_add_u64 v[22:23], v[22:23], 2, s[24:25]
	v_add_nc_u64_e32 v[22:23], v[22:23], v[14:15]
	s_delay_alu instid0(VALU_DEP_1)
	v_dual_cndmask_b32 v23, v29, v23, s2 :: v_dual_cndmask_b32 v22, v28, v22, s2
	s_wait_loadcnt_dscnt 0x0
	ds_store_b128 v27, v[0:3] offset:10560
	flat_load_b128 v[0:3], v[30:31]
	s_clause 0x1
	scratch_store_b32 off, v15, off
	scratch_store_b96 off, v[24:26], off offset:4
	s_wait_loadcnt_dscnt 0x0
	ds_store_b128 v27, v[0:3] offset:12672
	flat_load_b128 v[0:3], v[22:23]
	s_wait_loadcnt_dscnt 0x0
	ds_store_b128 v27, v[0:3] offset:14784
	s_wait_storecnt_dscnt 0x0
	s_barrier_signal -1
	s_barrier_wait -1
	s_wait_xcnt 0x0
	ds_load_b128 v[22:25], v62
	ds_load_b128 v[26:29], v19 offset:16896
	ds_load_b128 v[30:33], v19 offset:17408
	v_mov_b32_e32 v1, v15
                                        ; implicit-def: $vgpr0
	s_wait_dscnt 0x1
	;;#ASMSTART
	v_dot2_f32_f16 v1, v22, v26, v1
	;;#ASMEND
	;;#ASMSTART
	v_dot2_f32_f16 v1, v23, v27, v1
	;;#ASMEND
	;;#ASMSTART
	v_dot2_f32_f16 v1, v24, v28, v1
	;;#ASMEND
	;;#ASMSTART
	v_dot2_f32_f16 v1, v25, v29, v1
	;;#ASMEND
	s_wait_dscnt 0x0
	;;#ASMSTART
	v_dot2_f32_f16 v15, v22, v30, v15
	;;#ASMEND
	;;#ASMSTART
	v_dot2_f32_f16 v15, v23, v31, v15
	;;#ASMEND
	;;#ASMSTART
	v_dot2_f32_f16 v15, v24, v32, v15
	;;#ASMEND
	;;#ASMSTART
	v_dot2_f32_f16 v15, v25, v33, v15
	;;#ASMEND
	ds_load_b128 v[22:25], v62 offset:16
	ds_load_b128 v[26:29], v19 offset:16912
	ds_load_b128 v[30:33], v19 offset:17424
	s_wait_dscnt 0x1
	;;#ASMSTART
	v_dot2_f32_f16 v1, v22, v26, v1
	;;#ASMEND
	;;#ASMSTART
	v_dot2_f32_f16 v1, v23, v27, v1
	;;#ASMEND
	;;#ASMSTART
	v_dot2_f32_f16 v1, v24, v28, v1
	;;#ASMEND
	;;#ASMSTART
	v_dot2_f32_f16 v1, v25, v29, v1
	;;#ASMEND
	s_wait_dscnt 0x0
	;;#ASMSTART
	v_dot2_f32_f16 v15, v22, v30, v15
	;;#ASMEND
	;;#ASMSTART
	v_dot2_f32_f16 v15, v23, v31, v15
	;;#ASMEND
	;;#ASMSTART
	v_dot2_f32_f16 v15, v24, v32, v15
	;;#ASMEND
	;;#ASMSTART
	v_dot2_f32_f16 v15, v25, v33, v15
	;;#ASMEND
	ds_load_b128 v[22:25], v62 offset:32
	ds_load_b128 v[26:29], v19 offset:16928
	ds_load_b128 v[30:33], v19 offset:17440
	;; [unrolled: 29-line block ×31, first 2 shown]
	s_wait_dscnt 0x1
	;;#ASMSTART
	v_dot2_f32_f16 v1, v22, v26, v1
	;;#ASMEND
	;;#ASMSTART
	v_dot2_f32_f16 v1, v23, v27, v1
	;;#ASMEND
	;; [unrolled: 3-line block ×4, first 2 shown]
	v_cmp_ngt_f32_e64 s10, 0x3f200000, |v1|
	s_wait_dscnt 0x0
	;;#ASMSTART
	v_dot2_f32_f16 v15, v22, v30, v15
	;;#ASMEND
	;;#ASMSTART
	v_dot2_f32_f16 v15, v23, v31, v15
	;;#ASMEND
	;; [unrolled: 3-line block ×4, first 2 shown]
	s_and_saveexec_b32 s24, s10
	s_delay_alu instid0(SALU_CYCLE_1)
	s_xor_b32 s10, exec_lo, s24
	s_cbranch_execz .LBB72_31
; %bb.30:
	v_add_f32_e64 v0, |v1|, |v1|
	s_delay_alu instid0(VALU_DEP_1) | instskip(SKIP_1) | instid1(VALU_DEP_2)
	v_mul_f32_e32 v2, 0x3fb8aa3b, v0
	v_cmp_ngt_f32_e32 vcc_lo, 0xc2ce8ed0, v0
	v_rndne_f32_e32 v3, v2
	v_fma_f32 v19, 0x3fb8aa3b, v0, -v2
	s_delay_alu instid0(VALU_DEP_1) | instskip(SKIP_1) | instid1(VALU_DEP_2)
	v_dual_sub_f32 v2, v2, v3 :: v_dual_fmamk_f32 v19, v0, 0x32a5705f, v19
	v_cvt_i32_f32_e32 v3, v3
	v_add_f32_e32 v2, v2, v19
	s_delay_alu instid0(VALU_DEP_1) | instskip(SKIP_1) | instid1(TRANS32_DEP_1)
	v_exp_f32_e32 v2, v2
	v_nop
	v_ldexp_f32 v2, v2, v3
	s_delay_alu instid0(VALU_DEP_1) | instskip(SKIP_1) | instid1(VALU_DEP_2)
	v_cndmask_b32_e32 v2, 0, v2, vcc_lo
	v_cmp_nlt_f32_e32 vcc_lo, 0x42b17218, v0
	v_cndmask_b32_e32 v0, 0x7f800000, v2, vcc_lo
	s_delay_alu instid0(VALU_DEP_1) | instskip(NEXT) | instid1(VALU_DEP_1)
	v_add_f32_e32 v0, 1.0, v0
	v_rcp_f32_e32 v0, v0
	v_nop
	s_delay_alu instid0(TRANS32_DEP_1)
	v_fma_f32 v0, v0, -2.0, 1.0
.LBB72_31:
	s_and_not1_saveexec_b32 s10, s10
	s_cbranch_execz .LBB72_33
; %bb.32:
	v_mul_f32_e32 v0, v1, v1
	s_mov_b32 s24, 0xbbbac73d
	s_delay_alu instid0(VALU_DEP_1) | instid1(SALU_CYCLE_1)
	v_fmaak_f32 v2, s24, v0, 0x3ca908c9
	s_delay_alu instid0(VALU_DEP_1) | instskip(NEXT) | instid1(VALU_DEP_1)
	v_fmaak_f32 v2, v0, v2, 0xbd5c1c4e
	v_fmaak_f32 v2, v0, v2, 0x3e088382
	s_delay_alu instid0(VALU_DEP_1) | instskip(NEXT) | instid1(VALU_DEP_1)
	v_fmaak_f32 v2, v0, v2, 0xbeaaaa99
	v_mul_f32_e64 v2, |v1|, v2
	s_delay_alu instid0(VALU_DEP_1)
	v_fma_f32 v0, v0, v2, |v1|
.LBB72_33:
	s_or_b32 exec_lo, exec_lo, s10
	s_delay_alu instid0(VALU_DEP_1)
	v_bfi_b32 v0, 0x7fffffff, v0, v1
	s_cmp_lg_u64 s[30:31], 0
	v_mov_b64_e32 v[2:3], v[20:21]
	s_cselect_b32 s25, -1, 0
	v_cmp_gt_i32_e64 s10, s15, v57
	v_dual_mul_f32 v0, s11, v0 :: v_dual_add_nc_u32 v19, s26, v57
	v_cndmask_b32_e64 v22, 0, 1, s25
	v_mov_b32_e32 v1, v20
	s_and_saveexec_b32 s24, s10
	s_cbranch_execz .LBB72_38
; %bb.34:
	s_and_not1_b32 vcc_lo, exec_lo, s25
	s_cbranch_vccnz .LBB72_36
; %bb.35:
	v_mad_u32 v1, v18, s39, v19
	global_load_u16 v1, v1, s[30:31] scale_offset
	s_wait_loadcnt 0x0
	v_cvt_f32_f16_e32 v1, v1
	s_delay_alu instid0(VALU_DEP_1)
	v_mul_f32_e32 v1, v61, v1
	s_branch .LBB72_37
.LBB72_36:
	v_mov_b32_e32 v1, 0
.LBB72_37:
	s_delay_alu instid0(VALU_DEP_1) | instskip(SKIP_1) | instid1(VALU_DEP_2)
	v_add_f32_e32 v0, v0, v1
	v_max_num_f32_e32 v1, v20, v20
	v_add_f32_e32 v2, 0x40051340, v0
	s_delay_alu instid0(VALU_DEP_1)
	v_max_num_f32_e32 v1, v1, v2
	v_mov_b64_e32 v[2:3], v[20:21]
.LBB72_38:
	s_or_b32 exec_lo, exec_lo, s24
	v_xor_b32_e32 v32, 2, v58
	v_xor_b32_e32 v31, 4, v58
	;; [unrolled: 1-line block ×4, first 2 shown]
	v_dual_mov_b32 v30, 32 :: v_dual_bitop2_b32 v33, 1, v58 bitop3:0x14
	v_cmp_ngt_f32_e64 s24, 0x3f200000, |v15|
                                        ; implicit-def: $vgpr27
	s_delay_alu instid0(VALU_DEP_3) | instskip(SKIP_2) | instid1(VALU_DEP_2)
	v_cmp_gt_i32_e32 vcc_lo, 32, v28
	v_cndmask_b32_e32 v2, v58, v28, vcc_lo
	v_cmp_gt_i32_e32 vcc_lo, 32, v29
	v_dual_cndmask_b32 v23, v58, v29 :: v_dual_lshlrev_b32 v2, 2, v2
	v_cmp_gt_i32_e32 vcc_lo, 32, v31
	s_delay_alu instid0(VALU_DEP_2) | instskip(SKIP_3) | instid1(VALU_DEP_2)
	v_lshlrev_b32_e32 v23, 2, v23
	ds_bpermute_b32 v18, v2, v1
	v_dual_max_num_f32 v1, v1, v1 :: v_dual_cndmask_b32 v24, v58, v31
	v_cmp_gt_i32_e32 vcc_lo, 32, v32
	v_lshlrev_b32_e32 v24, 2, v24
	v_cndmask_b32_e32 v25, v58, v32, vcc_lo
	v_cmp_gt_i32_e32 vcc_lo, 32, v33
	s_delay_alu instid0(VALU_DEP_2) | instskip(SKIP_1) | instid1(VALU_DEP_1)
	v_lshlrev_b32_e32 v25, 2, v25
	v_cndmask_b32_e32 v26, v58, v33, vcc_lo
	v_lshlrev_b32_e32 v26, 2, v26
	s_wait_dscnt 0x0
	v_max_num_f32_e32 v18, v18, v18
	s_delay_alu instid0(VALU_DEP_1) | instskip(SKIP_3) | instid1(VALU_DEP_1)
	v_max_num_f32_e32 v1, v1, v18
	ds_bpermute_b32 v18, v23, v1
	s_wait_dscnt 0x0
	v_max_num_f32_e32 v18, v18, v18
	v_max_num_f32_e32 v1, v1, v18
	ds_bpermute_b32 v18, v24, v1
	s_wait_dscnt 0x0
	v_max_num_f32_e32 v18, v18, v18
	s_delay_alu instid0(VALU_DEP_1) | instskip(SKIP_3) | instid1(VALU_DEP_1)
	v_max_num_f32_e32 v1, v1, v18
	ds_bpermute_b32 v18, v25, v1
	s_wait_dscnt 0x0
	v_max_num_f32_e32 v18, v18, v18
	v_max_num_f32_e32 v1, v1, v18
	ds_bpermute_b32 v18, v26, v1
	s_and_saveexec_b32 s25, s24
	s_delay_alu instid0(SALU_CYCLE_1)
	s_xor_b32 s24, exec_lo, s25
	s_cbranch_execz .LBB72_40
; %bb.39:
	v_add_f32_e64 v27, |v15|, |v15|
	s_delay_alu instid0(VALU_DEP_1) | instskip(SKIP_1) | instid1(VALU_DEP_2)
	v_mul_f32_e32 v34, 0x3fb8aa3b, v27
	v_cmp_ngt_f32_e32 vcc_lo, 0xc2ce8ed0, v27
	v_rndne_f32_e32 v40, v34
	v_fma_f32 v41, 0x3fb8aa3b, v27, -v34
	s_delay_alu instid0(VALU_DEP_1) | instskip(SKIP_1) | instid1(VALU_DEP_2)
	v_dual_sub_f32 v34, v34, v40 :: v_dual_fmamk_f32 v41, v27, 0x32a5705f, v41
	v_cvt_i32_f32_e32 v40, v40
	v_add_f32_e32 v34, v34, v41
	s_delay_alu instid0(VALU_DEP_1) | instskip(SKIP_1) | instid1(TRANS32_DEP_1)
	v_exp_f32_e32 v34, v34
	v_nop
	v_ldexp_f32 v34, v34, v40
	s_delay_alu instid0(VALU_DEP_1) | instskip(SKIP_1) | instid1(VALU_DEP_2)
	v_cndmask_b32_e32 v34, 0, v34, vcc_lo
	v_cmp_nlt_f32_e32 vcc_lo, 0x42b17218, v27
	v_cndmask_b32_e32 v27, 0x7f800000, v34, vcc_lo
	s_delay_alu instid0(VALU_DEP_1) | instskip(NEXT) | instid1(VALU_DEP_1)
	v_add_f32_e32 v27, 1.0, v27
	v_rcp_f32_e32 v27, v27
	v_nop
	s_delay_alu instid0(TRANS32_DEP_1)
	v_fma_f32 v27, v27, -2.0, 1.0
.LBB72_40:
	s_and_not1_saveexec_b32 s24, s24
	s_cbranch_execz .LBB72_42
; %bb.41:
	v_mul_f32_e32 v27, v15, v15
	s_mov_b32 s25, 0xbbbac73d
	s_delay_alu instid0(VALU_DEP_1) | instid1(SALU_CYCLE_1)
	v_fmaak_f32 v34, s25, v27, 0x3ca908c9
	s_delay_alu instid0(VALU_DEP_1) | instskip(NEXT) | instid1(VALU_DEP_1)
	v_fmaak_f32 v34, v27, v34, 0xbd5c1c4e
	v_fmaak_f32 v34, v27, v34, 0x3e088382
	s_delay_alu instid0(VALU_DEP_1) | instskip(NEXT) | instid1(VALU_DEP_1)
	v_fmaak_f32 v34, v27, v34, 0xbeaaaa99
	v_mul_f32_e64 v34, |v15|, v34
	s_delay_alu instid0(VALU_DEP_1)
	v_fma_f32 v27, v27, v34, |v15|
.LBB72_42:
	s_or_b32 exec_lo, exec_lo, s24
	s_wait_dscnt 0x0
	v_dual_max_num_f32 v18, v18, v18 :: v_dual_max_num_f32 v1, v1, v1
	s_delay_alu instid0(VALU_DEP_2) | instskip(NEXT) | instid1(VALU_DEP_1)
	v_bfi_b32 v15, 0x7fffffff, v27, v15
	v_dual_max_num_f32 v18, v1, v18 :: v_dual_mul_f32 v1, s11, v15
	s_and_saveexec_b32 s11, s10
	s_cbranch_execz .LBB72_47
; %bb.43:
	v_cmp_ne_u32_e32 vcc_lo, 1, v22
	s_cbranch_vccnz .LBB72_45
; %bb.44:
	v_dual_mov_b32 v41, 0 :: v_dual_bitop2_b32 v40, 1, v56 bitop3:0x54
	s_delay_alu instid0(VALU_DEP_1) | instskip(NEXT) | instid1(VALU_DEP_1)
	v_mul_u64_e32 v[42:43], s[36:37], v[40:41]
	v_add_nc_u32_e32 v15, v40, v43
	s_delay_alu instid0(VALU_DEP_1) | instskip(NEXT) | instid1(VALU_DEP_1)
	v_lshrrev_b32_e32 v15, s21, v15
	v_mul_lo_u32 v15, v15, s22
	s_delay_alu instid0(VALU_DEP_1) | instskip(NEXT) | instid1(VALU_DEP_1)
	v_sub_nc_u32_e32 v15, v40, v15
	v_mad_u32 v15, v15, s39, v19
	global_load_u16 v15, v15, s[30:31] scale_offset
	s_wait_loadcnt 0x0
	v_cvt_f32_f16_e32 v15, v15
	s_delay_alu instid0(VALU_DEP_1)
	v_mul_f32_e32 v15, v61, v15
	s_branch .LBB72_46
.LBB72_45:
	v_mov_b32_e32 v15, 0
.LBB72_46:
	v_max_num_f32_e32 v3, v3, v3
	s_delay_alu instid0(VALU_DEP_2) | instskip(NEXT) | instid1(VALU_DEP_1)
	v_add_f32_e32 v1, v1, v15
	v_add_f32_e32 v15, 0x40051340, v1
	s_delay_alu instid0(VALU_DEP_1)
	v_max_num_f32_e32 v3, v3, v15
.LBB72_47:
	s_or_b32 exec_lo, exec_lo, s11
	ds_bpermute_b32 v2, v2, v3
	v_cmp_gt_u32_e32 vcc_lo, s15, v57
	s_mov_b32 s24, 0
	s_wait_dscnt 0x0
	s_mov_b32 s25, s24
	s_barrier_signal -1
	s_barrier_wait -1
	s_ashr_i32 s15, s14, 31
	v_lshl_add_u32 v51, v60, 9, v14
	v_lshl_add_u32 v50, v11, 9, v14
	;; [unrolled: 1-line block ×6, first 2 shown]
	v_dual_max_num_f32 v3, v3, v3 :: v_dual_lshlrev_b32 v34, 7, v60
	v_lshl_add_u32 v60, v10, 9, v14
	v_sub_f32_e32 v0, v0, v18
	v_max_num_f32_e32 v2, v2, v2
	s_delay_alu instid0(VALU_DEP_1) | instskip(SKIP_3) | instid1(VALU_DEP_1)
	v_max_num_f32_e32 v2, v3, v2
	ds_bpermute_b32 v3, v23, v2
	s_wait_dscnt 0x0
	v_max_num_f32_e32 v3, v3, v3
	v_max_num_f32_e32 v2, v2, v3
	ds_bpermute_b32 v3, v24, v2
	s_wait_dscnt 0x0
	v_max_num_f32_e32 v3, v3, v3
	s_delay_alu instid0(VALU_DEP_1) | instskip(SKIP_3) | instid1(VALU_DEP_1)
	v_max_num_f32_e32 v2, v2, v3
	ds_bpermute_b32 v3, v25, v2
	s_wait_dscnt 0x0
	v_max_num_f32_e32 v3, v3, v3
	v_max_num_f32_e32 v2, v2, v3
	ds_bpermute_b32 v3, v26, v2
	s_wait_dscnt 0x0
	v_max_num_f32_e32 v3, v3, v3
	s_delay_alu instid0(VALU_DEP_1) | instskip(NEXT) | instid1(VALU_DEP_1)
	v_dual_max_num_f32 v19, v2, v3 :: v_dual_sub_f32 v2, v20, v18
	v_sub_f32_e32 v1, v1, v19
	s_delay_alu instid0(VALU_DEP_2) | instskip(NEXT) | instid1(VALU_DEP_1)
	v_mul_f32_e32 v3, 0x3fb8aa3b, v2
	v_fma_f32 v15, 0x3fb8aa3b, v2, -v3
	v_rndne_f32_e32 v20, v3
	s_delay_alu instid0(VALU_DEP_1) | instskip(NEXT) | instid1(VALU_DEP_3)
	v_sub_f32_e32 v3, v3, v20
	v_fmac_f32_e32 v15, 0x32a5705f, v2
	v_cmp_ngt_f32_e64 s10, 0xc2ce8ed0, v2
	s_delay_alu instid0(VALU_DEP_2) | instskip(SKIP_1) | instid1(VALU_DEP_2)
	v_add_f32_e32 v3, v3, v15
	v_cvt_i32_f32_e32 v15, v20
	v_exp_f32_e32 v3, v3
	v_nop
	s_delay_alu instid0(TRANS32_DEP_1) | instskip(NEXT) | instid1(VALU_DEP_1)
	v_ldexp_f32 v3, v3, v15
	v_cndmask_b32_e64 v3, 0, v3, s10
	v_cmp_nlt_f32_e64 s10, 0x42b17218, v2
	s_delay_alu instid0(VALU_DEP_1) | instskip(SKIP_2) | instid1(VALU_DEP_2)
	v_cndmask_b32_e64 v2, 0x7f800000, v3, s10
	v_mul_f32_e32 v3, 0x3fb8aa3b, v0
	v_cmp_ngt_f32_e64 s10, 0xc2ce8ed0, v0
	v_fma_f32 v15, 0x3fb8aa3b, v0, -v3
	v_rndne_f32_e32 v20, v3
	s_delay_alu instid0(VALU_DEP_2) | instskip(NEXT) | instid1(VALU_DEP_2)
	v_fmac_f32_e32 v15, 0x32a5705f, v0
	v_sub_f32_e32 v3, v3, v20
	s_delay_alu instid0(VALU_DEP_1) | instskip(SKIP_1) | instid1(VALU_DEP_2)
	v_add_f32_e32 v3, v3, v15
	v_cvt_i32_f32_e32 v15, v20
	v_exp_f32_e32 v3, v3
	v_nop
	s_delay_alu instid0(TRANS32_DEP_1) | instskip(NEXT) | instid1(VALU_DEP_1)
	v_ldexp_f32 v3, v3, v15
	v_dual_mov_b32 v15, 0 :: v_dual_cndmask_b32 v3, 0, v3, s10
	v_cmp_nlt_f32_e64 s10, 0x42b17218, v0
	s_delay_alu instid0(VALU_DEP_1) | instskip(NEXT) | instid1(VALU_DEP_1)
	v_cndmask_b32_e64 v0, 0x7f800000, v3, s10
	v_cndmask_b32_e32 v0, 0, v0, vcc_lo
	s_delay_alu instid0(VALU_DEP_1) | instskip(SKIP_1) | instid1(VALU_DEP_1)
	v_fma_f32 v12, v12, v2, v0
	v_cvt_f16_f32_e32 v2, v2
	v_and_b32_e32 v2, 0xffff, v2
	s_delay_alu instid0(VALU_DEP_1) | instskip(SKIP_1) | instid1(VALU_DEP_2)
	v_mul_u32_u24_e32 v43, 0x10001, v2
	v_sub_f32_e32 v2, v21, v19
	v_pk_mul_f16 v41, v8, v43
	s_delay_alu instid0(VALU_DEP_2) | instskip(SKIP_3) | instid1(VALU_DEP_4)
	v_mul_f32_e32 v3, 0x3fb8aa3b, v2
	v_pk_mul_f16 v40, v7, v43
	v_cmp_ngt_f32_e64 s10, 0xc2ce8ed0, v2
	v_pk_mul_f16 v42, v9, v43
	v_fma_f32 v7, 0x3fb8aa3b, v2, -v3
	v_rndne_f32_e32 v8, v3
	s_delay_alu instid0(VALU_DEP_2) | instskip(NEXT) | instid1(VALU_DEP_2)
	v_fmac_f32_e32 v7, 0x32a5705f, v2
	v_sub_f32_e32 v3, v3, v8
	s_delay_alu instid0(VALU_DEP_1) | instskip(SKIP_1) | instid1(VALU_DEP_2)
	v_add_f32_e32 v3, v3, v7
	v_cvt_i32_f32_e32 v7, v8
	v_exp_f32_e32 v3, v3
	v_nop
	s_delay_alu instid0(TRANS32_DEP_1) | instskip(NEXT) | instid1(VALU_DEP_1)
	v_ldexp_f32 v3, v3, v7
	v_cndmask_b32_e64 v3, 0, v3, s10
	v_cmp_nlt_f32_e64 s10, 0x42b17218, v2
	s_delay_alu instid0(VALU_DEP_1) | instskip(SKIP_2) | instid1(VALU_DEP_2)
	v_cndmask_b32_e64 v2, 0x7f800000, v3, s10
	v_mul_f32_e32 v3, 0x3fb8aa3b, v1
	v_cmp_ngt_f32_e64 s10, 0xc2ce8ed0, v1
	v_fma_f32 v7, 0x3fb8aa3b, v1, -v3
	v_rndne_f32_e32 v8, v3
	s_delay_alu instid0(VALU_DEP_2) | instskip(NEXT) | instid1(VALU_DEP_2)
	v_fmac_f32_e32 v7, 0x32a5705f, v1
	v_sub_f32_e32 v3, v3, v8
	s_delay_alu instid0(VALU_DEP_1) | instskip(SKIP_1) | instid1(VALU_DEP_2)
	v_add_f32_e32 v3, v3, v7
	v_cvt_i32_f32_e32 v7, v8
	v_exp_f32_e32 v3, v3
	v_nop
	s_delay_alu instid0(TRANS32_DEP_1) | instskip(NEXT) | instid1(VALU_DEP_1)
	v_ldexp_f32 v3, v3, v7
	v_cndmask_b32_e64 v3, 0, v3, s10
	v_cmp_nlt_f32_e64 s10, 0x42b17218, v1
	s_delay_alu instid0(VALU_DEP_1)
	v_cndmask_b32_e64 v1, 0x7f800000, v3, s10
	s_mul_u64 s[10:11], s[26:27], s[14:15]
	s_lshl_b32 s14, s14, 2
	s_lshl_b64 s[10:11], s[10:11], 2
	s_mov_b32 s26, s24
	v_cndmask_b32_e32 v1, 0, v1, vcc_lo
	s_add_nc_u64 s[10:11], s[34:35], s[10:11]
	s_delay_alu instid0(VALU_DEP_1) | instskip(SKIP_2) | instid1(VALU_DEP_2)
	v_fma_f32 v13, v13, v2, v1
	v_cvt_f16_f32_e32 v2, v2
	v_cvt_pk_f16_f32 v0, v0, v1
	v_and_b32_e32 v2, 0xffff, v2
	s_delay_alu instid0(VALU_DEP_1) | instskip(SKIP_1) | instid1(VALU_DEP_2)
	v_mul_u32_u24_e32 v47, 0x10001, v2
	v_add3_u32 v2, 0x5200, v34, v55
	v_pk_mul_f16 v45, v5, v47
	ds_store_b32 v2, v0
	v_mbcnt_lo_u32_b32 v0, -1, 0
	v_pk_mul_f16 v44, v4, v47
	v_pk_mul_f16 v46, v6, v47
	s_delay_alu instid0(VALU_DEP_3) | instskip(NEXT) | instid1(VALU_DEP_1)
	v_dual_mov_b32 v0, 0 :: v_dual_lshlrev_b32 v1, 20, v0
	v_add_nc_u64_e32 v[4:5], src_flat_scratch_base_lo, v[0:1]
	v_lshl_add_u64 v[0:1], v[16:17], 2, s[10:11]
	s_delay_alu instid0(VALU_DEP_1) | instskip(SKIP_1) | instid1(VALU_DEP_1)
	v_add_nc_u64_e32 v[26:27], v[0:1], v[14:15]
	v_add_nc_u32_e32 v0, s14, v16
	v_dual_ashrrev_i32 v1, 31, v0 :: v_dual_cndmask_b32 v27, v5, v27, s9
	s_delay_alu instid0(VALU_DEP_3) | instskip(NEXT) | instid1(VALU_DEP_2)
	v_cndmask_b32_e64 v26, v4, v26, s9
	v_lshl_add_u64 v[2:3], v[0:1], 2, s[10:11]
	v_add_nc_u32_e32 v0, s14, v0
	s_delay_alu instid0(VALU_DEP_2) | instskip(NEXT) | instid1(VALU_DEP_2)
	v_add_nc_u64_e32 v[24:25], v[2:3], v[14:15]
	v_ashrrev_i32_e32 v1, 31, v0
	s_delay_alu instid0(VALU_DEP_1) | instskip(NEXT) | instid1(VALU_DEP_3)
	v_lshl_add_u64 v[2:3], v[0:1], 2, s[10:11]
	v_dual_add_nc_u32 v0, s14, v0 :: v_dual_cndmask_b32 v25, v5, v25, s8
	s_delay_alu instid0(VALU_DEP_4) | instskip(NEXT) | instid1(VALU_DEP_3)
	v_cndmask_b32_e64 v24, v4, v24, s8
	v_add_nc_u64_e32 v[22:23], v[2:3], v[14:15]
	s_delay_alu instid0(VALU_DEP_3) | instskip(NEXT) | instid1(VALU_DEP_1)
	v_ashrrev_i32_e32 v1, 31, v0
	v_lshl_add_u64 v[2:3], v[0:1], 2, s[10:11]
	s_delay_alu instid0(VALU_DEP_3) | instskip(NEXT) | instid1(VALU_DEP_4)
	v_dual_add_nc_u32 v0, s14, v0 :: v_dual_cndmask_b32 v23, v5, v23, s7
	v_cndmask_b32_e64 v22, v4, v22, s7
	s_delay_alu instid0(VALU_DEP_3) | instskip(NEXT) | instid1(VALU_DEP_3)
	v_add_nc_u64_e32 v[20:21], v[2:3], v[14:15]
	v_ashrrev_i32_e32 v1, 31, v0
	s_delay_alu instid0(VALU_DEP_1) | instskip(NEXT) | instid1(VALU_DEP_3)
	v_lshl_add_u64 v[2:3], v[0:1], 2, s[10:11]
	v_dual_add_nc_u32 v0, s14, v0 :: v_dual_cndmask_b32 v21, v5, v21, s6
	s_delay_alu instid0(VALU_DEP_4) | instskip(NEXT) | instid1(VALU_DEP_3)
	v_cndmask_b32_e64 v20, v4, v20, s6
	v_add_nc_u64_e32 v[16:17], v[2:3], v[14:15]
	s_delay_alu instid0(VALU_DEP_3) | instskip(NEXT) | instid1(VALU_DEP_1)
	v_ashrrev_i32_e32 v1, 31, v0
	v_lshl_add_u64 v[2:3], v[0:1], 2, s[10:11]
	s_delay_alu instid0(VALU_DEP_3) | instskip(NEXT) | instid1(VALU_DEP_4)
	v_dual_add_nc_u32 v0, s14, v0 :: v_dual_cndmask_b32 v17, v5, v17, s5
	v_cndmask_b32_e64 v16, v4, v16, s5
	s_delay_alu instid0(VALU_DEP_3) | instskip(NEXT) | instid1(VALU_DEP_3)
	v_add_nc_u64_e32 v[10:11], v[2:3], v[14:15]
	v_ashrrev_i32_e32 v1, 31, v0
	s_delay_alu instid0(VALU_DEP_1) | instskip(NEXT) | instid1(VALU_DEP_3)
	v_lshl_add_u64 v[2:3], v[0:1], 2, s[10:11]
	v_dual_add_nc_u32 v0, s14, v0 :: v_dual_cndmask_b32 v11, v5, v11, s4
	s_delay_alu instid0(VALU_DEP_4) | instskip(NEXT) | instid1(VALU_DEP_3)
	v_cndmask_b32_e64 v10, v4, v10, s4
	v_add_nc_u64_e32 v[8:9], v[2:3], v[14:15]
	s_delay_alu instid0(VALU_DEP_3) | instskip(SKIP_1) | instid1(VALU_DEP_2)
	v_ashrrev_i32_e32 v1, 31, v0
	v_lshl_add_u32 v3, v39, 9, v14
	v_lshl_add_u64 v[0:1], v[0:1], 2, s[10:11]
	s_delay_alu instid0(VALU_DEP_4) | instskip(NEXT) | instid1(VALU_DEP_2)
	v_dual_cndmask_b32 v9, v5, v9, s3 :: v_dual_cndmask_b32 v8, v4, v8, s3
	v_add_nc_u64_e32 v[6:7], v[0:1], v[14:15]
	v_dual_mov_b32 v0, s24 :: v_dual_mov_b32 v1, s25
	v_mov_b32_e32 v2, s26
	s_clause 0x1
	scratch_store_b32 off, v15, off
	scratch_store_b96 off, v[0:2], off offset:4
	flat_load_b128 v[66:69], v[26:27]
	s_wait_loadcnt_dscnt 0x0
	ds_store_b128 v51, v[66:69]
	s_clause 0x1
	scratch_store_b32 off, v15, off
	scratch_store_b96 off, v[0:2], off offset:4
	flat_load_b128 v[24:27], v[24:25]
	s_wait_loadcnt_dscnt 0x0
	ds_store_b128 v60, v[24:27]
	;; [unrolled: 6-line block ×7, first 2 shown]
	s_clause 0x1
	scratch_store_b32 off, v15, off
	scratch_store_b96 off, v[0:2], off offset:4
	s_wait_xcnt 0x0
	v_dual_cndmask_b32 v1, v5, v7, s2 :: v_dual_cndmask_b32 v0, v4, v6, s2
	flat_load_b128 v[4:7], v[0:1]
	s_wait_loadcnt_dscnt 0x0
	ds_store_b128 v3, v[4:7]
	s_wait_storecnt_dscnt 0x0
	s_barrier_signal -1
	s_barrier_wait -1
	ds_load_2addr_b64 v[14:17], v59 offset1:32
	ds_load_b128 v[20:23], v34 offset:20992
	ds_load_b128 v[8:11], v34 offset:21008
	;; [unrolled: 1-line block ×3, first 2 shown]
	s_wait_xcnt 0x0
	ds_load_b128 v[0:3], v34 offset:21040
	s_wait_dscnt 0x3
	v_dual_lshrrev_b32 v24, 16, v20 :: v_dual_lshrrev_b32 v38, 16, v21
	v_and_b32_e32 v20, 0xffff, v20
	v_and_b32_e32 v21, 0xffff, v21
	s_delay_alu instid0(VALU_DEP_3) | instskip(NEXT) | instid1(VALU_DEP_4)
	v_mul_u32_u24_e32 v24, 0x10001, v24
	v_mul_u32_u24_e32 v38, 0x10001, v38
	s_delay_alu instid0(VALU_DEP_4) | instskip(NEXT) | instid1(VALU_DEP_4)
	v_mul_u32_u24_e32 v20, 0x10001, v20
	v_mul_u32_u24_e32 v21, 0x10001, v21
	s_delay_alu instid0(VALU_DEP_4) | instskip(SKIP_1) | instid1(VALU_DEP_4)
	v_pk_fma_f16 v35, v15, v24, v46
	v_pk_fma_f16 v37, v16, v24, v45
	v_pk_mul_f16 v25, v14, v20
	v_pk_mul_f16 v14, v14, v24
	v_pk_fma_f16 v27, v15, v20, v42
	v_pk_fma_f16 v36, v16, v20, v41
	;; [unrolled: 1-line block ×5, first 2 shown]
	ds_load_2addr_b64 v[14:17], v59 offset0:64 offset1:96
	v_pk_fma_f16 v25, v64, v43, v25
	s_wait_dscnt 0x0
	s_delay_alu instid0(VALU_DEP_1)
	v_pk_fma_f16 v25, v14, v21, v25
	v_pk_fma_f16 v26, v14, v38, v26
	;; [unrolled: 1-line block ×8, first 2 shown]
	ds_load_2addr_b64 v[14:17], v59 offset0:128 offset1:160
	v_lshrrev_b32_e32 v24, 16, v22
	v_and_b32_e32 v22, 0xffff, v22
	s_delay_alu instid0(VALU_DEP_1) | instskip(SKIP_1) | instid1(VALU_DEP_1)
	v_mul_u32_u24_e32 v22, 0x10001, v22
	s_wait_dscnt 0x0
	v_pk_fma_f16 v25, v14, v22, v25
	v_pk_fma_f16 v27, v15, v22, v27
	;; [unrolled: 1-line block ×4, first 2 shown]
	v_lshrrev_b32_e32 v22, 16, v23
	v_mul_u32_u24_e32 v24, 0x10001, v24
	v_and_b32_e32 v23, 0xffff, v23
	s_delay_alu instid0(VALU_DEP_3) | instskip(NEXT) | instid1(VALU_DEP_3)
	v_mul_u32_u24_e32 v22, 0x10001, v22
	v_pk_fma_f16 v26, v14, v24, v26
	v_pk_fma_f16 v35, v15, v24, v35
	;; [unrolled: 1-line block ×4, first 2 shown]
	ds_load_2addr_b64 v[14:17], v59 offset0:192 offset1:224
	v_mul_u32_u24_e32 v23, 0x10001, v23
	s_wait_dscnt 0x0
	s_delay_alu instid0(VALU_DEP_1)
	v_pk_fma_f16 v24, v14, v23, v25
	v_pk_fma_f16 v25, v14, v22, v26
	;; [unrolled: 1-line block ×7, first 2 shown]
	v_add_nc_u32_e32 v22, 0x800, v59
	v_pk_fma_f16 v20, v17, v23, v20
	v_lshrrev_b32_e32 v23, 16, v8
	v_and_b32_e32 v8, 0xffff, v8
	ds_load_2addr_b64 v[14:17], v22 offset1:32
	v_mul_u32_u24_e32 v23, 0x10001, v23
	v_mul_u32_u24_e32 v8, 0x10001, v8
	s_wait_dscnt 0x0
	s_delay_alu instid0(VALU_DEP_1) | instskip(NEXT) | instid1(VALU_DEP_3)
	v_pk_fma_f16 v24, v14, v8, v24
	v_pk_fma_f16 v25, v14, v23, v25
	v_pk_fma_f16 v26, v15, v8, v26
	v_pk_fma_f16 v27, v15, v23, v27
	v_pk_fma_f16 v35, v16, v8, v35
	v_pk_fma_f16 v36, v16, v23, v36
	v_pk_fma_f16 v8, v17, v8, v20
	v_pk_fma_f16 v20, v17, v23, v21
	ds_load_2addr_b64 v[14:17], v22 offset0:64 offset1:96
	v_lshrrev_b32_e32 v21, 16, v9
	v_and_b32_e32 v9, 0xffff, v9
	s_delay_alu instid0(VALU_DEP_2) | instskip(NEXT) | instid1(VALU_DEP_2)
	v_mul_u32_u24_e32 v21, 0x10001, v21
	v_mul_u32_u24_e32 v9, 0x10001, v9
	s_wait_dscnt 0x0
	s_delay_alu instid0(VALU_DEP_1) | instskip(NEXT) | instid1(VALU_DEP_3)
	v_pk_fma_f16 v23, v14, v9, v24
	v_pk_fma_f16 v24, v14, v21, v25
	v_pk_fma_f16 v25, v15, v9, v26
	v_pk_fma_f16 v26, v15, v21, v27
	v_pk_fma_f16 v27, v16, v9, v35
	v_pk_fma_f16 v35, v16, v21, v36
	v_pk_fma_f16 v8, v17, v9, v8
	v_pk_fma_f16 v9, v17, v21, v20
	ds_load_2addr_b64 v[14:17], v22 offset0:128 offset1:160
	v_lshrrev_b32_e32 v20, 16, v10
	v_and_b32_e32 v10, 0xffff, v10
	s_delay_alu instid0(VALU_DEP_2) | instskip(NEXT) | instid1(VALU_DEP_2)
	;; [unrolled: 16-line block ×3, first 2 shown]
	v_mul_u32_u24_e32 v10, 0x10001, v10
	v_mul_u32_u24_e32 v11, 0x10001, v11
	s_wait_dscnt 0x0
	s_delay_alu instid0(VALU_DEP_1)
	v_pk_fma_f16 v20, v14, v11, v21
	v_pk_fma_f16 v21, v15, v11, v24
	v_add_nc_u32_e32 v24, 0x1000, v59
	v_pk_fma_f16 v14, v14, v10, v23
	v_pk_fma_f16 v15, v15, v10, v25
	;; [unrolled: 1-line block ×6, first 2 shown]
	ds_load_2addr_b64 v[8:11], v24 offset1:32
	v_lshrrev_b32_e32 v25, 16, v4
	v_and_b32_e32 v4, 0xffff, v4
	s_delay_alu instid0(VALU_DEP_1) | instskip(SKIP_1) | instid1(VALU_DEP_1)
	v_mul_u32_u24_e32 v4, 0x10001, v4
	s_wait_dscnt 0x0
	v_pk_fma_f16 v20, v8, v4, v20
	v_pk_fma_f16 v21, v9, v4, v21
	;; [unrolled: 1-line block ×4, first 2 shown]
	v_lshrrev_b32_e32 v23, 16, v5
	v_mul_u32_u24_e32 v25, 0x10001, v25
	v_and_b32_e32 v5, 0xffff, v5
	s_delay_alu instid0(VALU_DEP_3) | instskip(NEXT) | instid1(VALU_DEP_3)
	v_mul_u32_u24_e32 v23, 0x10001, v23
	v_pk_fma_f16 v14, v8, v25, v14
	v_pk_fma_f16 v15, v9, v25, v15
	;; [unrolled: 1-line block ×4, first 2 shown]
	ds_load_2addr_b64 v[8:11], v24 offset0:64 offset1:96
	v_mul_u32_u24_e32 v5, 0x10001, v5
	s_wait_dscnt 0x0
	s_delay_alu instid0(VALU_DEP_1)
	v_pk_fma_f16 v20, v8, v5, v20
	v_pk_fma_f16 v14, v8, v23, v14
	;; [unrolled: 1-line block ×8, first 2 shown]
	ds_load_2addr_b64 v[8:11], v24 offset0:128 offset1:160
	v_lshrrev_b32_e32 v17, 16, v6
	v_and_b32_e32 v6, 0xffff, v6
	s_delay_alu instid0(VALU_DEP_1) | instskip(SKIP_1) | instid1(VALU_DEP_1)
	v_mul_u32_u24_e32 v6, 0x10001, v6
	s_wait_dscnt 0x0
	v_pk_fma_f16 v20, v8, v6, v20
	v_pk_fma_f16 v21, v9, v6, v21
	;; [unrolled: 1-line block ×4, first 2 shown]
	v_lshrrev_b32_e32 v6, 16, v7
	v_mul_u32_u24_e32 v17, 0x10001, v17
	v_and_b32_e32 v7, 0xffff, v7
	s_delay_alu instid0(VALU_DEP_3) | instskip(NEXT) | instid1(VALU_DEP_3)
	v_mul_u32_u24_e32 v6, 0x10001, v6
	v_pk_fma_f16 v14, v8, v17, v14
	v_pk_fma_f16 v15, v9, v17, v15
	;; [unrolled: 1-line block ×4, first 2 shown]
	ds_load_2addr_b64 v[8:11], v24 offset0:192 offset1:224
	v_mul_u32_u24_e32 v7, 0x10001, v7
	s_wait_dscnt 0x0
	s_delay_alu instid0(VALU_DEP_1)
	v_pk_fma_f16 v17, v8, v7, v20
	v_add_nc_u32_e32 v20, 0x1800, v59
	v_pk_fma_f16 v8, v8, v6, v14
	v_pk_fma_f16 v14, v9, v7, v21
	;; [unrolled: 1-line block ×7, first 2 shown]
	ds_load_2addr_b64 v[4:7], v20 offset1:32
	v_lshrrev_b32_e32 v21, 16, v0
	v_and_b32_e32 v0, 0xffff, v0
	s_delay_alu instid0(VALU_DEP_1) | instskip(SKIP_1) | instid1(VALU_DEP_1)
	v_mul_u32_u24_e32 v0, 0x10001, v0
	s_wait_dscnt 0x0
	v_pk_fma_f16 v17, v4, v0, v17
	v_pk_fma_f16 v14, v5, v0, v14
	v_pk_fma_f16 v15, v6, v0, v15
	v_pk_fma_f16 v0, v7, v0, v16
	v_lshrrev_b32_e32 v16, 16, v1
	v_mul_u32_u24_e32 v21, 0x10001, v21
	v_and_b32_e32 v1, 0xffff, v1
	s_delay_alu instid0(VALU_DEP_3) | instskip(NEXT) | instid1(VALU_DEP_3)
	v_mul_u32_u24_e32 v16, 0x10001, v16
	v_pk_fma_f16 v8, v4, v21, v8
	v_pk_fma_f16 v9, v5, v21, v9
	;; [unrolled: 1-line block ×4, first 2 shown]
	ds_load_2addr_b64 v[4:7], v20 offset0:64 offset1:96
	v_mul_u32_u24_e32 v1, 0x10001, v1
	s_wait_dscnt 0x0
	s_delay_alu instid0(VALU_DEP_1)
	v_pk_fma_f16 v17, v4, v1, v17
	v_pk_fma_f16 v8, v4, v16, v8
	;; [unrolled: 1-line block ×8, first 2 shown]
	ds_load_2addr_b64 v[4:7], v20 offset0:128 offset1:160
	v_lshrrev_b32_e32 v11, 16, v2
	v_and_b32_e32 v2, 0xffff, v2
	s_delay_alu instid0(VALU_DEP_1) | instskip(SKIP_1) | instid1(VALU_DEP_1)
	v_mul_u32_u24_e32 v2, 0x10001, v2
	s_wait_dscnt 0x0
	v_pk_fma_f16 v16, v4, v2, v17
	v_pk_fma_f16 v14, v5, v2, v14
	;; [unrolled: 1-line block ×4, first 2 shown]
	v_lshrrev_b32_e32 v2, 16, v3
	v_mul_u32_u24_e32 v11, 0x10001, v11
	v_and_b32_e32 v3, 0xffff, v3
	s_delay_alu instid0(VALU_DEP_3) | instskip(NEXT) | instid1(VALU_DEP_3)
	v_mul_u32_u24_e32 v2, 0x10001, v2
	v_pk_fma_f16 v8, v4, v11, v8
	v_pk_fma_f16 v9, v5, v11, v9
	;; [unrolled: 1-line block ×4, first 2 shown]
	ds_load_2addr_b64 v[4:7], v20 offset0:192 offset1:224
	v_mul_u32_u24_e32 v3, 0x10001, v3
	v_add_nc_u32_e32 v20, 0x2000, v59
	s_wait_dscnt 0x0
	s_delay_alu instid0(VALU_DEP_2)
	v_pk_fma_f16 v11, v4, v3, v16
	v_pk_fma_f16 v8, v4, v2, v8
	;; [unrolled: 1-line block ×8, first 2 shown]
	ds_load_2addr_b64 v[0:3], v20 offset1:32
	ds_load_b128 v[4:7], v34 offset:21056
	s_wait_dscnt 0x0
	v_lshrrev_b32_e32 v21, 16, v4
	v_and_b32_e32 v4, 0xffff, v4
	s_delay_alu instid0(VALU_DEP_2) | instskip(NEXT) | instid1(VALU_DEP_2)
	v_mul_u32_u24_e32 v21, 0x10001, v21
	v_mul_u32_u24_e32 v4, 0x10001, v4
	s_delay_alu instid0(VALU_DEP_2) | instskip(NEXT) | instid1(VALU_DEP_2)
	v_pk_fma_f16 v8, v0, v21, v8
	v_pk_fma_f16 v11, v0, v4, v11
	;; [unrolled: 1-line block ×8, first 2 shown]
	ds_load_2addr_b64 v[0:3], v20 offset0:64 offset1:96
	v_lshrrev_b32_e32 v17, 16, v5
	v_and_b32_e32 v5, 0xffff, v5
	s_delay_alu instid0(VALU_DEP_2) | instskip(NEXT) | instid1(VALU_DEP_2)
	v_mul_u32_u24_e32 v17, 0x10001, v17
	v_mul_u32_u24_e32 v5, 0x10001, v5
	s_wait_dscnt 0x0
	s_delay_alu instid0(VALU_DEP_1) | instskip(NEXT) | instid1(VALU_DEP_3)
	v_pk_fma_f16 v11, v0, v5, v11
	v_pk_fma_f16 v8, v0, v17, v8
	;; [unrolled: 1-line block ×8, first 2 shown]
	ds_load_2addr_b64 v[0:3], v20 offset0:128 offset1:160
	v_lshrrev_b32_e32 v16, 16, v6
	v_and_b32_e32 v6, 0xffff, v6
	s_delay_alu instid0(VALU_DEP_1) | instskip(SKIP_1) | instid1(VALU_DEP_1)
	v_mul_u32_u24_e32 v6, 0x10001, v6
	s_wait_dscnt 0x0
	v_pk_fma_f16 v11, v0, v6, v11
	v_pk_fma_f16 v14, v1, v6, v14
	;; [unrolled: 1-line block ×4, first 2 shown]
	v_lshrrev_b32_e32 v6, 16, v7
	v_mul_u32_u24_e32 v16, 0x10001, v16
	v_and_b32_e32 v7, 0xffff, v7
	s_delay_alu instid0(VALU_DEP_3) | instskip(NEXT) | instid1(VALU_DEP_3)
	v_mul_u32_u24_e32 v6, 0x10001, v6
	v_pk_fma_f16 v8, v0, v16, v8
	v_pk_fma_f16 v9, v1, v16, v9
	;; [unrolled: 1-line block ×4, first 2 shown]
	ds_load_2addr_b64 v[0:3], v20 offset0:192 offset1:224
	v_mul_u32_u24_e32 v7, 0x10001, v7
	v_add_nc_u32_e32 v20, 0x2800, v59
	s_wait_dscnt 0x0
	s_delay_alu instid0(VALU_DEP_2)
	v_pk_fma_f16 v11, v0, v7, v11
	v_pk_fma_f16 v8, v0, v6, v8
	;; [unrolled: 1-line block ×8, first 2 shown]
	ds_load_2addr_b64 v[0:3], v20 offset1:32
	ds_load_b128 v[4:7], v34 offset:21072
	s_wait_dscnt 0x0
	v_lshrrev_b32_e32 v21, 16, v4
	v_and_b32_e32 v4, 0xffff, v4
	s_delay_alu instid0(VALU_DEP_2) | instskip(NEXT) | instid1(VALU_DEP_2)
	v_mul_u32_u24_e32 v21, 0x10001, v21
	v_mul_u32_u24_e32 v4, 0x10001, v4
	s_delay_alu instid0(VALU_DEP_2) | instskip(NEXT) | instid1(VALU_DEP_2)
	v_pk_fma_f16 v8, v0, v21, v8
	v_pk_fma_f16 v11, v0, v4, v11
	;; [unrolled: 1-line block ×8, first 2 shown]
	ds_load_2addr_b64 v[0:3], v20 offset0:64 offset1:96
	v_lshrrev_b32_e32 v17, 16, v5
	v_and_b32_e32 v5, 0xffff, v5
	s_delay_alu instid0(VALU_DEP_2) | instskip(NEXT) | instid1(VALU_DEP_2)
	v_mul_u32_u24_e32 v17, 0x10001, v17
	v_mul_u32_u24_e32 v5, 0x10001, v5
	s_wait_dscnt 0x0
	s_delay_alu instid0(VALU_DEP_1) | instskip(NEXT) | instid1(VALU_DEP_3)
	v_pk_fma_f16 v11, v0, v5, v11
	v_pk_fma_f16 v8, v0, v17, v8
	;; [unrolled: 1-line block ×8, first 2 shown]
	ds_load_2addr_b64 v[0:3], v20 offset0:128 offset1:160
	v_lshrrev_b32_e32 v16, 16, v6
	v_and_b32_e32 v6, 0xffff, v6
	s_delay_alu instid0(VALU_DEP_1) | instskip(SKIP_1) | instid1(VALU_DEP_1)
	v_mul_u32_u24_e32 v6, 0x10001, v6
	s_wait_dscnt 0x0
	v_pk_fma_f16 v11, v0, v6, v11
	v_pk_fma_f16 v14, v1, v6, v14
	;; [unrolled: 1-line block ×4, first 2 shown]
	v_lshrrev_b32_e32 v6, 16, v7
	v_mul_u32_u24_e32 v16, 0x10001, v16
	v_and_b32_e32 v7, 0xffff, v7
	s_delay_alu instid0(VALU_DEP_3) | instskip(NEXT) | instid1(VALU_DEP_3)
	v_mul_u32_u24_e32 v6, 0x10001, v6
	v_pk_fma_f16 v8, v0, v16, v8
	v_pk_fma_f16 v9, v1, v16, v9
	;; [unrolled: 1-line block ×4, first 2 shown]
	ds_load_2addr_b64 v[0:3], v20 offset0:192 offset1:224
	v_mul_u32_u24_e32 v7, 0x10001, v7
	v_add_nc_u32_e32 v20, 0x3000, v59
	s_wait_dscnt 0x0
	s_delay_alu instid0(VALU_DEP_2)
	v_pk_fma_f16 v11, v0, v7, v11
	v_pk_fma_f16 v8, v0, v6, v8
	v_pk_fma_f16 v14, v1, v7, v14
	v_pk_fma_f16 v9, v1, v6, v9
	v_pk_fma_f16 v15, v2, v7, v15
	v_pk_fma_f16 v10, v2, v6, v10
	v_pk_fma_f16 v16, v3, v7, v4
	v_pk_fma_f16 v17, v3, v6, v5
	ds_load_2addr_b64 v[0:3], v20 offset1:32
	ds_load_b128 v[4:7], v34 offset:21088
	s_wait_dscnt 0x0
	v_lshrrev_b32_e32 v21, 16, v4
	v_and_b32_e32 v4, 0xffff, v4
	s_delay_alu instid0(VALU_DEP_2) | instskip(NEXT) | instid1(VALU_DEP_2)
	v_mul_u32_u24_e32 v21, 0x10001, v21
	v_mul_u32_u24_e32 v4, 0x10001, v4
	s_delay_alu instid0(VALU_DEP_2) | instskip(NEXT) | instid1(VALU_DEP_2)
	v_pk_fma_f16 v8, v0, v21, v8
	v_pk_fma_f16 v11, v0, v4, v11
	;; [unrolled: 1-line block ×8, first 2 shown]
	ds_load_2addr_b64 v[0:3], v20 offset0:64 offset1:96
	v_lshrrev_b32_e32 v17, 16, v5
	v_and_b32_e32 v5, 0xffff, v5
	s_delay_alu instid0(VALU_DEP_2) | instskip(NEXT) | instid1(VALU_DEP_2)
	v_mul_u32_u24_e32 v17, 0x10001, v17
	v_mul_u32_u24_e32 v5, 0x10001, v5
	s_wait_dscnt 0x0
	s_delay_alu instid0(VALU_DEP_1) | instskip(NEXT) | instid1(VALU_DEP_3)
	v_pk_fma_f16 v11, v0, v5, v11
	v_pk_fma_f16 v8, v0, v17, v8
	;; [unrolled: 1-line block ×8, first 2 shown]
	ds_load_2addr_b64 v[0:3], v20 offset0:128 offset1:160
	v_lshrrev_b32_e32 v16, 16, v6
	v_and_b32_e32 v6, 0xffff, v6
	s_delay_alu instid0(VALU_DEP_2) | instskip(NEXT) | instid1(VALU_DEP_2)
	v_mul_u32_u24_e32 v16, 0x10001, v16
	v_mul_u32_u24_e32 v6, 0x10001, v6
	s_wait_dscnt 0x0
	s_delay_alu instid0(VALU_DEP_1) | instskip(NEXT) | instid1(VALU_DEP_3)
	v_pk_fma_f16 v11, v0, v6, v11
	v_pk_fma_f16 v0, v0, v16, v8
	;; [unrolled: 1-line block ×8, first 2 shown]
	ds_load_2addr_b64 v[2:5], v20 offset0:192 offset1:224
	v_lshrrev_b32_e32 v1, 16, v7
	v_and_b32_e32 v6, 0xffff, v7
	s_delay_alu instid0(VALU_DEP_2) | instskip(NEXT) | instid1(VALU_DEP_2)
	v_mul_u32_u24_e32 v20, 0x10001, v1
	v_mul_u32_u24_e32 v17, 0x10001, v6
	s_wait_dscnt 0x0
	s_delay_alu instid0(VALU_DEP_2) | instskip(SKIP_1) | instid1(VALU_DEP_3)
	v_pk_fma_f16 v6, v2, v20, v0
	v_add_nc_u32_e32 v0, 0x3800, v59
	v_pk_fma_f16 v1, v2, v17, v11
	v_pk_fma_f16 v7, v3, v17, v8
	;; [unrolled: 1-line block ×7, first 2 shown]
	ds_load_2addr_b64 v[20:23], v0 offset1:32
	ds_load_b128 v[2:5], v34 offset:21104
	s_wait_dscnt 0x0
	v_lshrrev_b32_e32 v15, 16, v2
	v_and_b32_e32 v2, 0xffff, v2
	s_delay_alu instid0(VALU_DEP_2) | instskip(NEXT) | instid1(VALU_DEP_2)
	v_mul_u32_u24_e32 v15, 0x10001, v15
	v_mul_u32_u24_e32 v2, 0x10001, v2
	s_delay_alu instid0(VALU_DEP_2) | instskip(NEXT) | instid1(VALU_DEP_2)
	v_pk_fma_f16 v16, v20, v15, v6
	v_pk_fma_f16 v1, v20, v2, v1
	v_pk_fma_f16 v17, v21, v2, v7
	v_pk_fma_f16 v20, v21, v15, v8
	v_pk_fma_f16 v21, v22, v2, v9
	ds_load_2addr_b64 v[6:9], v0 offset0:64 offset1:96
	v_pk_fma_f16 v2, v23, v2, v11
	v_pk_fma_f16 v11, v23, v15, v14
	v_lshrrev_b32_e32 v14, 16, v3
	v_and_b32_e32 v3, 0xffff, v3
	v_pk_fma_f16 v10, v22, v15, v10
	s_delay_alu instid0(VALU_DEP_3) | instskip(NEXT) | instid1(VALU_DEP_3)
	v_mul_u32_u24_e32 v14, 0x10001, v14
	v_mul_u32_u24_e32 v3, 0x10001, v3
	s_wait_dscnt 0x0
	s_delay_alu instid0(VALU_DEP_1) | instskip(NEXT) | instid1(VALU_DEP_3)
	v_pk_fma_f16 v1, v6, v3, v1
	v_pk_fma_f16 v15, v6, v14, v16
	;; [unrolled: 1-line block ×8, first 2 shown]
	ds_load_2addr_b64 v[6:9], v0 offset0:128 offset1:160
	v_lshrrev_b32_e32 v11, 16, v4
	v_and_b32_e32 v4, 0xffff, v4
	s_delay_alu instid0(VALU_DEP_2) | instskip(NEXT) | instid1(VALU_DEP_2)
	v_mul_u32_u24_e32 v21, 0x10001, v11
	v_mul_u32_u24_e32 v14, 0x10001, v4
	s_wait_dscnt 0x0
	s_delay_alu instid0(VALU_DEP_1) | instskip(NEXT) | instid1(VALU_DEP_3)
	v_pk_fma_f16 v22, v6, v14, v1
	v_pk_fma_f16 v23, v6, v21, v15
	;; [unrolled: 1-line block ×7, first 2 shown]
	ds_load_2addr_b64 v[0:3], v0 offset0:192 offset1:224
	v_pk_fma_f16 v10, v8, v21, v10
	v_lshrrev_b32_e32 v8, 16, v5
	v_and_b32_e32 v5, 0xffff, v5
	v_mov_b64_e32 v[20:21], v[18:19]
	s_wait_dscnt 0x0
	s_barrier_signal -1
	v_mul_u32_u24_e32 v16, 0x10001, v8
	v_mul_u32_u24_e32 v15, 0x10001, v5
	s_barrier_wait -1
	s_delay_alu instid0(VALU_DEP_1) | instskip(NEXT) | instid1(VALU_DEP_3)
	v_pk_fma_f16 v64, v0, v15, v22
	v_pk_fma_f16 v63, v0, v16, v23
	;; [unrolled: 1-line block ×8, first 2 shown]
.LBB72_48:
	v_cmp_lt_i32_e32 vcc_lo, v28, v30
	s_cmp_eq_u64 s[12:13], 0
	s_cselect_b32 s2, -1, 0
	s_cmp_lg_u32 s20, 0
	v_cndmask_b32_e32 v0, v58, v28, vcc_lo
	v_cmp_lt_i32_e32 vcc_lo, v29, v30
	s_cselect_b32 s3, -1, 0
	s_delay_alu instid0(SALU_CYCLE_1) | instskip(NEXT) | instid1(VALU_DEP_2)
	s_or_b32 s2, s3, s2
	v_dual_cndmask_b32 v2, v58, v29 :: v_dual_lshlrev_b32 v1, 2, v0
	v_cmp_lt_i32_e32 vcc_lo, v31, v30
	s_delay_alu instid0(VALU_DEP_2) | instskip(SKIP_4) | instid1(VALU_DEP_2)
	v_lshlrev_b32_e32 v3, 2, v2
	ds_bpermute_b32 v0, v1, v12
	ds_bpermute_b32 v1, v1, v13
	v_cndmask_b32_e32 v10, v58, v31, vcc_lo
	v_cmp_lt_i32_e32 vcc_lo, v32, v30
	v_lshlrev_b32_e32 v10, 2, v10
	s_wait_dscnt 0x0
	v_pk_add_f32 v[0:1], v[12:13], v[0:1]
	ds_bpermute_b32 v2, v3, v0
	ds_bpermute_b32 v3, v3, v1
	s_wait_dscnt 0x0
	v_pk_add_f32 v[0:1], v[0:1], v[2:3]
	ds_bpermute_b32 v2, v10, v0
	ds_bpermute_b32 v3, v10, v1
	v_cndmask_b32_e32 v10, v58, v32, vcc_lo
	v_cmp_lt_i32_e32 vcc_lo, v33, v30
	s_delay_alu instid0(VALU_DEP_2)
	v_lshlrev_b32_e32 v10, 2, v10
	s_wait_dscnt 0x0
	v_pk_add_f32 v[0:1], v[0:1], v[2:3]
	ds_bpermute_b32 v2, v10, v0
	ds_bpermute_b32 v3, v10, v1
	v_cndmask_b32_e32 v10, v58, v33, vcc_lo
	s_and_b32 vcc_lo, exec_lo, s2
	s_delay_alu instid0(VALU_DEP_1)
	v_lshlrev_b32_e32 v10, 2, v10
	s_wait_dscnt 0x0
	v_pk_add_f32 v[0:1], v[0:1], v[2:3]
	ds_bpermute_b32 v2, v10, v0
	ds_bpermute_b32 v3, v10, v1
	s_wait_dscnt 0x0
	v_pk_add_f32 v[0:1], v[0:1], v[2:3]
	s_cbranch_vccnz .LBB72_50
; %bb.49:
	v_dual_mov_b32 v2, s33 :: v_dual_max_num_f32 v11, v21, v21
	global_load_b32 v10, v2, s[12:13] scale_offset
	s_wait_loadcnt 0x0
	v_dual_max_num_f32 v2, v20, v20 :: v_dual_max_num_f32 v3, v10, v10
	s_delay_alu instid0(VALU_DEP_1) | instskip(NEXT) | instid1(VALU_DEP_1)
	v_dual_max_num_f32 v2, v2, v3 :: v_dual_max_num_f32 v3, v11, v3
	v_dual_sub_f32 v11, v20, v2 :: v_dual_sub_f32 v12, v10, v2
	s_delay_alu instid0(VALU_DEP_2) | instskip(NEXT) | instid1(VALU_DEP_2)
	v_dual_sub_f32 v13, v21, v3 :: v_dual_sub_f32 v14, v10, v3
	v_dual_mul_f32 v10, 0x3fb8aa3b, v11 :: v_dual_mul_f32 v15, 0x3fb8aa3b, v12
	s_delay_alu instid0(VALU_DEP_2) | instskip(SKIP_1) | instid1(VALU_DEP_3)
	v_dual_mul_f32 v16, 0x3fb8aa3b, v13 :: v_dual_mul_f32 v17, 0x3fb8aa3b, v14
	v_cmp_ngt_f32_e32 vcc_lo, 0xc2ce8ed0, v11
	v_fma_f32 v18, 0x3fb8aa3b, v11, -v10
	s_delay_alu instid0(VALU_DEP_4) | instskip(SKIP_4) | instid1(VALU_DEP_4)
	v_fma_f32 v20, 0x3fb8aa3b, v12, -v15
	v_rndne_f32_e32 v21, v15
	v_rndne_f32_e32 v19, v10
	v_fma_f32 v22, 0x3fb8aa3b, v13, -v16
	v_rndne_f32_e32 v23, v16
	v_dual_fmac_f32 v18, 0x32a5705f, v11 :: v_dual_sub_f32 v15, v15, v21
	v_rndne_f32_e32 v25, v17
	v_fmac_f32_e32 v20, 0x32a5705f, v12
	v_fma_f32 v24, 0x3fb8aa3b, v14, -v17
	s_delay_alu instid0(VALU_DEP_3) | instskip(NEXT) | instid1(VALU_DEP_3)
	v_dual_sub_f32 v16, v16, v23 :: v_dual_sub_f32 v17, v17, v25
	v_dual_fmac_f32 v22, 0x32a5705f, v13 :: v_dual_add_f32 v15, v15, v20
	v_sub_f32_e32 v10, v10, v19
	v_cvt_i32_f32_e32 v20, v21
	s_delay_alu instid0(VALU_DEP_3) | instskip(NEXT) | instid1(VALU_DEP_4)
	v_add_f32_e32 v16, v16, v22
	v_exp_f32_e32 v15, v15
	s_delay_alu instid0(VALU_DEP_3) | instskip(SKIP_3) | instid1(VALU_DEP_3)
	v_add_f32_e32 v10, v10, v18
	v_cvt_i32_f32_e32 v18, v19
	v_cvt_i32_f32_e32 v19, v23
	v_exp_f32_e32 v16, v16
	v_exp_f32_e32 v10, v10
	s_delay_alu instid0(TRANS32_DEP_3) | instskip(SKIP_1) | instid1(TRANS32_DEP_2)
	v_ldexp_f32 v15, v15, v20
	v_mov_b64_e32 v[20:21], v[2:3]
	v_ldexp_f32 v16, v16, v19
	s_delay_alu instid0(TRANS32_DEP_1) | instskip(SKIP_1) | instid1(VALU_DEP_2)
	v_ldexp_f32 v10, v10, v18
	v_cvt_i32_f32_e32 v18, v25
	v_cndmask_b32_e32 v10, 0, v10, vcc_lo
	v_cmp_ngt_f32_e32 vcc_lo, 0xc2ce8ed0, v13
	v_cndmask_b32_e32 v16, 0, v16, vcc_lo
	v_cmp_nlt_f32_e32 vcc_lo, 0x42b17218, v11
	s_delay_alu instid0(VALU_DEP_4) | instskip(SKIP_1) | instid1(VALU_DEP_2)
	v_cndmask_b32_e32 v10, 0x7f800000, v10, vcc_lo
	v_cmp_nlt_f32_e32 vcc_lo, 0x42b17218, v13
	v_cvt_f16_f32_e32 v13, v10
	v_cndmask_b32_e32 v11, 0x7f800000, v16, vcc_lo
	v_cmp_ngt_f32_e32 vcc_lo, 0xc2ce8ed0, v12
	v_dual_fmac_f32 v24, 0x32a5705f, v14 :: v_dual_cndmask_b32 v15, 0, v15
	s_delay_alu instid0(VALU_DEP_1) | instskip(SKIP_1) | instid1(VALU_DEP_2)
	v_add_f32_e32 v17, v17, v24
	v_cmp_ngt_f32_e32 vcc_lo, 0xc2ce8ed0, v14
	v_exp_f32_e32 v17, v17
	v_nop
	s_delay_alu instid0(TRANS32_DEP_1) | instskip(SKIP_1) | instid1(VALU_DEP_2)
	v_ldexp_f32 v17, v17, v18
	v_and_b32_e32 v18, 0xffff, v13
	v_cndmask_b32_e32 v16, 0, v17, vcc_lo
	v_cmp_nlt_f32_e32 vcc_lo, 0x42b17218, v12
	v_cvt_f16_f32_e32 v17, v11
	v_cndmask_b32_e32 v12, 0x7f800000, v15, vcc_lo
	v_cmp_nlt_f32_e32 vcc_lo, 0x42b17218, v14
	s_delay_alu instid0(VALU_DEP_3) | instskip(SKIP_2) | instid1(VALU_DEP_2)
	v_and_b32_e32 v14, 0xffff, v17
	v_mul_u32_u24_e32 v15, 0x10001, v18
	v_cndmask_b32_e32 v13, 0x7f800000, v16, vcc_lo
	v_pk_mul_f16 v64, v64, v15
	v_pk_mul_f16 v9, v9, v15
	;; [unrolled: 1-line block ×3, first 2 shown]
	s_delay_alu instid0(VALU_DEP_4) | instskip(SKIP_2) | instid1(VALU_DEP_2)
	v_pk_fma_f32 v[0:1], v[0:1], v[10:11], v[12:13]
	v_mul_u32_u24_e32 v10, 0x10001, v14
	v_pk_mul_f16 v7, v7, v15
	v_pk_mul_f16 v63, v63, v10
	;; [unrolled: 1-line block ×5, first 2 shown]
.LBB72_50:
	s_mov_b32 s2, exec_lo
	v_cmpx_gt_i32_e64 s22, v56
	s_cbranch_execz .LBB72_60
; %bb.51:
	s_load_b32 s0, s[0:1], 0xd4
	v_mov_b32_e32 v2, 1.0
	s_wait_kmcnt 0x0
	s_cmp_lg_u32 s0, 1
	s_cselect_b32 s3, -1, 0
	s_cmp_eq_u32 s0, 1
	s_cselect_b32 s1, -1, 0
	s_and_b32 vcc_lo, exec_lo, s3
	s_cbranch_vccnz .LBB72_53
; %bb.52:
	v_div_scale_f32 v2, null, v0, v0, 1.0
	s_delay_alu instid0(VALU_DEP_1) | instskip(SKIP_1) | instid1(TRANS32_DEP_1)
	v_rcp_f32_e32 v3, v2
	v_nop
	v_fma_f32 v10, -v2, v3, 1.0
	s_delay_alu instid0(VALU_DEP_1) | instskip(SKIP_1) | instid1(VALU_DEP_1)
	v_fmac_f32_e32 v3, v10, v3
	v_div_scale_f32 v10, vcc_lo, 1.0, v0, 1.0
	v_mul_f32_e32 v11, v10, v3
	s_delay_alu instid0(VALU_DEP_1) | instskip(NEXT) | instid1(VALU_DEP_1)
	v_fma_f32 v12, -v2, v11, v10
	v_fmac_f32_e32 v11, v12, v3
	s_delay_alu instid0(VALU_DEP_1) | instskip(NEXT) | instid1(VALU_DEP_1)
	v_fma_f32 v2, -v2, v11, v10
	v_div_fmas_f32 v2, v2, v3, v11
	s_delay_alu instid0(VALU_DEP_1)
	v_div_fixup_f32 v2, v2, v0, 1.0
.LBB72_53:
	s_mul_i32 s2, s28, s22
	v_dual_lshrrev_b32 v11, 16, v64 :: v_dual_lshrrev_b32 v13, 16, v9
	s_add_co_i32 s2, s2, s38
	s_delay_alu instid0(SALU_CYCLE_1)
	v_dual_mov_b32 v15, 0 :: v_dual_add_nc_u32 v3, s2, v54
	v_cvt_f32_f16_e32 v12, v9
	v_lshrrev_b32_e32 v9, 16, v8
	v_cvt_f32_f16_e32 v16, v8
	v_lshrrev_b32_e32 v8, 16, v7
	v_mad_u32 v3, v3, s23, s33
	v_cvt_f32_f16_e32 v10, v64
	v_cvt_f32_f16_e32 v11, v11
	v_cvt_f32_f16_e32 v13, v13
	v_cvt_f32_f16_e32 v18, v7
	v_cvt_f32_f16_e32 v17, v9
	v_cvt_f32_f16_e32 v19, v8
	v_cmp_eq_u32_e32 vcc_lo, 0, v57
	v_mad_u32 v3, s0, v3, s20
	s_and_b32 s3, vcc_lo, s3
	s_delay_alu instid0(VALU_DEP_1) | instskip(SKIP_3) | instid1(VALU_DEP_4)
	v_lshl_add_u32 v14, v3, 8, v55
	v_pk_mul_f32 v[8:9], v[2:3], v[10:11] op_sel_hi:[0,1]
	v_pk_mul_f32 v[10:11], v[2:3], v[12:13] op_sel_hi:[0,1]
	v_pk_mul_f32 v[12:13], v[2:3], v[16:17] op_sel_hi:[0,1]
	v_lshl_add_u64 v[22:23], v[14:15], 2, s[16:17]
	v_add_nc_u32_e32 v14, 0x80, v14
	s_delay_alu instid0(VALU_DEP_1)
	v_lshl_add_u64 v[16:17], v[14:15], 2, s[16:17]
	v_pk_mul_f32 v[14:15], v[2:3], v[18:19] op_sel_hi:[0,1]
	s_clause 0x1
	global_store_b128 v[22:23], v[8:11], off
	global_store_b128 v[16:17], v[12:15], off
	s_wait_xcnt 0x0
	s_and_saveexec_b32 s4, s3
	s_cbranch_execz .LBB72_55
; %bb.54:
	v_dual_mov_b32 v8, v20 :: v_dual_mov_b32 v9, v0
	global_store_b64 v3, v[8:9], s[18:19] scale_offset
.LBB72_55:
	s_wait_xcnt 0x0
	s_or_b32 exec_lo, exec_lo, s4
	v_cmp_gt_i32_e32 vcc_lo, s22, v53
	s_and_b32 exec_lo, exec_lo, vcc_lo
	s_cbranch_execz .LBB72_60
; %bb.56:
	v_mov_b32_e32 v0, 1.0
	s_and_not1_b32 vcc_lo, exec_lo, s1
	s_cbranch_vccnz .LBB72_58
; %bb.57:
	v_div_scale_f32 v0, null, v1, v1, 1.0
	s_delay_alu instid0(VALU_DEP_1) | instskip(SKIP_1) | instid1(TRANS32_DEP_1)
	v_rcp_f32_e32 v2, v0
	v_nop
	v_fma_f32 v3, -v0, v2, 1.0
	s_delay_alu instid0(VALU_DEP_1) | instskip(SKIP_1) | instid1(VALU_DEP_1)
	v_fmac_f32_e32 v2, v3, v2
	v_div_scale_f32 v3, vcc_lo, 1.0, v1, 1.0
	v_mul_f32_e32 v7, v3, v2
	s_delay_alu instid0(VALU_DEP_1) | instskip(NEXT) | instid1(VALU_DEP_1)
	v_fma_f32 v8, -v0, v7, v3
	v_fmac_f32_e32 v7, v8, v2
	s_delay_alu instid0(VALU_DEP_1) | instskip(NEXT) | instid1(VALU_DEP_1)
	v_fma_f32 v0, -v0, v7, v3
	v_div_fmas_f32 v0, v0, v2, v7
	s_delay_alu instid0(VALU_DEP_1)
	v_div_fixup_f32 v0, v0, v1, 1.0
.LBB72_58:
	v_dual_mov_b32 v11, 0 :: v_dual_add_nc_u32 v2, s2, v52
	v_dual_lshrrev_b32 v3, 16, v63 :: v_dual_lshrrev_b32 v7, 16, v6
	v_lshrrev_b32_e32 v13, 16, v5
	s_delay_alu instid0(VALU_DEP_3)
	v_mad_u32 v2, v2, s23, s33
	v_cvt_f32_f16_e32 v12, v5
	v_lshrrev_b32_e32 v5, 16, v4
	v_cvt_f32_f16_e32 v8, v63
	v_cvt_f32_f16_e32 v6, v6
	;; [unrolled: 1-line block ×7, first 2 shown]
	v_pk_mul_f32 v[4:5], v[0:1], v[8:9] op_sel_hi:[0,1]
	v_mad_u32 v2, s0, v2, s20
	v_pk_mul_f32 v[6:7], v[0:1], v[6:7] op_sel_hi:[0,1]
	v_pk_mul_f32 v[8:9], v[0:1], v[12:13] op_sel_hi:[0,1]
	s_delay_alu instid0(VALU_DEP_3) | instskip(NEXT) | instid1(VALU_DEP_1)
	v_lshl_add_u32 v10, v2, 8, v55
	v_lshl_add_u64 v[16:17], v[10:11], 2, s[16:17]
	v_add_nc_u32_e32 v10, 0x80, v10
	s_delay_alu instid0(VALU_DEP_1)
	v_lshl_add_u64 v[12:13], v[10:11], 2, s[16:17]
	v_pk_mul_f32 v[10:11], v[0:1], v[14:15] op_sel_hi:[0,1]
	s_clause 0x1
	global_store_b128 v[16:17], v[4:7], off
	global_store_b128 v[12:13], v[8:11], off
	s_wait_xcnt 0x0
	s_and_b32 exec_lo, exec_lo, s3
	s_cbranch_execz .LBB72_60
; %bb.59:
	v_mov_b32_e32 v0, v21
	global_store_b64 v2, v[0:1], s[18:19] scale_offset
.LBB72_60:
	s_sendmsg sendmsg(MSG_DEALLOC_VGPRS)
	s_endpgm
	.section	.rodata,"a",@progbits
	.p2align	6, 0x0
	.amdhsa_kernel _ZL15flash_attn_tileILi256ELi256ELi8ELi1ELb1EEvPKcS1_S1_S1_S1_PKiPfP15HIP_vector_typeIfLj2EEffffjfiS5_IjLj3EEiiiiiiiiiiiliiliiiiil
		.amdhsa_group_segment_fixed_size 21504
		.amdhsa_private_segment_fixed_size 32
		.amdhsa_kernarg_size 464
		.amdhsa_user_sgpr_count 2
		.amdhsa_user_sgpr_dispatch_ptr 0
		.amdhsa_user_sgpr_queue_ptr 0
		.amdhsa_user_sgpr_kernarg_segment_ptr 1
		.amdhsa_user_sgpr_dispatch_id 0
		.amdhsa_user_sgpr_kernarg_preload_length 0
		.amdhsa_user_sgpr_kernarg_preload_offset 0
		.amdhsa_user_sgpr_private_segment_size 0
		.amdhsa_wavefront_size32 1
		.amdhsa_uses_dynamic_stack 0
		.amdhsa_enable_private_segment 1
		.amdhsa_system_sgpr_workgroup_id_x 1
		.amdhsa_system_sgpr_workgroup_id_y 1
		.amdhsa_system_sgpr_workgroup_id_z 1
		.amdhsa_system_sgpr_workgroup_info 0
		.amdhsa_system_vgpr_workitem_id 1
		.amdhsa_next_free_vgpr 118
		.amdhsa_next_free_sgpr 47
		.amdhsa_named_barrier_count 0
		.amdhsa_reserve_vcc 1
		.amdhsa_float_round_mode_32 0
		.amdhsa_float_round_mode_16_64 0
		.amdhsa_float_denorm_mode_32 3
		.amdhsa_float_denorm_mode_16_64 3
		.amdhsa_fp16_overflow 0
		.amdhsa_memory_ordered 1
		.amdhsa_forward_progress 1
		.amdhsa_inst_pref_size 163
		.amdhsa_round_robin_scheduling 0
		.amdhsa_exception_fp_ieee_invalid_op 0
		.amdhsa_exception_fp_denorm_src 0
		.amdhsa_exception_fp_ieee_div_zero 0
		.amdhsa_exception_fp_ieee_overflow 0
		.amdhsa_exception_fp_ieee_underflow 0
		.amdhsa_exception_fp_ieee_inexact 0
		.amdhsa_exception_int_div_zero 0
	.end_amdhsa_kernel
	.section	.text._ZL15flash_attn_tileILi256ELi256ELi8ELi1ELb1EEvPKcS1_S1_S1_S1_PKiPfP15HIP_vector_typeIfLj2EEffffjfiS5_IjLj3EEiiiiiiiiiiiliiliiiiil,"axG",@progbits,_ZL15flash_attn_tileILi256ELi256ELi8ELi1ELb1EEvPKcS1_S1_S1_S1_PKiPfP15HIP_vector_typeIfLj2EEffffjfiS5_IjLj3EEiiiiiiiiiiiliiliiiiil,comdat
.Lfunc_end72:
	.size	_ZL15flash_attn_tileILi256ELi256ELi8ELi1ELb1EEvPKcS1_S1_S1_S1_PKiPfP15HIP_vector_typeIfLj2EEffffjfiS5_IjLj3EEiiiiiiiiiiiliiliiiiil, .Lfunc_end72-_ZL15flash_attn_tileILi256ELi256ELi8ELi1ELb1EEvPKcS1_S1_S1_S1_PKiPfP15HIP_vector_typeIfLj2EEffffjfiS5_IjLj3EEiiiiiiiiiiiliiliiiiil
                                        ; -- End function
	.set _ZL15flash_attn_tileILi256ELi256ELi8ELi1ELb1EEvPKcS1_S1_S1_S1_PKiPfP15HIP_vector_typeIfLj2EEffffjfiS5_IjLj3EEiiiiiiiiiiiliiliiiiil.num_vgpr, 118
	.set _ZL15flash_attn_tileILi256ELi256ELi8ELi1ELb1EEvPKcS1_S1_S1_S1_PKiPfP15HIP_vector_typeIfLj2EEffffjfiS5_IjLj3EEiiiiiiiiiiiliiliiiiil.num_agpr, 0
	.set _ZL15flash_attn_tileILi256ELi256ELi8ELi1ELb1EEvPKcS1_S1_S1_S1_PKiPfP15HIP_vector_typeIfLj2EEffffjfiS5_IjLj3EEiiiiiiiiiiiliiliiiiil.numbered_sgpr, 47
	.set _ZL15flash_attn_tileILi256ELi256ELi8ELi1ELb1EEvPKcS1_S1_S1_S1_PKiPfP15HIP_vector_typeIfLj2EEffffjfiS5_IjLj3EEiiiiiiiiiiiliiliiiiil.num_named_barrier, 0
	.set _ZL15flash_attn_tileILi256ELi256ELi8ELi1ELb1EEvPKcS1_S1_S1_S1_PKiPfP15HIP_vector_typeIfLj2EEffffjfiS5_IjLj3EEiiiiiiiiiiiliiliiiiil.private_seg_size, 32
	.set _ZL15flash_attn_tileILi256ELi256ELi8ELi1ELb1EEvPKcS1_S1_S1_S1_PKiPfP15HIP_vector_typeIfLj2EEffffjfiS5_IjLj3EEiiiiiiiiiiiliiliiiiil.uses_vcc, 1
	.set _ZL15flash_attn_tileILi256ELi256ELi8ELi1ELb1EEvPKcS1_S1_S1_S1_PKiPfP15HIP_vector_typeIfLj2EEffffjfiS5_IjLj3EEiiiiiiiiiiiliiliiiiil.uses_flat_scratch, 1
	.set _ZL15flash_attn_tileILi256ELi256ELi8ELi1ELb1EEvPKcS1_S1_S1_S1_PKiPfP15HIP_vector_typeIfLj2EEffffjfiS5_IjLj3EEiiiiiiiiiiiliiliiiiil.has_dyn_sized_stack, 0
	.set _ZL15flash_attn_tileILi256ELi256ELi8ELi1ELb1EEvPKcS1_S1_S1_S1_PKiPfP15HIP_vector_typeIfLj2EEffffjfiS5_IjLj3EEiiiiiiiiiiiliiliiiiil.has_recursion, 0
	.set _ZL15flash_attn_tileILi256ELi256ELi8ELi1ELb1EEvPKcS1_S1_S1_S1_PKiPfP15HIP_vector_typeIfLj2EEffffjfiS5_IjLj3EEiiiiiiiiiiiliiliiiiil.has_indirect_call, 0
	.section	.AMDGPU.csdata,"",@progbits
; Kernel info:
; codeLenInByte = 20756
; TotalNumSgprs: 49
; NumVgprs: 118
; ScratchSize: 32
; MemoryBound: 0
; FloatMode: 240
; IeeeMode: 1
; LDSByteSize: 21504 bytes/workgroup (compile time only)
; SGPRBlocks: 0
; VGPRBlocks: 7
; NumSGPRsForWavesPerEU: 49
; NumVGPRsForWavesPerEU: 118
; NamedBarCnt: 0
; Occupancy: 8
; WaveLimiterHint : 1
; COMPUTE_PGM_RSRC2:SCRATCH_EN: 1
; COMPUTE_PGM_RSRC2:USER_SGPR: 2
; COMPUTE_PGM_RSRC2:TRAP_HANDLER: 0
; COMPUTE_PGM_RSRC2:TGID_X_EN: 1
; COMPUTE_PGM_RSRC2:TGID_Y_EN: 1
; COMPUTE_PGM_RSRC2:TGID_Z_EN: 1
; COMPUTE_PGM_RSRC2:TIDIG_COMP_CNT: 1
	.section	.text._ZL15flash_attn_tileILi256ELi256ELi4ELi1ELb1EEvPKcS1_S1_S1_S1_PKiPfP15HIP_vector_typeIfLj2EEffffjfiS5_IjLj3EEiiiiiiiiiiiliiliiiiil,"axG",@progbits,_ZL15flash_attn_tileILi256ELi256ELi4ELi1ELb1EEvPKcS1_S1_S1_S1_PKiPfP15HIP_vector_typeIfLj2EEffffjfiS5_IjLj3EEiiiiiiiiiiiliiliiiiil,comdat
	.globl	_ZL15flash_attn_tileILi256ELi256ELi4ELi1ELb1EEvPKcS1_S1_S1_S1_PKiPfP15HIP_vector_typeIfLj2EEffffjfiS5_IjLj3EEiiiiiiiiiiiliiliiiiil ; -- Begin function _ZL15flash_attn_tileILi256ELi256ELi4ELi1ELb1EEvPKcS1_S1_S1_S1_PKiPfP15HIP_vector_typeIfLj2EEffffjfiS5_IjLj3EEiiiiiiiiiiiliiliiiiil
	.p2align	8
	.type	_ZL15flash_attn_tileILi256ELi256ELi4ELi1ELb1EEvPKcS1_S1_S1_S1_PKiPfP15HIP_vector_typeIfLj2EEffffjfiS5_IjLj3EEiiiiiiiiiiiliiliiiiil,@function
_ZL15flash_attn_tileILi256ELi256ELi4ELi1ELb1EEvPKcS1_S1_S1_S1_PKiPfP15HIP_vector_typeIfLj2EEffffjfiS5_IjLj3EEiiiiiiiiiiiliiliiiiil: ; @_ZL15flash_attn_tileILi256ELi256ELi4ELi1ELb1EEvPKcS1_S1_S1_S1_PKiPfP15HIP_vector_typeIfLj2EEffffjfiS5_IjLj3EEiiiiiiiiiiiliiliiiiil
; %bb.0:
	s_clause 0x1
	s_load_b128 s[20:23], s[0:1], 0x5c
	s_load_b64 s[34:35], s[0:1], 0x80
	s_bfe_u32 s4, ttmp6, 0x40014
	s_lshr_b32 s3, ttmp7, 16
	s_add_co_i32 s4, s4, 1
	s_bfe_u32 s5, ttmp6, 0x40008
	s_mul_i32 s4, s3, s4
	s_getreg_b32 s40, hwreg(HW_REG_IB_STS2, 6, 4)
	s_add_co_i32 s5, s5, s4
	s_load_b64 s[36:37], s[0:1], 0xb8
	s_mov_b64 s[30:31], 0
	s_wait_kmcnt 0x0
	s_cvt_f32_u32 s2, s23
	s_sub_co_i32 s6, 0, s23
	s_delay_alu instid0(SALU_CYCLE_2) | instskip(SKIP_1) | instid1(TRANS32_DEP_1)
	v_rcp_iflag_f32_e32 v1, s2
	v_nop
	v_readfirstlane_b32 s2, v1
	s_mul_f32 s2, s2, 0x4f7ffffe
	s_delay_alu instid0(SALU_CYCLE_3) | instskip(NEXT) | instid1(SALU_CYCLE_3)
	s_cvt_u32_f32 s2, s2
	s_mul_i32 s6, s6, s2
	s_delay_alu instid0(SALU_CYCLE_1) | instskip(NEXT) | instid1(SALU_CYCLE_1)
	s_mul_hi_u32 s6, s2, s6
	s_add_co_i32 s2, s2, s6
	s_cmp_eq_u32 s40, 0
	s_cselect_b32 s3, s3, s5
	s_delay_alu instid0(SALU_CYCLE_1) | instskip(NEXT) | instid1(SALU_CYCLE_1)
	s_mul_hi_u32 s2, s3, s2
	s_mul_i32 s4, s2, s23
	s_add_co_i32 s5, s2, 1
	s_sub_co_i32 s4, s3, s4
	s_delay_alu instid0(SALU_CYCLE_1)
	s_sub_co_i32 s6, s4, s23
	s_cmp_ge_u32 s4, s23
	s_cselect_b32 s2, s5, s2
	s_cselect_b32 s4, s6, s4
	s_add_co_i32 s5, s2, 1
	s_cmp_ge_u32 s4, s23
	s_cselect_b32 s28, s5, s2
	s_abs_i32 s2, s35
	s_mul_i32 s6, s28, s23
	s_cvt_f32_u32 s4, s2
	s_sub_co_i32 s5, 0, s2
	s_abs_i32 s7, s23
	s_sub_co_i32 s33, s3, s6
	v_rcp_iflag_f32_e32 v1, s4
	v_nop
	s_delay_alu instid0(TRANS32_DEP_1) | instskip(SKIP_1) | instid1(SALU_CYCLE_3)
	v_readfirstlane_b32 s4, v1
	s_mul_f32 s4, s4, 0x4f7ffffe
	s_cvt_u32_f32 s4, s4
	s_delay_alu instid0(SALU_CYCLE_3) | instskip(NEXT) | instid1(SALU_CYCLE_1)
	s_mul_i32 s5, s5, s4
	s_mul_hi_u32 s5, s4, s5
	s_delay_alu instid0(SALU_CYCLE_1) | instskip(NEXT) | instid1(SALU_CYCLE_1)
	s_add_co_i32 s4, s4, s5
	s_mul_hi_u32 s3, s7, s4
	s_xor_b32 s4, s23, s35
	s_mul_i32 s5, s3, s2
	s_ashr_i32 s4, s4, 31
	s_sub_co_i32 s5, s7, s5
	s_add_co_i32 s6, s3, 1
	s_sub_co_i32 s7, s5, s2
	s_cmp_ge_u32 s5, s2
	s_cselect_b32 s3, s6, s3
	s_cselect_b32 s5, s7, s5
	s_add_co_i32 s6, s3, 1
	s_cmp_ge_u32 s5, s2
	s_cselect_b32 s2, s6, s3
	s_mov_b32 s3, 0
	s_xor_b32 s2, s2, s4
	s_delay_alu instid0(SALU_CYCLE_1) | instskip(SKIP_2) | instid1(SALU_CYCLE_1)
	s_sub_co_i32 s29, s2, s4
	s_load_b512 s[4:19], s[0:1], 0x0
	s_abs_i32 s35, s29
	s_cvt_f32_u32 s2, s35
	s_delay_alu instid0(SALU_CYCLE_3) | instskip(SKIP_1) | instid1(TRANS32_DEP_1)
	v_rcp_iflag_f32_e32 v1, s2
	v_nop
	v_readfirstlane_b32 s2, v1
	s_mul_f32 s2, s2, 0x4f7ffffe
	s_delay_alu instid0(SALU_CYCLE_3) | instskip(SKIP_1) | instid1(SALU_CYCLE_2)
	s_cvt_u32_f32 s24, s2
	s_sub_co_i32 s2, 0, s35
	s_mul_i32 s2, s2, s24
	s_delay_alu instid0(SALU_CYCLE_1)
	s_mul_hi_u32 s25, s24, s2
	s_abs_i32 s2, s33
	s_add_co_i32 s38, s24, s25
	s_wait_kmcnt 0x0
	s_cmp_eq_u64 s[10:11], 0
	s_cbranch_scc1 .LBB73_2
; %bb.1:
	s_abs_i32 s26, s36
	s_abs_i32 s27, s28
	s_cvt_f32_u32 s24, s26
	s_sub_co_i32 s25, 0, s26
	s_delay_alu instid0(SALU_CYCLE_2) | instskip(SKIP_1) | instid1(TRANS32_DEP_1)
	v_rcp_iflag_f32_e32 v1, s24
	v_nop
	v_readfirstlane_b32 s24, v1
	s_mul_f32 s24, s24, 0x4f7ffffe
	s_delay_alu instid0(SALU_CYCLE_3) | instskip(NEXT) | instid1(SALU_CYCLE_3)
	s_cvt_u32_f32 s24, s24
	s_mul_i32 s25, s25, s24
	s_delay_alu instid0(SALU_CYCLE_1) | instskip(NEXT) | instid1(SALU_CYCLE_1)
	s_mul_hi_u32 s25, s24, s25
	s_add_co_i32 s24, s24, s25
	s_delay_alu instid0(SALU_CYCLE_1) | instskip(SKIP_2) | instid1(SALU_CYCLE_1)
	s_mul_hi_u32 s30, s27, s24
	s_load_b64 s[24:25], s[0:1], 0xc8
	s_mul_i32 s30, s30, s26
	s_sub_co_i32 s27, s27, s30
	s_ashr_i32 s30, s28, 31
	s_sub_co_i32 s31, s27, s26
	s_cmp_ge_u32 s27, s26
	s_cselect_b32 s27, s31, s27
	s_delay_alu instid0(SALU_CYCLE_1) | instskip(SKIP_2) | instid1(SALU_CYCLE_1)
	s_sub_co_i32 s31, s27, s26
	s_cmp_ge_u32 s27, s26
	s_cselect_b32 s26, s31, s27
	s_xor_b32 s26, s26, s30
	s_delay_alu instid0(SALU_CYCLE_1) | instskip(NEXT) | instid1(SALU_CYCLE_1)
	s_sub_co_i32 s26, s26, s30
	s_ashr_i32 s27, s26, 31
	s_wait_kmcnt 0x0
	s_mul_u64 s[24:25], s[24:25], s[26:27]
	s_delay_alu instid0(SALU_CYCLE_1)
	s_add_nc_u64 s[30:31], s[10:11], s[24:25]
.LBB73_2:
	s_clause 0x1
	s_load_b128 s[24:27], s[0:1], 0x40
	s_load_b64 s[10:11], s[0:1], 0x50
	v_mov_b32_e32 v121, 1.0
	s_mov_b32 s39, s3
	s_wait_kmcnt 0x0
	s_cmp_le_f32 s25, 0
	s_cbranch_scc1 .LBB73_4
; %bb.3:
	v_sub_co_u32 v1, s10, s33, s10
	s_and_b32 s36, s10, exec_lo
	s_cselect_b32 s26, s26, s27
	s_add_co_i32 s27, s33, 1
	v_readfirstlane_b32 s25, v1
	s_lshl_b32 s25, s25, 1
	s_delay_alu instid0(SALU_CYCLE_1) | instskip(SKIP_4) | instid1(SALU_CYCLE_3)
	s_or_b32 s25, s25, 1
	s_and_b32 s10, s10, exec_lo
	s_cselect_b32 s10, s27, s25
	s_cmp_neq_f32 s26, 1.0
	s_cvt_f32_i32 s10, s10
	s_cselect_b32 s25, s10, 1.0
	s_delay_alu instid0(SALU_CYCLE_1) | instskip(SKIP_1) | instid1(SALU_CYCLE_1)
	s_cmp_neq_f32 s25, 0
	s_cselect_b32 s10, s26, 1.0
	v_cvt_f64_f32_e64 v[2:3], |s10|
	s_delay_alu instid0(VALU_DEP_1) | instskip(SKIP_1) | instid1(VALU_DEP_1)
	v_frexp_exp_i32_f64_e32 v1, v[2:3]
	v_frexp_mant_f32_e64 v2, |s10|
	v_readfirstlane_b32 s26, v2
	s_cmp_lt_f32 s26, 0x3f2aaaab
	s_cselect_b32 vcc_lo, -1, 0
	s_delay_alu instid0(SALU_CYCLE_1) | instskip(SKIP_1) | instid1(SALU_CYCLE_1)
	s_and_b32 s27, vcc_lo, exec_lo
	s_cselect_b32 s27, 2.0, 1.0
	s_mul_f32 s26, s26, s27
	s_delay_alu instid0(SALU_CYCLE_3) | instskip(SKIP_1) | instid1(SALU_CYCLE_2)
	s_add_f32 s27, s26, 1.0
	s_add_f32 s41, s26, -1.0
	v_s_rcp_f32 s36, s27
	s_add_f32 s44, s27, -1.0
	v_subrev_co_ci_u32_e64 v1, null, 0, v1, vcc_lo
	s_delay_alu instid0(SALU_CYCLE_2) | instskip(NEXT) | instid1(TRANS32_DEP_1)
	s_sub_f32 s26, s26, s44
	s_mul_f32 s42, s41, s36
	v_cvt_f32_i32_e32 v1, v1
	s_delay_alu instid0(SALU_CYCLE_2) | instskip(NEXT) | instid1(SALU_CYCLE_3)
	s_mul_f32 s43, s27, s42
	v_dual_mov_b32 v3, s41 :: v_dual_mov_b32 v4, s43
	s_xor_b32 s45, s43, 0x80000000
	s_delay_alu instid0(SALU_CYCLE_1) | instskip(NEXT) | instid1(SALU_CYCLE_3)
	s_fmac_f32 s45, s42, s27
	s_fmac_f32 s45, s42, s26
	s_delay_alu instid0(SALU_CYCLE_3) | instskip(SKIP_2) | instid1(SALU_CYCLE_1)
	s_add_f32 s26, s43, s45
	v_mov_b32_e32 v6, s45
	s_mov_b32 s43, 0x3e76c4e1
	s_sub_f32 s27, s41, s26
	v_dual_mov_b32 v2, s26 :: v_dual_mov_b32 v7, s26
	s_delay_alu instid0(SALU_CYCLE_2) | instskip(NEXT) | instid1(VALU_DEP_1)
	v_mov_b32_e32 v5, s27
	v_pk_add_f32 v[2:3], v[2:3], v[4:5] neg_lo:[0,1] neg_hi:[0,1]
	s_delay_alu instid0(VALU_DEP_1) | instskip(NEXT) | instid1(VALU_DEP_1)
	v_pk_add_f32 v[2:3], v[2:3], v[6:7] neg_lo:[0,1] neg_hi:[0,1]
	v_readfirstlane_b32 s26, v3
	s_delay_alu instid0(VALU_DEP_2) | instskip(SKIP_1) | instid1(SALU_CYCLE_3)
	v_readfirstlane_b32 s41, v2
	s_add_f32 s26, s41, s26
	s_add_f32 s26, s27, s26
	s_delay_alu instid0(SALU_CYCLE_3) | instskip(NEXT) | instid1(SALU_CYCLE_3)
	s_mul_f32 s27, s36, s26
	s_add_f32 s26, s42, s27
	s_delay_alu instid0(SALU_CYCLE_3) | instskip(SKIP_1) | instid1(SALU_CYCLE_2)
	s_sub_f32 s36, s26, s42
	s_mul_f32 s41, s26, s26
	s_sub_f32 s36, s27, s36
	s_delay_alu instid0(SALU_CYCLE_2) | instskip(NEXT) | instid1(SALU_CYCLE_1)
	s_xor_b32 s27, s41, 0x80000000
	s_fmac_f32 s27, s26, s26
	s_delay_alu instid0(SALU_CYCLE_1) | instskip(NEXT) | instid1(SALU_CYCLE_3)
	s_add_f32 s42, s36, s36
	s_fmac_f32 s27, s26, s42
	s_delay_alu instid0(SALU_CYCLE_3) | instskip(NEXT) | instid1(SALU_CYCLE_3)
	s_add_f32 s42, s41, s27
	s_fmaak_f32 s43, s42, s43, 0x3e91f4c4
	s_sub_f32 s41, s42, s41
	s_delay_alu instid0(SALU_CYCLE_2) | instskip(NEXT) | instid1(SALU_CYCLE_2)
	s_fmaak_f32 s43, s42, s43, 0x3ecccdef
	s_sub_f32 s41, s27, s41
	s_delay_alu instid0(SALU_CYCLE_2) | instskip(NEXT) | instid1(SALU_CYCLE_3)
	s_mul_f32 s44, s42, s43
	s_xor_b32 s45, s44, 0x80000000
	s_delay_alu instid0(SALU_CYCLE_1) | instskip(NEXT) | instid1(SALU_CYCLE_3)
	s_fmac_f32 s45, s42, s43
	s_fmac_f32 s45, s41, s43
	s_delay_alu instid0(SALU_CYCLE_3) | instskip(NEXT) | instid1(SALU_CYCLE_3)
	s_add_f32 s43, s44, s45
	s_sub_f32 s27, s43, s44
	s_add_f32 s44, s43, 0x3f2aaaaa
	s_delay_alu instid0(SALU_CYCLE_2) | instskip(NEXT) | instid1(SALU_CYCLE_2)
	s_sub_f32 s27, s45, s27
	s_add_f32 s45, s44, 0xbf2aaaaa
	s_delay_alu instid0(SALU_CYCLE_2) | instskip(NEXT) | instid1(SALU_CYCLE_2)
	s_add_f32 s27, s27, 0x31739010
	s_sub_f32 s43, s43, s45
	s_delay_alu instid0(SALU_CYCLE_2) | instskip(NEXT) | instid1(SALU_CYCLE_2)
	v_mov_b64_e32 v[2:3], s[26:27]
	v_mov_b64_e32 v[4:5], s[42:43]
	s_delay_alu instid0(VALU_DEP_1) | instskip(SKIP_2) | instid1(VALU_DEP_3)
	v_pk_mul_f32 v[6:7], v[2:3], v[4:5]
	v_pk_add_f32 v[2:3], v[2:3], v[4:5]
	v_mov_b32_e32 v9, s44
	v_xor_b32_e32 v8, 0x80000000, v6
	s_delay_alu instid0(VALU_DEP_3) | instskip(NEXT) | instid1(VALU_DEP_2)
	v_mov_b32_e32 v7, v3
	v_fmac_f32_e64 v8, s42, s26
	s_delay_alu instid0(VALU_DEP_1) | instskip(NEXT) | instid1(VALU_DEP_1)
	v_fmac_f32_e64 v8, s42, s36
	v_fmac_f32_e64 v8, s41, s26
	s_delay_alu instid0(VALU_DEP_1) | instskip(NEXT) | instid1(VALU_DEP_1)
	v_pk_add_f32 v[4:5], v[6:7], v[8:9]
	v_dual_mov_b32 v2, v5 :: v_dual_sub_f32 v7, s44, v5
	v_mul_f32_e32 v12, 0x3f317218, v1
	s_delay_alu instid0(VALU_DEP_2) | instskip(NEXT) | instid1(VALU_DEP_3)
	v_pk_mul_f32 v[10:11], v[4:5], v[2:3]
	v_add_f32_e32 v3, v3, v7
	s_delay_alu instid0(VALU_DEP_3) | instskip(NEXT) | instid1(VALU_DEP_3)
	v_xor_b32_e32 v7, 0x80000000, v12
	v_xor_b32_e32 v2, 0x80000000, v10
	s_delay_alu instid0(VALU_DEP_2) | instskip(NEXT) | instid1(VALU_DEP_2)
	v_dual_sub_f32 v6, v4, v6 :: v_dual_fmac_f32 v7, 0x3f317218, v1
	v_fmac_f32_e32 v2, v4, v5
	s_delay_alu instid0(VALU_DEP_2) | instskip(NEXT) | instid1(VALU_DEP_2)
	v_sub_f32_e32 v6, v8, v6
	v_fmac_f32_e32 v2, v4, v3
	s_delay_alu instid0(VALU_DEP_1) | instskip(SKIP_3) | instid1(VALU_DEP_2)
	v_fmac_f32_e32 v2, v6, v5
	v_fmamk_f32 v4, v1, 0xb102e308, v7
	v_ldexp_f32 v5, s26, 1
	v_ldexp_f32 v1, s36, 1
	v_dual_add_f32 v13, v10, v2 :: v_dual_mov_b32 v11, v5
	s_delay_alu instid0(VALU_DEP_1) | instskip(SKIP_1) | instid1(VALU_DEP_2)
	v_pk_add_f32 v[6:7], v[12:13], v[4:5]
	v_dual_mov_b32 v8, v13 :: v_dual_mov_b32 v3, v13
	v_dual_mov_b32 v9, v7 :: v_dual_mov_b32 v5, v6
	v_mov_b32_e32 v14, v7
	s_delay_alu instid0(VALU_DEP_2) | instskip(NEXT) | instid1(VALU_DEP_1)
	v_pk_add_f32 v[8:9], v[8:9], v[10:11] neg_lo:[0,1] neg_hi:[0,1]
	v_pk_add_f32 v[2:3], v[2:3], v[8:9] neg_lo:[0,1] neg_hi:[0,1]
	s_delay_alu instid0(VALU_DEP_1) | instskip(NEXT) | instid1(VALU_DEP_1)
	v_add_f32_e32 v1, v1, v2
	v_add_f32_e32 v13, v1, v3
	s_delay_alu instid0(VALU_DEP_1) | instskip(SKIP_1) | instid1(VALU_DEP_2)
	v_pk_add_f32 v[2:3], v[6:7], v[12:13]
	v_pk_add_f32 v[8:9], v[6:7], v[12:13] neg_lo:[0,1] neg_hi:[0,1]
	v_mov_b32_e32 v9, v3
	s_delay_alu instid0(VALU_DEP_1) | instskip(SKIP_2) | instid1(VALU_DEP_3)
	v_pk_add_f32 v[10:11], v[4:5], v[8:9]
	v_pk_add_f32 v[4:5], v[4:5], v[8:9] neg_lo:[0,1] neg_hi:[0,1]
	v_dual_mov_b32 v16, v3 :: v_dual_mov_b32 v5, v6
	v_dual_mov_b32 v12, v11 :: v_dual_mov_b32 v17, v11
	s_delay_alu instid0(VALU_DEP_3) | instskip(NEXT) | instid1(VALU_DEP_2)
	v_readfirstlane_b32 s26, v4
	v_pk_add_f32 v[8:9], v[12:13], v[6:7] neg_lo:[0,1] neg_hi:[0,1]
	s_delay_alu instid0(VALU_DEP_2) | instskip(NEXT) | instid1(VALU_DEP_2)
	v_dual_mov_b32 v4, v13 :: v_dual_mov_b32 v10, s26
	v_dual_mov_b32 v15, v8 :: v_dual_mov_b32 v1, v8
	s_delay_alu instid0(VALU_DEP_1) | instskip(NEXT) | instid1(VALU_DEP_2)
	v_pk_add_f32 v[6:7], v[16:17], v[14:15] neg_lo:[0,1] neg_hi:[0,1]
	v_pk_add_f32 v[2:3], v[2:3], v[0:1] neg_lo:[0,1] neg_hi:[0,1]
	v_mov_b32_e32 v2, s26
	s_delay_alu instid0(VALU_DEP_3) | instskip(NEXT) | instid1(VALU_DEP_1)
	v_pk_add_f32 v[4:5], v[4:5], v[6:7] neg_lo:[0,1] neg_hi:[0,1]
	v_pk_add_f32 v[2:3], v[2:3], v[4:5]
	s_delay_alu instid0(VALU_DEP_1) | instskip(NEXT) | instid1(VALU_DEP_2)
	v_readfirstlane_b32 s27, v2
	v_mov_b32_e32 v6, v3
	s_delay_alu instid0(VALU_DEP_1) | instskip(NEXT) | instid1(VALU_DEP_3)
	v_pk_add_f32 v[6:7], v[2:3], v[6:7]
	v_mov_b32_e32 v2, s27
	s_delay_alu instid0(VALU_DEP_2) | instskip(SKIP_1) | instid1(VALU_DEP_2)
	v_pk_add_f32 v[8:9], v[12:13], v[6:7]
	v_mov_b32_e32 v5, v6
	v_readfirstlane_b32 s36, v8
	s_delay_alu instid0(VALU_DEP_1) | instskip(NEXT) | instid1(VALU_DEP_1)
	v_mov_b32_e32 v3, s36
	v_pk_add_f32 v[2:3], v[2:3], v[10:11] neg_lo:[0,1] neg_hi:[0,1]
	s_delay_alu instid0(VALU_DEP_1) | instskip(NEXT) | instid1(VALU_DEP_2)
	v_readfirstlane_b32 s41, v2
	v_pk_add_f32 v[2:3], v[4:5], v[2:3] neg_lo:[0,1] neg_hi:[0,1]
	s_sub_f32 s27, s27, s41
	s_delay_alu instid0(VALU_DEP_1) | instskip(NEXT) | instid1(SALU_CYCLE_2)
	v_readfirstlane_b32 s41, v2
	s_sub_f32 s26, s26, s27
	v_readfirstlane_b32 s27, v3
	s_delay_alu instid0(SALU_CYCLE_2) | instskip(NEXT) | instid1(SALU_CYCLE_3)
	s_add_f32 s26, s41, s26
	s_add_f32 s26, s26, s27
	s_delay_alu instid0(SALU_CYCLE_3) | instskip(NEXT) | instid1(SALU_CYCLE_3)
	s_add_f32 s27, s36, s26
	s_mul_f32 s41, s25, s27
	s_sub_f32 s36, s27, s36
	s_delay_alu instid0(SALU_CYCLE_2) | instskip(NEXT) | instid1(SALU_CYCLE_2)
	s_xor_b32 s42, s41, 0x80000000
	s_sub_f32 s26, s26, s36
	s_fmac_f32 s42, s25, s27
	s_delay_alu instid0(SALU_CYCLE_3) | instskip(SKIP_1) | instid1(SALU_CYCLE_2)
	s_fmac_f32 s42, s25, s26
	v_cmp_class_f32_e64 s26, s41, 0x204
	s_add_f32 s27, s41, s42
	s_and_b32 s26, s26, exec_lo
	s_delay_alu instid0(SALU_CYCLE_2) | instskip(SKIP_1) | instid1(SALU_CYCLE_1)
	s_sub_f32 s26, s27, s41
	s_cselect_b32 s27, s41, s27
	s_and_b32 s36, s27, 0x7fffffff
	s_delay_alu instid0(SALU_CYCLE_1) | instskip(SKIP_1) | instid1(SALU_CYCLE_2)
	s_sub_f32 s26, s42, s26
	s_cmp_neq_f32 s36, 0x7f800000
	s_cselect_b32 s26, s26, 0
	s_cmp_eq_f32 s27, 0x42b17218
	s_cselect_b32 s36, 0x37000000, 0
	s_delay_alu instid0(SALU_CYCLE_1) | instskip(SKIP_1) | instid1(SALU_CYCLE_2)
	s_sub_f32 s27, s27, s36
	s_add_f32 s26, s36, s26
	s_mul_f32 s41, s27, 0x3fb8aa3b
	s_delay_alu instid0(SALU_CYCLE_3) | instskip(SKIP_3) | instid1(SALU_CYCLE_1)
	s_xor_b32 s42, s41, 0x80000000
	s_rndne_f32 s43, s41
	s_fmamk_f32 s42, s27, 0x3fb8aa3b, s42
	s_cmp_nlt_f32 s27, 0xc2ce8ed0
	s_sub_f32 s41, s41, s43
	s_delay_alu instid0(SALU_CYCLE_1)
	s_fmamk_f32 s42, s27, 0x32a5705f, s42
	s_cselect_b32 vcc_lo, -1, 0
	s_cmp_ngt_f32 s27, 0x42b17218
	s_trunc_f32 s27, s25
	s_add_f32 s41, s41, s42
	s_cvt_i32_f32 s42, s43
	s_delay_alu instid0(SALU_CYCLE_2)
	v_s_exp_f32 s41, s41
	v_nop
	s_delay_alu instid0(TRANS32_DEP_1) | instid1(SALU_CYCLE_1)
	v_ldexp_f32 v1, s41, s42
	s_mul_f32 s41, s25, 0.5
	s_delay_alu instid0(VALU_DEP_1) | instskip(SKIP_3) | instid1(VALU_DEP_1)
	v_cndmask_b32_e32 v1, 0, v1, vcc_lo
	s_cselect_b32 vcc_lo, -1, 0
	s_cmp_eq_f32 s27, s25
	s_trunc_f32 s42, s41
	v_cndmask_b32_e32 v1, 0x7f800000, v1, vcc_lo
	s_cselect_b32 s43, -1, 0
	s_delay_alu instid0(SALU_CYCLE_1) | instskip(NEXT) | instid1(VALU_DEP_1)
	s_cmp_neq_f32 s42, s41
	v_fma_f32 v2, s26, v1, v1
	v_cmp_class_f32_e64 vcc_lo, v1, 0x204
	s_cselect_b32 s36, -1, 0
	s_delay_alu instid0(SALU_CYCLE_1)
	s_and_b32 s26, s43, s36
	v_cndmask_b32_e32 v1, v2, v1, vcc_lo
	s_and_b32 s36, s26, exec_lo
	s_cselect_b32 s36, s10, 1.0
	s_cmp_eq_f32 s27, s25
	v_cmp_class_f32_e64 s27, s10, 0x204
	v_bfi_b32 v1, 0x7fffffff, v1, s36
	s_cselect_b32 vcc_lo, -1, 0
	s_cmp_lt_f32 s10, 0
	s_delay_alu instid0(VALU_DEP_1) | instskip(SKIP_2) | instid1(VALU_DEP_1)
	v_cndmask_b32_e32 v2, 0x7fc00000, v1, vcc_lo
	s_cselect_b32 vcc_lo, -1, 0
	s_cmp_eq_f32 s10, 0
	v_cndmask_b32_e32 v1, v1, v2, vcc_lo
	s_cselect_b32 s36, -1, 0
	s_delay_alu instid0(SALU_CYCLE_1) | instskip(SKIP_2) | instid1(SALU_CYCLE_1)
	s_or_b32 vcc_lo, s36, s27
	s_cmp_lt_f32 s25, 0
	s_cselect_b32 s25, -1, 0
	s_xor_b32 s25, s25, s36
	s_delay_alu instid0(SALU_CYCLE_1)
	s_and_b32 s25, s25, exec_lo
	s_cselect_b32 s25, 0, 0x7f800000
	s_and_b32 s26, s26, exec_lo
	s_cselect_b32 s26, s10, 0
	s_cmp_o_f32 s10, s10
	v_mov_b32_e32 v2, s26
	s_delay_alu instid0(VALU_DEP_1) | instskip(NEXT) | instid1(VALU_DEP_1)
	v_bfi_b32 v2, 0x7fffffff, s25, v2
	v_cndmask_b32_e32 v1, v1, v2, vcc_lo
	s_cselect_b32 vcc_lo, -1, 0
	s_delay_alu instid0(VALU_DEP_1)
	v_cndmask_b32_e32 v121, 0x7fc00000, v1, vcc_lo
.LBB73_4:
	s_bfe_u32 s10, ttmp6, 0x4000c
	s_and_b32 s25, ttmp6, 15
	s_add_co_i32 s10, s10, 1
	s_ashr_i32 s36, s33, 31
	s_mul_i32 s10, ttmp9, s10
	s_ashr_i32 s41, s29, 31
	s_add_co_i32 s25, s25, s10
	v_bfe_u32 v119, v0, 10, 10
	s_cmp_eq_u32 s40, 0
	s_load_b96 s[44:46], s[0:1], 0x70
	s_cselect_b32 s10, ttmp9, s25
	v_and_b32_e32 v115, 0x3ff, v0
	v_lshl_add_u32 v114, s10, 2, v119
	s_delay_alu instid0(VALU_DEP_2) | instskip(NEXT) | instid1(VALU_DEP_2)
	v_dual_mov_b32 v97, 0 :: v_dual_lshlrev_b32 v0, 4, v115
	v_mul_hi_u32 v1, s20, v114
	s_delay_alu instid0(VALU_DEP_1) | instskip(SKIP_3) | instid1(SALU_CYCLE_1)
	v_dual_lshlrev_b32 v116, 2, v115 :: v_dual_add_nc_u32 v1, v114, v1
	s_wait_kmcnt 0x0
	s_mul_i32 s20, s33, s45
	s_ashr_i32 s45, s44, 31
	s_lshr_b64 s[26:27], s[44:45], 2
	v_lshrrev_b32_e32 v1, s21, v1
	s_ashr_i32 s21, s20, 31
	s_delay_alu instid0(VALU_DEP_1) | instskip(NEXT) | instid1(VALU_DEP_1)
	v_mul_lo_u32 v1, v1, s22
	v_dual_mov_b32 v1, v97 :: v_dual_sub_nc_u32 v96, v114, v1
	s_delay_alu instid0(VALU_DEP_1) | instskip(SKIP_1) | instid1(SALU_CYCLE_1)
	v_mul_u64_e32 v[2:3], s[26:27], v[96:97]
	s_mul_i32 s26, s28, s46
	s_ashr_i32 s27, s26, 31
	s_cmp_eq_u64 s[14:15], 0
	s_add_nc_u64 s[4:5], s[4:5], s[26:27]
	s_delay_alu instid0(SALU_CYCLE_1)
	s_add_nc_u64 s[4:5], s[4:5], s[20:21]
	s_delay_alu instid0(VALU_DEP_1) | instid1(SALU_CYCLE_1)
	v_lshl_add_u64 v[2:3], v[2:3], 2, s[4:5]
	s_mul_u64 s[4:5], s[2:3], s[38:39]
	s_delay_alu instid0(VALU_DEP_1)
	v_add_nc_u64_e32 v[8:9], v[2:3], v[0:1]
	s_clause 0x1
	global_load_b128 v[0:3], v[8:9], off
	global_load_b128 v[4:7], v[8:9], off offset:512
	s_wait_loadcnt 0x1
	v_fma_mixlo_f16 v0, s24, v0, 0
	v_fma_mixlo_f16 v1, s24, v1, 0
	s_wait_loadcnt 0x0
	v_fma_mixlo_f16 v4, s24, v4, 0
	v_fma_mixlo_f16 v5, s24, v5, 0
	v_lshlrev_b32_e32 v118, 9, v119
	v_lshlrev_b32_e32 v117, 3, v115
	v_fma_mixlo_f16 v2, s24, v2, 0
	v_fma_mixlo_f16 v3, s24, v3, 0
	;; [unrolled: 1-line block ×4, first 2 shown]
	v_lshlrev_b32_e32 v1, 16, v1
	v_and_b32_e32 v0, 0xffff, v0
	v_lshlrev_b32_e32 v5, 16, v5
	v_and_b32_e32 v4, 0xffff, v4
	v_add_nc_u32_e32 v122, 0x4200, v118
	s_delay_alu instid0(VALU_DEP_4) | instskip(SKIP_1) | instid1(VALU_DEP_4)
	v_dual_lshlrev_b32 v3, 16, v3 :: v_dual_bitop2_b32 v0, v1, v0 bitop3:0x54
	v_and_b32_e32 v2, 0xffff, v2
	v_dual_lshlrev_b32 v7, 16, v7 :: v_dual_bitop2_b32 v4, v5, v4 bitop3:0x54
	v_and_b32_e32 v6, 0xffff, v6
	v_add_nc_u32_e32 v5, v122, v117
	s_delay_alu instid0(VALU_DEP_4)
	v_or3_b32 v1, v3, v2, 0
	v_or3_b32 v0, 0, 0, v0
	;; [unrolled: 1-line block ×4, first 2 shown]
	ds_store_2addr_b64 v5, v[0:1], v[2:3] offset1:32
	s_wait_dscnt 0x0
	s_barrier_signal -1
	s_barrier_wait -1
	s_cbranch_scc1 .LBB73_6
; %bb.5:
	s_load_b32 s3, s[0:1], 0xd0
	s_wait_kmcnt 0x0
	s_mul_i32 s3, s3, s28
	s_delay_alu instid0(SALU_CYCLE_1)
	s_add_co_i32 s3, s3, s10
	s_load_b32 s34, s[14:15], s3 offset:0x0 scale_offset
.LBB73_6:
	s_wait_xcnt 0x0
	s_clause 0x2
	s_load_b64 s[14:15], s[0:1], 0x8c
	s_load_b128 s[24:27], s[0:1], 0x98
	s_load_b64 s[20:21], s[0:1], 0xa8
	s_mul_i32 s3, s5, s35
	s_ashr_i32 s10, s37, 1
	s_sub_co_i32 s38, s2, s3
	s_ashr_i32 s29, s28, 31
	s_xor_b32 s4, s36, s41
	s_add_co_i32 s37, s5, 1
	s_sub_co_i32 s39, s38, s35
	v_mul_u32_u24_e32 v123, 0x210, v115
	v_mbcnt_lo_u32_b32 v99, -1, 0
	s_wait_kmcnt 0x0
	s_ashr_i32 s36, s14, 2
	s_ashr_i32 s14, s26, 2
	s_cmp_ge_u32 s38, s35
	s_mul_u64 s[2:3], s[24:25], s[28:29]
	s_cselect_b32 s5, s37, s5
	s_add_nc_u64 s[2:3], s[6:7], s[2:3]
	s_cselect_b32 s6, s39, s38
	s_add_co_i32 s7, s5, 1
	s_cmp_ge_u32 s6, s35
	v_mul_lo_u32 v80, s36, v119
	s_cselect_b32 s5, s7, s5
	v_mul_lo_u32 v78, s14, v119
	s_bfe_u32 s6, ttmp6, 0x40010
	s_xor_b32 s5, s5, s4
	s_mul_u64 s[24:25], s[20:21], s[28:29]
	s_and_b32 s20, ttmp7, 0xffff
	s_add_co_i32 s6, s6, 1
	s_sub_co_i32 s5, s5, s4
	s_bfe_u32 s7, ttmp6, 0x40004
	s_mul_i32 s6, s20, s6
	s_mul_i32 s4, s5, s15
	;; [unrolled: 1-line block ×3, first 2 shown]
	s_add_co_i32 s15, s7, s6
	s_ashr_i32 s5, s4, 31
	s_ashr_i32 s27, s26, 31
	s_cmp_eq_u32 s40, 0
	v_dual_lshlrev_b32 v76, 2, v116 :: v_dual_ashrrev_i32 v79, 31, v78
	s_cselect_b32 s29, s20, s15
	v_ashrrev_i32_e32 v81, 31, v80
	s_add_nc_u64 s[6:7], s[2:3], s[4:5]
	s_sub_co_i32 s5, s34, 32
	s_lshl_b32 s20, s29, 5
	s_add_nc_u64 s[2:3], s[8:9], s[24:25]
	s_cmp_ge_i32 s20, s5
	s_add_nc_u64 s[26:27], s[2:3], s[26:27]
	s_cbranch_scc1 .LBB73_17
; %bb.7:
	s_lshl_b32 s2, s36, 2
	s_ashr_i32 s37, s36, 31
	s_cmp_lg_u64 s[30:31], 0
	v_mad_u32_u24 v124, 0x210, v119, v76
	s_cselect_b32 s24, -1, 0
	s_lshl_b32 s3, s14, 2
	s_delay_alu instid0(SALU_CYCLE_1) | instskip(SKIP_3) | instid1(VALU_DEP_4)
	v_dual_add_nc_u32 v82, s2, v80 :: v_dual_add_nc_u32 v88, s3, v78
	v_add_nc_u32_e32 v127, v118, v76
	v_mad_u32 v125, v96, s10, v115
	v_lshl_add_u32 v126, v119, 6, 0x4a00
	v_add_nc_u32_e32 v84, s2, v82
	v_lshl_add_u32 v0, v119, 9, v76
	v_dual_mov_b32 v77, 0 :: v_dual_add_nc_u32 v128, 0x840, v124
	v_add_nc_u32_e32 v129, 0x1080, v124
	s_delay_alu instid0(VALU_DEP_4) | instskip(SKIP_3) | instid1(VALU_DEP_4)
	v_add_nc_u32_e32 v86, s2, v84
	v_add_nc_u32_e32 v130, 0x18c0, v124
	;; [unrolled: 1-line block ×3, first 2 shown]
	v_dual_mov_b32 v120, v77 :: v_dual_add_nc_u32 v131, 0x2100, v124
	v_add_nc_u32_e32 v90, s2, v86
	v_add_nc_u32_e32 v132, 0x2940, v124
	v_dual_mov_b32 v56, v77 :: v_dual_add_nc_u32 v133, 0x3180, v124
	v_add_nc_u32_e32 v134, 0x39c0, v124
	s_delay_alu instid0(VALU_DEP_4) | instskip(SKIP_3) | instid1(VALU_DEP_4)
	v_dual_add_nc_u32 v94, s2, v90 :: v_dual_add_nc_u32 v100, s3, v92
	v_lshl_add_u32 v135, v115, 1, v126
	v_add_nc_u32_e32 v136, 0x800, v0
	v_dual_ashrrev_i32 v85, 31, v84 :: v_dual_ashrrev_i32 v87, 31, v86
	v_add_nc_u32_e32 v102, s2, v94
	v_dual_ashrrev_i32 v83, 31, v82 :: v_dual_add_nc_u32 v104, s3, v100
	v_dual_ashrrev_i32 v91, 31, v90 :: v_dual_ashrrev_i32 v89, 31, v88
	s_delay_alu instid0(VALU_DEP_3) | instskip(SKIP_1) | instid1(VALU_DEP_4)
	v_add_nc_u32_e32 v106, s2, v102
	v_dual_ashrrev_i32 v95, 31, v94 :: v_dual_ashrrev_i32 v93, 31, v92
	v_dual_add_nc_u32 v108, s3, v104 :: v_dual_ashrrev_i32 v103, 31, v102
	s_delay_alu instid0(VALU_DEP_3) | instskip(SKIP_1) | instid1(VALU_DEP_3)
	v_dual_ashrrev_i32 v107, 31, v106 :: v_dual_ashrrev_i32 v101, 31, v100
	v_dual_mov_b32 v34, v77 :: v_dual_add_nc_u32 v137, 0x1000, v0
	v_add_nc_u32_e32 v110, s3, v108
	v_ashrrev_i32_e32 v105, 31, v104
	v_add_nc_u32_e32 v138, 0x1800, v0
	v_add_nc_u32_e32 v139, 0x2000, v0
	;; [unrolled: 1-line block ×3, first 2 shown]
	v_dual_add_nc_u32 v112, s3, v110 :: v_dual_ashrrev_i32 v109, 31, v108
	v_ashrrev_i32_e32 v111, 31, v110
	v_add_nc_u32_e32 v141, 0x3000, v0
	v_add_nc_u32_e32 v142, 0x3800, v0
	s_delay_alu instid0(VALU_DEP_4)
	v_ashrrev_i32_e32 v113, 31, v112
	v_mov_b32_e32 v35, 0xfeffffff
	v_mbcnt_lo_u32_b32 v143, -1, 0
	v_dual_mov_b32 v32, v77 :: v_dual_mov_b32 v33, v77
	s_ashr_i32 s15, s14, 31
	s_add_nc_u64 s[8:9], s[0:1], 0xd0
	s_mov_b32 s25, 0xbbbac73d
.LBB73_8:                               ; =>This Inner Loop Header: Depth=1
	s_ashr_i32 s21, s20, 31
	v_mov_b32_e32 v38, 0
	s_mul_u64 s[2:3], s[20:21], s[36:37]
                                        ; implicit-def: $vgpr37
	s_delay_alu instid0(SALU_CYCLE_1) | instskip(NEXT) | instid1(SALU_CYCLE_1)
	s_lshl_b64 s[2:3], s[2:3], 2
	s_add_nc_u64 s[2:3], s[6:7], s[2:3]
	s_delay_alu instid0(SALU_CYCLE_1)
	v_lshl_add_u64 v[0:1], v[80:81], 2, s[2:3]
	v_lshl_add_u64 v[2:3], v[82:83], 2, s[2:3]
	;; [unrolled: 1-line block ×6, first 2 shown]
	v_add_nc_u64_e32 v[0:1], v[0:1], v[76:77]
	v_lshl_add_u64 v[12:13], v[102:103], 2, s[2:3]
	v_lshl_add_u64 v[14:15], v[106:107], 2, s[2:3]
	v_add_nc_u64_e32 v[16:17], v[2:3], v[76:77]
	v_add_nc_u64_e32 v[18:19], v[4:5], v[76:77]
	;; [unrolled: 1-line block ×7, first 2 shown]
	s_clause 0x7
	global_load_b128 v[0:3], v[0:1], off
	global_load_b128 v[4:7], v[16:17], off
	global_load_b128 v[8:11], v[18:19], off
	global_load_b128 v[12:15], v[20:21], off
	global_load_b128 v[16:19], v[22:23], off
	global_load_b128 v[20:23], v[24:25], off
	global_load_b128 v[24:27], v[26:27], off
	global_load_b128 v[28:31], v[28:29], off
	s_wait_loadcnt 0x7
	ds_store_b128 v124, v[0:3]
	s_wait_loadcnt 0x6
	ds_store_b128 v128, v[4:7]
	;; [unrolled: 2-line block ×8, first 2 shown]
	s_wait_dscnt 0x0
	s_barrier_signal -1
	s_barrier_wait -1
	ds_load_b128 v[0:3], v123
	ds_load_b128 v[4:7], v122
	s_wait_dscnt 0x0
	;;#ASMSTART
	v_dot2_f32_f16 v38, v0, v4, v38
	;;#ASMEND
	;;#ASMSTART
	v_dot2_f32_f16 v38, v1, v5, v38
	;;#ASMEND
	;;#ASMSTART
	v_dot2_f32_f16 v38, v2, v6, v38
	;;#ASMEND
	;;#ASMSTART
	v_dot2_f32_f16 v38, v3, v7, v38
	;;#ASMEND
	ds_load_b128 v[0:3], v123 offset:16
	ds_load_b128 v[4:7], v122 offset:16
	s_wait_dscnt 0x0
	;;#ASMSTART
	v_dot2_f32_f16 v38, v0, v4, v38
	;;#ASMEND
	;;#ASMSTART
	v_dot2_f32_f16 v38, v1, v5, v38
	;;#ASMEND
	;;#ASMSTART
	v_dot2_f32_f16 v38, v2, v6, v38
	;;#ASMEND
	;;#ASMSTART
	v_dot2_f32_f16 v38, v3, v7, v38
	;;#ASMEND
	ds_load_b128 v[0:3], v123 offset:32
	ds_load_b128 v[4:7], v122 offset:32
	;; [unrolled: 15-line block ×31, first 2 shown]
	s_wait_dscnt 0x0
	;;#ASMSTART
	v_dot2_f32_f16 v38, v0, v4, v38
	;;#ASMEND
	;;#ASMSTART
	v_dot2_f32_f16 v38, v1, v5, v38
	;;#ASMEND
	;;#ASMSTART
	v_dot2_f32_f16 v38, v2, v6, v38
	;;#ASMEND
	;;#ASMSTART
	v_dot2_f32_f16 v38, v3, v7, v38
	;;#ASMEND
	v_cmp_ngt_f32_e64 s2, 0x3f200000, |v38|
	s_and_saveexec_b32 s3, s2
	s_delay_alu instid0(SALU_CYCLE_1)
	s_xor_b32 s2, exec_lo, s3
	s_cbranch_execnz .LBB73_12
; %bb.9:                                ;   in Loop: Header=BB73_8 Depth=1
	s_and_not1_saveexec_b32 s2, s2
	s_cbranch_execnz .LBB73_13
.LBB73_10:                              ;   in Loop: Header=BB73_8 Depth=1
	s_or_b32 exec_lo, exec_lo, s2
	s_delay_alu instid0(SALU_CYCLE_1)
	s_and_not1_b32 vcc_lo, exec_lo, s24
	s_cbranch_vccnz .LBB73_14
.LBB73_11:                              ;   in Loop: Header=BB73_8 Depth=1
	v_add_nc_u32_e32 v0, s20, v125
	global_load_u16 v0, v0, s[30:31] scale_offset
	s_wait_loadcnt 0x0
	v_cvt_f32_f16_e32 v0, v0
	s_delay_alu instid0(VALU_DEP_1)
	v_mul_f32_e32 v36, v121, v0
	s_branch .LBB73_15
.LBB73_12:                              ;   in Loop: Header=BB73_8 Depth=1
	v_add_f32_e64 v0, |v38|, |v38|
	s_delay_alu instid0(VALU_DEP_1) | instskip(SKIP_1) | instid1(VALU_DEP_2)
	v_mul_f32_e32 v1, 0x3fb8aa3b, v0
	v_cmp_ngt_f32_e32 vcc_lo, 0xc2ce8ed0, v0
	v_rndne_f32_e32 v2, v1
	v_fma_f32 v3, 0x3fb8aa3b, v0, -v1
	s_delay_alu instid0(VALU_DEP_2) | instskip(NEXT) | instid1(VALU_DEP_2)
	v_sub_f32_e32 v1, v1, v2
	v_fmac_f32_e32 v3, 0x32a5705f, v0
	v_cvt_i32_f32_e32 v2, v2
	s_delay_alu instid0(VALU_DEP_2) | instskip(NEXT) | instid1(VALU_DEP_1)
	v_add_f32_e32 v1, v1, v3
	v_exp_f32_e32 v1, v1
	v_nop
	s_delay_alu instid0(TRANS32_DEP_1) | instskip(NEXT) | instid1(VALU_DEP_1)
	v_ldexp_f32 v1, v1, v2
	v_cndmask_b32_e32 v1, 0, v1, vcc_lo
	v_cmp_nlt_f32_e32 vcc_lo, 0x42b17218, v0
	s_delay_alu instid0(VALU_DEP_2) | instskip(NEXT) | instid1(VALU_DEP_1)
	v_cndmask_b32_e32 v0, 0x7f800000, v1, vcc_lo
	v_add_f32_e32 v0, 1.0, v0
	s_delay_alu instid0(VALU_DEP_1) | instskip(SKIP_1) | instid1(TRANS32_DEP_1)
	v_rcp_f32_e32 v0, v0
	v_nop
	v_fma_f32 v37, v0, -2.0, 1.0
	s_and_not1_saveexec_b32 s2, s2
	s_cbranch_execz .LBB73_10
.LBB73_13:                              ;   in Loop: Header=BB73_8 Depth=1
	v_mul_f32_e32 v0, v38, v38
	s_delay_alu instid0(VALU_DEP_1) | instskip(NEXT) | instid1(VALU_DEP_1)
	v_fmaak_f32 v1, s25, v0, 0x3ca908c9
	v_fmaak_f32 v1, v0, v1, 0xbd5c1c4e
	s_delay_alu instid0(VALU_DEP_1) | instskip(NEXT) | instid1(VALU_DEP_1)
	v_fmaak_f32 v1, v0, v1, 0x3e088382
	v_fmaak_f32 v1, v0, v1, 0xbeaaaa99
	s_delay_alu instid0(VALU_DEP_1) | instskip(NEXT) | instid1(VALU_DEP_1)
	v_mul_f32_e64 v1, |v38|, v1
	v_fma_f32 v37, v0, v1, |v38|
	s_or_b32 exec_lo, exec_lo, s2
	s_delay_alu instid0(SALU_CYCLE_1)
	s_and_not1_b32 vcc_lo, exec_lo, s24
	s_cbranch_vccz .LBB73_11
.LBB73_14:                              ;   in Loop: Header=BB73_8 Depth=1
	v_mov_b32_e32 v36, 0
.LBB73_15:                              ;   in Loop: Header=BB73_8 Depth=1
	s_mul_u64 s[2:3], s[20:21], s[14:15]
	s_delay_alu instid0(SALU_CYCLE_1)
	s_lshl_b64 s[2:3], s[2:3], 2
	s_barrier_signal -1
	s_add_nc_u64 s[2:3], s[26:27], s[2:3]
	s_barrier_wait -1
	v_lshl_add_u64 v[2:3], v[88:89], 2, s[2:3]
	v_lshl_add_u64 v[4:5], v[92:93], 2, s[2:3]
	;; [unrolled: 1-line block ×5, first 2 shown]
	v_add_nc_u64_e32 v[6:7], v[2:3], v[76:77]
	v_lshl_add_u64 v[2:3], v[100:101], 2, s[2:3]
	v_add_nc_u64_e32 v[8:9], v[4:5], v[76:77]
	v_lshl_add_u64 v[4:5], v[104:105], 2, s[2:3]
	;; [unrolled: 2-line block ×3, first 2 shown]
	v_add_nc_u64_e32 v[16:17], v[2:3], v[76:77]
	v_add_nc_u64_e32 v[20:21], v[10:11], v[76:77]
	;; [unrolled: 1-line block ×5, first 2 shown]
	s_clause 0x7
	global_load_b128 v[0:3], v[0:1], off
	global_load_b128 v[4:7], v[6:7], off
	;; [unrolled: 1-line block ×8, first 2 shown]
	v_bfi_b32 v37, 0x7fffffff, v37, v38
	v_xor_b32_e32 v39, 16, v143
	v_add_nc_u32_e32 v73, 0x2000, v117
	v_add_nc_u32_e32 v74, 0x2800, v117
	;; [unrolled: 1-line block ×3, first 2 shown]
	v_fmac_f32_e32 v36, s11, v37
	v_cmp_gt_i32_e32 vcc_lo, 32, v39
	v_add_nc_u32_e32 v144, 0x3800, v117
	s_delay_alu instid0(VALU_DEP_3) | instskip(NEXT) | instid1(VALU_DEP_1)
	v_dual_cndmask_b32 v38, v143, v39 :: v_dual_add_f32 v39, 0x40051340, v36
	v_dual_max_num_f32 v37, v35, v35 :: v_dual_lshlrev_b32 v38, 2, v38
	s_delay_alu instid0(VALU_DEP_1) | instskip(SKIP_1) | instid1(VALU_DEP_1)
	v_max_num_f32_e32 v37, v37, v39
	v_xor_b32_e32 v39, 8, v143
	v_cmp_gt_i32_e32 vcc_lo, 32, v39
	v_cndmask_b32_e32 v39, v143, v39, vcc_lo
	ds_bpermute_b32 v38, v38, v37
	s_wait_dscnt 0x0
	v_dual_max_num_f32 v38, v38, v38 :: v_dual_lshlrev_b32 v39, 2, v39
	s_delay_alu instid0(VALU_DEP_1) | instskip(SKIP_3) | instid1(VALU_DEP_1)
	v_max_num_f32_e32 v37, v37, v38
	ds_bpermute_b32 v38, v39, v37
	s_wait_dscnt 0x0
	v_dual_max_num_f32 v38, v38, v38 :: v_dual_bitop2_b32 v39, 4, v143 bitop3:0x14
	v_cmp_gt_i32_e32 vcc_lo, 32, v39
	s_delay_alu instid0(VALU_DEP_2) | instskip(NEXT) | instid1(VALU_DEP_1)
	v_dual_max_num_f32 v37, v37, v38 :: v_dual_cndmask_b32 v39, v143, v39, vcc_lo
	v_lshlrev_b32_e32 v39, 2, v39
	ds_bpermute_b32 v38, v39, v37
	s_wait_dscnt 0x0
	v_dual_max_num_f32 v38, v38, v38 :: v_dual_bitop2_b32 v39, 2, v143 bitop3:0x14
	s_delay_alu instid0(VALU_DEP_1) | instskip(NEXT) | instid1(VALU_DEP_2)
	v_max_num_f32_e32 v37, v37, v38
	v_cmp_gt_i32_e32 vcc_lo, 32, v39
	v_cndmask_b32_e32 v39, v143, v39, vcc_lo
	s_delay_alu instid0(VALU_DEP_1) | instskip(SKIP_2) | instid1(VALU_DEP_1)
	v_lshlrev_b32_e32 v39, 2, v39
	ds_bpermute_b32 v38, v39, v37
	v_xor_b32_e32 v39, 1, v143
	v_cmp_gt_i32_e32 vcc_lo, 32, v39
	s_wait_dscnt 0x0
	v_max_num_f32_e32 v38, v38, v38
	s_delay_alu instid0(VALU_DEP_1) | instskip(NEXT) | instid1(VALU_DEP_1)
	v_dual_max_num_f32 v37, v37, v38 :: v_dual_cndmask_b32 v39, v143, v39, vcc_lo
	v_lshlrev_b32_e32 v39, 2, v39
	ds_bpermute_b32 v38, v39, v37
	s_wait_dscnt 0x0
	v_max_num_f32_e32 v38, v38, v38
	s_delay_alu instid0(VALU_DEP_1) | instskip(NEXT) | instid1(VALU_DEP_1)
	v_max_num_f32_e32 v98, v37, v38
	v_sub_f32_e32 v36, v36, v98
	s_delay_alu instid0(VALU_DEP_1) | instskip(SKIP_2) | instid1(VALU_DEP_3)
	v_mul_f32_e32 v37, 0x3fb8aa3b, v36
	v_cmp_ngt_f32_e32 vcc_lo, 0xc2ce8ed0, v36
	v_cmp_nlt_f32_e64 s3, 0x42b17218, v36
	v_rndne_f32_e32 v40, v37
	v_sub_f32_e32 v35, v35, v98
	v_fma_f32 v39, 0x3fb8aa3b, v36, -v37
	s_delay_alu instid0(VALU_DEP_2) | instskip(SKIP_2) | instid1(VALU_DEP_3)
	v_dual_sub_f32 v37, v37, v40 :: v_dual_mul_f32 v38, 0x3fb8aa3b, v35
	v_cmp_ngt_f32_e64 s2, 0xc2ce8ed0, v35
	v_cmp_nlt_f32_e64 s4, 0x42b17218, v35
	v_fma_f32 v41, 0x3fb8aa3b, v35, -v38
	v_rndne_f32_e32 v42, v38
	v_fmac_f32_e32 v39, 0x32a5705f, v36
	s_delay_alu instid0(VALU_DEP_2) | instskip(NEXT) | instid1(VALU_DEP_2)
	v_dual_fmac_f32 v41, 0x32a5705f, v35 :: v_dual_sub_f32 v38, v38, v42
	v_add_f32_e32 v37, v37, v39
	v_cvt_i32_f32_e32 v39, v40
	v_cvt_i32_f32_e32 v40, v42
	s_delay_alu instid0(VALU_DEP_4) | instskip(NEXT) | instid1(VALU_DEP_4)
	v_add_f32_e32 v38, v38, v41
	v_exp_f32_e32 v37, v37
	s_delay_alu instid0(VALU_DEP_1) | instskip(NEXT) | instid1(TRANS32_DEP_2)
	v_exp_f32_e32 v38, v38
	v_ldexp_f32 v37, v37, v39
	s_delay_alu instid0(TRANS32_DEP_1) | instskip(NEXT) | instid1(VALU_DEP_1)
	v_ldexp_f32 v38, v38, v40
	v_dual_cndmask_b32 v35, 0, v37, vcc_lo :: v_dual_cndmask_b32 v36, 0, v38, s2
	s_delay_alu instid0(VALU_DEP_1) | instskip(NEXT) | instid1(VALU_DEP_2)
	v_cndmask_b32_e64 v97, 0x7f800000, v35, s3
	v_cndmask_b32_e64 v35, 0x7f800000, v36, s4
	s_delay_alu instid0(VALU_DEP_2) | instskip(NEXT) | instid1(VALU_DEP_2)
	v_cvt_f16_f32_e32 v36, v97
	v_dual_fmac_f32 v97, v34, v35 :: v_dual_add_nc_u32 v38, 0x800, v117
	ds_store_b16 v135, v36
	v_cvt_f16_f32_e32 v37, v35
	s_wait_loadcnt 0x7
	ds_store_b128 v127, v[0:3]
	s_wait_loadcnt 0x6
	ds_store_b128 v136, v[4:7]
	;; [unrolled: 2-line block ×8, first 2 shown]
	s_wait_dscnt 0x0
	s_barrier_signal -1
	s_barrier_wait -1
	ds_load_b128 v[10:13], v126
	ds_load_2addr_b64 v[14:17], v117 offset1:32
	v_and_b32_e32 v36, 0xffff, v37
	v_add_nc_u32_e32 v8, 0x1000, v117
	v_add_nc_u32_e32 v9, 0x1800, v117
	s_delay_alu instid0(VALU_DEP_3) | instskip(NEXT) | instid1(VALU_DEP_1)
	v_mul_u32_u24_e32 v26, 0x10001, v36
	v_pk_mul_f16 v27, v33, v26
	v_pk_mul_f16 v40, v32, v26
	ds_load_b128 v[32:35], v126 offset:16
	ds_load_b128 v[4:7], v126 offset:32
	;; [unrolled: 1-line block ×3, first 2 shown]
	ds_load_2addr_b64 v[18:21], v117 offset0:64 offset1:96
	ds_load_2addr_b64 v[22:25], v117 offset0:128 offset1:160
	ds_load_2addr_b64 v[28:31], v117 offset0:192 offset1:224
	ds_load_2addr_b64 v[146:149], v38 offset1:32
	ds_load_2addr_b64 v[150:153], v38 offset0:64 offset1:96
	ds_load_2addr_b64 v[154:157], v38 offset0:128 offset1:160
	ds_load_2addr_b64 v[36:39], v38 offset0:192 offset1:224
	ds_load_2addr_b64 v[44:47], v8 offset1:32
	;; [unrolled: 4-line block ×3, first 2 shown]
	ds_load_2addr_b64 v[64:67], v9 offset0:64 offset1:96
	s_wait_dscnt 0x11
	v_and_b32_e32 v41, 0xffff, v10
	v_lshrrev_b32_e32 v8, 16, v10
	s_delay_alu instid0(VALU_DEP_2) | instskip(NEXT) | instid1(VALU_DEP_2)
	v_mul_u32_u24_e32 v41, 0x10001, v41
	v_mul_u32_u24_e32 v8, 0x10001, v8
	s_wait_dscnt 0x10
	s_delay_alu instid0(VALU_DEP_2)
	v_pk_mul_f16 v10, v14, v41
	v_pk_mul_f16 v15, v15, v41
	v_pk_fma_f16 v14, v16, v41, v27
	v_pk_fma_f16 v16, v17, v41, v40
	v_and_b32_e32 v17, 0xffff, v11
	v_pk_fma_f16 v10, v56, v26, v10
	v_pk_fma_f16 v15, v120, v26, v15
	v_lshrrev_b32_e32 v11, 16, v11
	s_wait_dscnt 0xc
	v_pk_fma_f16 v14, v20, v8, v14
	v_mul_u32_u24_e32 v17, 0x10001, v17
	v_pk_fma_f16 v16, v21, v8, v16
	v_pk_fma_f16 v10, v18, v8, v10
	;; [unrolled: 1-line block ×3, first 2 shown]
	ds_load_2addr_b64 v[56:59], v9 offset0:128 offset1:160
	ds_load_2addr_b64 v[40:43], v9 offset0:192 offset1:224
	v_and_b32_e32 v9, 0xffff, v12
	s_wait_dscnt 0xd
	v_pk_fma_f16 v14, v24, v17, v14
	v_pk_fma_f16 v15, v25, v17, v16
	;; [unrolled: 1-line block ×4, first 2 shown]
	v_lshrrev_b32_e32 v12, 16, v12
	v_mul_u32_u24_e32 v11, 0x10001, v11
	v_mul_u32_u24_e32 v16, 0x10001, v9
	v_and_b32_e32 v20, 0xffff, v13
	ds_load_2addr_b64 v[24:27], v73 offset1:32
	v_mul_u32_u24_e32 v21, 0x10001, v12
	s_wait_dscnt 0xd
	v_pk_fma_f16 v14, v30, v11, v14
	v_pk_fma_f16 v15, v31, v11, v15
	;; [unrolled: 1-line block ×4, first 2 shown]
	ds_load_2addr_b64 v[8:11], v73 offset0:64 offset1:96
	s_wait_dscnt 0xd
	v_pk_fma_f16 v22, v148, v16, v14
	v_pk_fma_f16 v23, v149, v16, v15
	;; [unrolled: 1-line block ×4, first 2 shown]
	ds_load_2addr_b64 v[16:19], v73 offset0:128 offset1:160
	v_lshrrev_b32_e32 v30, 16, v13
	ds_load_2addr_b64 v[12:15], v73 offset0:192 offset1:224
	v_mul_u32_u24_e32 v31, 0x10001, v20
	s_wait_dscnt 0xe
	v_pk_fma_f16 v73, v152, v21, v22
	v_pk_fma_f16 v75, v153, v21, v23
	;; [unrolled: 1-line block ×4, first 2 shown]
	v_and_b32_e32 v120, 0xffff, v32
	s_wait_dscnt 0xd
	v_pk_fma_f16 v73, v156, v31, v73
	v_pk_fma_f16 v75, v157, v31, v75
	;; [unrolled: 1-line block ×4, first 2 shown]
	v_lshrrev_b32_e32 v32, 16, v32
	v_mul_u32_u24_e32 v145, 0x10001, v30
	v_mul_u32_u24_e32 v120, 0x10001, v120
	ds_load_2addr_b64 v[20:23], v74 offset1:32
	ds_load_2addr_b64 v[28:31], v74 offset0:64 offset1:96
	v_mul_u32_u24_e32 v32, 0x10001, v32
	s_wait_dscnt 0xe
	v_pk_fma_f16 v73, v38, v145, v73
	v_pk_fma_f16 v75, v39, v145, v75
	v_pk_fma_f16 v146, v36, v145, v146
	v_pk_fma_f16 v145, v37, v145, v147
	v_and_b32_e32 v147, 0xffff, v33
	s_wait_dscnt 0xd
	v_pk_fma_f16 v73, v46, v120, v73
	v_pk_fma_f16 v75, v47, v120, v75
	;; [unrolled: 1-line block ×4, first 2 shown]
	ds_load_2addr_b64 v[36:39], v74 offset0:128 offset1:160
	ds_load_2addr_b64 v[44:47], v74 offset0:192 offset1:224
	v_lshrrev_b32_e32 v33, 16, v33
	v_mul_u32_u24_e32 v74, 0x10001, v147
	s_wait_dscnt 0xe
	v_pk_fma_f16 v73, v50, v32, v73
	v_pk_fma_f16 v75, v51, v32, v75
	;; [unrolled: 1-line block ×4, first 2 shown]
	v_and_b32_e32 v120, 0xffff, v34
	s_wait_dscnt 0xd
	v_pk_fma_f16 v73, v54, v74, v73
	v_pk_fma_f16 v75, v55, v74, v75
	;; [unrolled: 1-line block ×4, first 2 shown]
	v_lshrrev_b32_e32 v34, 16, v34
	v_mul_u32_u24_e32 v33, 0x10001, v33
	v_mul_u32_u24_e32 v74, 0x10001, v120
	v_lshrrev_b32_e32 v149, 16, v35
	ds_load_2addr_b64 v[48:51], v72 offset1:32
	v_mul_u32_u24_e32 v34, 0x10001, v34
	s_wait_dscnt 0xd
	v_pk_fma_f16 v73, v62, v33, v73
	v_pk_fma_f16 v75, v63, v33, v75
	;; [unrolled: 1-line block ×4, first 2 shown]
	v_and_b32_e32 v33, 0xffff, v35
	s_wait_dscnt 0xc
	v_pk_fma_f16 v145, v70, v74, v73
	v_pk_fma_f16 v146, v71, v74, v75
	;; [unrolled: 1-line block ×4, first 2 shown]
	v_mul_u32_u24_e32 v147, 0x10001, v33
	s_wait_dscnt 0xb
	v_pk_fma_f16 v145, v66, v34, v145
	v_pk_fma_f16 v146, v67, v34, v146
	;; [unrolled: 1-line block ×4, first 2 shown]
	ds_load_2addr_b64 v[52:55], v72 offset0:64 offset1:96
	ds_load_2addr_b64 v[60:63], v72 offset0:128 offset1:160
	;; [unrolled: 1-line block ×3, first 2 shown]
	ds_load_2addr_b64 v[72:75], v144 offset1:32
	ds_load_2addr_b64 v[64:67], v144 offset0:64 offset1:96
	ds_load_2addr_b64 v[32:35], v144 offset0:128 offset1:160
	s_wait_dscnt 0x10
	v_pk_fma_f16 v145, v58, v147, v145
	v_pk_fma_f16 v146, v59, v147, v146
	;; [unrolled: 1-line block ×4, first 2 shown]
	ds_load_2addr_b64 v[56:59], v144 offset0:192 offset1:224
	v_lshrrev_b32_e32 v148, 16, v4
	v_mul_u32_u24_e32 v144, 0x10001, v149
	v_and_b32_e32 v4, 0xffff, v4
	v_lshrrev_b32_e32 v149, 16, v5
	v_and_b32_e32 v5, 0xffff, v5
	s_wait_dscnt 0x0
	v_pk_fma_f16 v42, v42, v144, v145
	v_pk_fma_f16 v43, v43, v144, v146
	;; [unrolled: 1-line block ×4, first 2 shown]
	v_mul_u32_u24_e32 v4, 0x10001, v4
	v_mul_u32_u24_e32 v5, 0x10001, v5
	v_lshrrev_b32_e32 v120, 16, v6
	v_and_b32_e32 v6, 0xffff, v6
	v_dual_lshrrev_b32 v144, 16, v7 :: v_dual_lshrrev_b32 v145, 16, v0
	v_pk_fma_f16 v26, v26, v4, v42
	v_pk_fma_f16 v27, v27, v4, v43
	v_pk_fma_f16 v24, v24, v4, v40
	v_pk_fma_f16 v4, v25, v4, v41
	v_mul_u32_u24_e32 v40, 0x10001, v148
	v_and_b32_e32 v7, 0xffff, v7
	v_and_b32_e32 v0, 0xffff, v0
	v_dual_lshrrev_b32 v146, 16, v1 :: v_dual_lshrrev_b32 v147, 16, v2
	s_delay_alu instid0(VALU_DEP_4)
	v_pk_fma_f16 v10, v10, v40, v26
	v_pk_fma_f16 v11, v11, v40, v27
	v_pk_fma_f16 v8, v8, v40, v24
	v_pk_fma_f16 v4, v9, v40, v4
	v_mul_u32_u24_e32 v9, 0x10001, v149
	v_pk_fma_f16 v10, v18, v5, v10
	v_pk_fma_f16 v11, v19, v5, v11
	v_pk_fma_f16 v8, v16, v5, v8
	v_pk_fma_f16 v4, v17, v5, v4
	v_mul_u32_u24_e32 v5, 0x10001, v6
	;; [unrolled: 5-line block ×6, first 2 shown]
	v_pk_fma_f16 v5, v46, v9, v6
	v_pk_fma_f16 v6, v47, v9, v7
	;; [unrolled: 1-line block ×4, first 2 shown]
	v_and_b32_e32 v1, 0xffff, v1
	v_mul_u32_u24_e32 v8, 0x10001, v145
	v_pk_fma_f16 v5, v50, v0, v5
	v_pk_fma_f16 v6, v51, v0, v6
	v_pk_fma_f16 v7, v48, v0, v7
	v_pk_fma_f16 v0, v49, v0, v4
	v_mul_u32_u24_e32 v1, 0x10001, v1
	v_pk_fma_f16 v4, v54, v8, v5
	v_pk_fma_f16 v5, v55, v8, v6
	;; [unrolled: 1-line block ×4, first 2 shown]
	v_and_b32_e32 v2, 0xffff, v2
	v_mul_u32_u24_e32 v7, 0x10001, v146
	v_pk_fma_f16 v4, v62, v1, v4
	v_pk_fma_f16 v5, v63, v1, v5
	;; [unrolled: 1-line block ×4, first 2 shown]
	s_barrier_signal -1
	s_barrier_wait -1
	s_load_b32 s2, s[8:9], 0x4
	v_mul_u32_u24_e32 v1, 0x10001, v2
	v_pk_fma_f16 v2, v70, v7, v4
	v_pk_fma_f16 v4, v71, v7, v5
	;; [unrolled: 1-line block ×4, first 2 shown]
	v_lshrrev_b32_e32 v25, 16, v3
	v_and_b32_e32 v3, 0xffff, v3
	v_mul_u32_u24_e32 v6, 0x10001, v147
	v_pk_fma_f16 v2, v74, v1, v2
	v_pk_fma_f16 v4, v75, v1, v4
	v_pk_fma_f16 v5, v72, v1, v5
	v_pk_fma_f16 v0, v73, v1, v0
	v_mul_u32_u24_e32 v1, 0x10001, v3
	v_pk_fma_f16 v2, v66, v6, v2
	v_pk_fma_f16 v3, v67, v6, v4
	v_pk_fma_f16 v4, v64, v6, v5
	v_pk_fma_f16 v0, v65, v6, v0
	;; [unrolled: 5-line block ×3, first 2 shown]
	s_wait_kmcnt 0x0
	s_lshl_b32 s2, s2, 5
	v_pk_fma_f16 v33, v58, v5, v2
	v_pk_fma_f16 v32, v59, v5, v3
	;; [unrolled: 1-line block ×4, first 2 shown]
	s_add_co_i32 s20, s2, s20
	s_delay_alu instid0(SALU_CYCLE_1)
	s_cmp_lt_i32 s20, s5
	s_cbranch_scc0 .LBB73_18
; %bb.16:                               ;   in Loop: Header=BB73_8 Depth=1
	v_dual_mov_b32 v35, v98 :: v_dual_mov_b32 v34, v97
	s_branch .LBB73_8
.LBB73_17:
	v_dual_mov_b32 v56, 0 :: v_dual_mov_b32 v120, 0
	v_dual_mov_b32 v98, 0xfeffffff :: v_dual_mov_b32 v33, 0
	v_mov_b32_e32 v32, 0
.LBB73_18:
	s_cmp_gt_i32 s34, s20
	s_cbranch_scc1 .LBB73_21
; %bb.19:
	v_mbcnt_lo_u32_b32 v0, -1, 0
	v_mov_b32_e32 v105, 32
	s_delay_alu instid0(VALU_DEP_2)
	v_xor_b32_e32 v102, 16, v0
	v_xor_b32_e32 v100, 8, v0
	;; [unrolled: 1-line block ×5, first 2 shown]
	s_cbranch_execz .LBB73_22
; %bb.20:
	v_mov_b32_e32 v99, v0
	s_branch .LBB73_32
.LBB73_21:
                                        ; implicit-def: $vgpr0
                                        ; implicit-def: $vgpr105
                                        ; implicit-def: $vgpr102
                                        ; implicit-def: $vgpr100
                                        ; implicit-def: $vgpr101
                                        ; implicit-def: $vgpr103
                                        ; implicit-def: $vgpr104
.LBB73_22:
	s_ashr_i32 s21, s20, 31
	s_ashr_i32 s37, s36, 31
	s_mov_b32 s4, 0
	s_mul_u64 s[2:3], s[20:21], s[36:37]
	v_dual_mov_b32 v0, 0 :: v_dual_lshlrev_b32 v1, 20, v99
	s_lshl_b64 s[2:3], s[2:3], 2
	s_mov_b32 s5, s4
	s_add_nc_u64 s[8:9], s[6:7], s[2:3]
	s_mov_b32 s6, s4
	s_delay_alu instid0(SALU_CYCLE_1) | instskip(SKIP_4) | instid1(VALU_DEP_3)
	v_dual_mov_b32 v77, 0 :: v_dual_mov_b32 v16, s6
	v_lshl_add_u64 v[2:3], v[80:81], 2, s[8:9]
	v_add_nc_u64_e32 v[18:19], src_flat_scratch_base_lo, v[0:1]
	s_sub_co_i32 s34, s34, s20
	v_dual_mov_b32 v15, s5 :: v_dual_mov_b32 v14, s4
	v_add_nc_u64_e32 v[2:3], v[2:3], v[76:77]
	v_cmp_gt_i32_e32 vcc_lo, s34, v119
	s_clause 0x1
	scratch_store_b32 off, v77, off
	scratch_store_b96 off, v[14:16], off offset:4
	s_lshl_b32 s15, s36, 2
	v_mad_u32_u24 v0, 0x210, v119, v76
	v_dual_cndmask_b32 v3, v19, v3 :: v_dual_add_nc_u32 v8, s15, v80
	v_cndmask_b32_e32 v2, v18, v2, vcc_lo
	flat_load_b128 v[4:7], v[2:3]
	s_wait_xcnt 0x0
	v_add_nc_u32_e32 v2, 4, v119
	s_clause 0x1
	scratch_store_b32 off, v77, off
	scratch_store_b96 off, v[14:16], off offset:4
	v_add_nc_u32_e32 v3, 8, v119
	v_cmp_gt_i32_e64 s2, s34, v2
	v_ashrrev_i32_e32 v9, 31, v8
	s_delay_alu instid0(VALU_DEP_3) | instskip(NEXT) | instid1(VALU_DEP_2)
	v_cmp_gt_i32_e64 s3, s34, v3
	v_lshl_add_u64 v[10:11], v[8:9], 2, s[8:9]
	s_delay_alu instid0(VALU_DEP_1) | instskip(NEXT) | instid1(VALU_DEP_1)
	v_add_nc_u64_e32 v[10:11], v[10:11], v[76:77]
	v_dual_cndmask_b32 v11, v19, v11, s2 :: v_dual_cndmask_b32 v10, v18, v10, s2
	s_wait_loadcnt_dscnt 0x0
	ds_store_b128 v0, v[4:7]
	flat_load_b128 v[4:7], v[10:11]
	s_wait_xcnt 0x0
	v_add_nc_u32_e32 v10, s15, v8
	s_clause 0x1
	scratch_store_b32 off, v77, off
	scratch_store_b96 off, v[14:16], off offset:4
	v_ashrrev_i32_e32 v11, 31, v10
	s_delay_alu instid0(VALU_DEP_1) | instskip(NEXT) | instid1(VALU_DEP_1)
	v_lshl_add_u64 v[8:9], v[10:11], 2, s[8:9]
	v_add_nc_u64_e32 v[8:9], v[8:9], v[76:77]
	s_delay_alu instid0(VALU_DEP_1)
	v_dual_cndmask_b32 v9, v19, v9, s3 :: v_dual_cndmask_b32 v8, v18, v8, s3
	s_wait_loadcnt_dscnt 0x0
	ds_store_b128 v0, v[4:7] offset:2112
	flat_load_b128 v[6:9], v[8:9]
	v_add_nc_u32_e32 v4, s15, v10
	s_clause 0x1
	scratch_store_b32 off, v77, off
	scratch_store_b96 off, v[14:16], off offset:4
	v_ashrrev_i32_e32 v5, 31, v4
	s_delay_alu instid0(VALU_DEP_1) | instskip(SKIP_2) | instid1(VALU_DEP_3)
	v_lshl_add_u64 v[10:11], v[4:5], 2, s[8:9]
	v_dual_add_nc_u32 v5, 12, v119 :: v_dual_add_nc_u32 v12, s15, v4
	v_add_nc_u32_e32 v4, 28, v119
	v_add_nc_u64_e32 v[10:11], v[10:11], v[76:77]
	s_delay_alu instid0(VALU_DEP_3) | instskip(NEXT) | instid1(VALU_DEP_1)
	v_cmp_gt_i32_e64 s4, s34, v5
	v_dual_ashrrev_i32 v13, 31, v12 :: v_dual_cndmask_b32 v11, v19, v11, s4
	s_delay_alu instid0(VALU_DEP_3)
	v_cndmask_b32_e64 v10, v18, v10, s4
	s_wait_loadcnt_dscnt 0x0
	ds_store_b128 v0, v[6:9] offset:4224
	flat_load_b128 v[8:11], v[10:11]
	v_add_nc_u32_e32 v6, 16, v119
	v_lshl_add_u64 v[20:21], v[12:13], 2, s[8:9]
	s_clause 0x1
	scratch_store_b32 off, v77, off
	scratch_store_b96 off, v[14:16], off offset:4
	v_add_nc_u32_e32 v7, 20, v119
	v_cmp_gt_i32_e64 s5, s34, v6
	v_add_nc_u64_e32 v[20:21], v[20:21], v[76:77]
	s_delay_alu instid0(VALU_DEP_3) | instskip(NEXT) | instid1(VALU_DEP_2)
	v_cmp_gt_i32_e64 s6, s34, v7
	v_dual_cndmask_b32 v21, v19, v21, s5 :: v_dual_cndmask_b32 v20, v18, v20, s5
	s_wait_loadcnt_dscnt 0x0
	ds_store_b128 v0, v[8:11] offset:6336
	flat_load_b128 v[8:11], v[20:21]
	s_wait_xcnt 0x0
	v_add_nc_u32_e32 v20, s15, v12
	s_clause 0x1
	scratch_store_b32 off, v77, off
	scratch_store_b96 off, v[14:16], off offset:4
	v_ashrrev_i32_e32 v21, 31, v20
	s_delay_alu instid0(VALU_DEP_1) | instskip(NEXT) | instid1(VALU_DEP_1)
	v_lshl_add_u64 v[12:13], v[20:21], 2, s[8:9]
	v_add_nc_u64_e32 v[12:13], v[12:13], v[76:77]
	s_delay_alu instid0(VALU_DEP_1)
	v_dual_cndmask_b32 v13, v19, v13, s6 :: v_dual_cndmask_b32 v12, v18, v12, s6
	s_wait_loadcnt_dscnt 0x0
	ds_store_b128 v0, v[8:11] offset:8448
	v_add_nc_u32_e32 v8, 24, v119
	flat_load_b128 v[10:13], v[12:13]
	s_clause 0x1
	scratch_store_b32 off, v77, off
	scratch_store_b96 off, v[14:16], off offset:4
	v_cmp_gt_i32_e64 s7, s34, v8
	v_add_nc_u32_e32 v20, s15, v20
	s_delay_alu instid0(VALU_DEP_1) | instskip(NEXT) | instid1(VALU_DEP_1)
	v_ashrrev_i32_e32 v21, 31, v20
	v_lshl_add_u64 v[22:23], v[20:21], 2, s[8:9]
	s_delay_alu instid0(VALU_DEP_1) | instskip(NEXT) | instid1(VALU_DEP_1)
	v_add_nc_u64_e32 v[22:23], v[22:23], v[76:77]
	v_dual_cndmask_b32 v23, v19, v23, s7 :: v_dual_cndmask_b32 v22, v18, v22, s7
	v_add_nc_u32_e32 v20, s15, v20
	s_mov_b32 s15, exec_lo
	s_delay_alu instid0(VALU_DEP_1) | instskip(NEXT) | instid1(VALU_DEP_1)
	v_ashrrev_i32_e32 v21, 31, v20
	v_lshl_add_u64 v[20:21], v[20:21], 2, s[8:9]
	v_cmp_gt_i32_e64 s8, s34, v4
	s_delay_alu instid0(VALU_DEP_2) | instskip(NEXT) | instid1(VALU_DEP_1)
	v_add_nc_u64_e32 v[20:21], v[20:21], v[76:77]
	v_dual_cndmask_b32 v19, v19, v21, s8 :: v_dual_cndmask_b32 v18, v18, v20, s8
	s_wait_loadcnt_dscnt 0x0
	ds_store_b128 v0, v[10:13] offset:10560
	flat_load_b128 v[10:13], v[22:23]
	s_clause 0x1
	scratch_store_b32 off, v77, off
	scratch_store_b96 off, v[14:16], off offset:4
	s_wait_loadcnt_dscnt 0x0
	ds_store_b128 v0, v[10:13] offset:12672
	flat_load_b128 v[10:13], v[18:19]
	s_wait_loadcnt_dscnt 0x0
	ds_store_b128 v0, v[10:13] offset:14784
	s_wait_storecnt_dscnt 0x0
	s_barrier_signal -1
	s_barrier_wait -1
	ds_load_b128 v[10:13], v123
	s_wait_xcnt 0x1
	ds_load_b128 v[14:17], v122
                                        ; implicit-def: $vgpr0
	s_wait_dscnt 0x0
	;;#ASMSTART
	v_dot2_f32_f16 v77, v10, v14, v77
	;;#ASMEND
	;;#ASMSTART
	v_dot2_f32_f16 v77, v11, v15, v77
	;;#ASMEND
	;;#ASMSTART
	v_dot2_f32_f16 v77, v12, v16, v77
	;;#ASMEND
	;;#ASMSTART
	v_dot2_f32_f16 v77, v13, v17, v77
	;;#ASMEND
	ds_load_b128 v[10:13], v123 offset:16
	ds_load_b128 v[14:17], v122 offset:16
	s_wait_dscnt 0x0
	;;#ASMSTART
	v_dot2_f32_f16 v77, v10, v14, v77
	;;#ASMEND
	;;#ASMSTART
	v_dot2_f32_f16 v77, v11, v15, v77
	;;#ASMEND
	;;#ASMSTART
	v_dot2_f32_f16 v77, v12, v16, v77
	;;#ASMEND
	;;#ASMSTART
	v_dot2_f32_f16 v77, v13, v17, v77
	;;#ASMEND
	ds_load_b128 v[10:13], v123 offset:32
	ds_load_b128 v[14:17], v122 offset:32
	;; [unrolled: 15-line block ×31, first 2 shown]
	s_wait_dscnt 0x0
	;;#ASMSTART
	v_dot2_f32_f16 v77, v10, v14, v77
	;;#ASMEND
	;;#ASMSTART
	v_dot2_f32_f16 v77, v11, v15, v77
	;;#ASMEND
	;; [unrolled: 3-line block ×4, first 2 shown]
	s_wait_xcnt 0x0
	v_cmpx_ngt_f32_e64 0x3f200000, |v77|
	s_xor_b32 s15, exec_lo, s15
	s_cbranch_execz .LBB73_24
; %bb.23:
	v_add_f32_e64 v0, |v77|, |v77|
	s_delay_alu instid0(VALU_DEP_1) | instskip(SKIP_1) | instid1(VALU_DEP_2)
	v_mul_f32_e32 v9, 0x3fb8aa3b, v0
	v_cmp_ngt_f32_e64 s9, 0xc2ce8ed0, v0
	v_rndne_f32_e32 v10, v9
	v_fma_f32 v11, 0x3fb8aa3b, v0, -v9
	s_delay_alu instid0(VALU_DEP_2) | instskip(NEXT) | instid1(VALU_DEP_2)
	v_sub_f32_e32 v9, v9, v10
	v_fmamk_f32 v11, v0, 0x32a5705f, v11
	v_cvt_i32_f32_e32 v10, v10
	s_delay_alu instid0(VALU_DEP_2) | instskip(NEXT) | instid1(VALU_DEP_1)
	v_add_f32_e32 v9, v9, v11
	v_exp_f32_e32 v9, v9
	v_nop
	s_delay_alu instid0(TRANS32_DEP_1) | instskip(NEXT) | instid1(VALU_DEP_1)
	v_ldexp_f32 v9, v9, v10
	v_cndmask_b32_e64 v9, 0, v9, s9
	v_cmp_nlt_f32_e64 s9, 0x42b17218, v0
	s_delay_alu instid0(VALU_DEP_1) | instskip(NEXT) | instid1(VALU_DEP_1)
	v_cndmask_b32_e64 v0, 0x7f800000, v9, s9
	v_add_f32_e32 v0, 1.0, v0
	s_delay_alu instid0(VALU_DEP_1) | instskip(SKIP_1) | instid1(TRANS32_DEP_1)
	v_rcp_f32_e32 v0, v0
	v_nop
	v_fma_f32 v0, v0, -2.0, 1.0
.LBB73_24:
	s_and_not1_saveexec_b32 s9, s15
	s_cbranch_execz .LBB73_26
; %bb.25:
	v_mul_f32_e32 v0, v77, v77
	s_mov_b32 s15, 0xbbbac73d
	s_delay_alu instid0(VALU_DEP_1) | instid1(SALU_CYCLE_1)
	v_fmaak_f32 v9, s15, v0, 0x3ca908c9
	s_delay_alu instid0(VALU_DEP_1) | instskip(NEXT) | instid1(VALU_DEP_1)
	v_fmaak_f32 v9, v0, v9, 0xbd5c1c4e
	v_fmaak_f32 v9, v0, v9, 0x3e088382
	s_delay_alu instid0(VALU_DEP_1) | instskip(NEXT) | instid1(VALU_DEP_1)
	v_fmaak_f32 v9, v0, v9, 0xbeaaaa99
	v_mul_f32_e64 v9, |v77|, v9
	s_delay_alu instid0(VALU_DEP_1)
	v_fma_f32 v0, v0, v9, |v77|
.LBB73_26:
	s_or_b32 exec_lo, exec_lo, s9
	s_delay_alu instid0(VALU_DEP_1) | instskip(NEXT) | instid1(VALU_DEP_1)
	v_bfi_b32 v0, 0x7fffffff, v0, v77
	v_dual_mov_b32 v9, v98 :: v_dual_mul_f32 v0, s11, v0
	s_mov_b32 s11, exec_lo
	v_cmpx_gt_i32_e64 s34, v115
	s_cbranch_execz .LBB73_31
; %bb.27:
	s_cmp_eq_u64 s[30:31], 0
	s_cbranch_scc1 .LBB73_29
; %bb.28:
	v_mul_lo_u32 v9, v96, s10
	s_delay_alu instid0(VALU_DEP_1) | instskip(SKIP_3) | instid1(VALU_DEP_1)
	v_add3_u32 v9, v9, v115, s20
	global_load_u16 v9, v9, s[30:31] scale_offset
	s_wait_loadcnt 0x0
	v_cvt_f32_f16_e32 v9, v9
	v_mul_f32_e32 v9, v121, v9
	s_branch .LBB73_30
.LBB73_29:
	v_mov_b32_e32 v9, 0
.LBB73_30:
	s_delay_alu instid0(VALU_DEP_1) | instskip(NEXT) | instid1(VALU_DEP_1)
	v_dual_add_f32 v0, v0, v9 :: v_dual_max_num_f32 v10, v98, v98
	v_add_f32_e32 v9, 0x40051340, v0
	s_delay_alu instid0(VALU_DEP_1)
	v_max_num_f32_e32 v9, v10, v9
.LBB73_31:
	s_or_b32 exec_lo, exec_lo, s11
	v_xor_b32_e32 v102, 16, v99
	s_ashr_i32 s15, s14, 31
	s_mov_b32 s24, 0
	s_mul_u64 s[10:11], s[20:21], s[14:15]
	s_mov_b32 s25, s24
	v_cmp_gt_i32_e64 s9, 32, v102
	s_lshl_b64 s[10:11], s[10:11], 2
	v_lshlrev_b32_e32 v14, 1, v115
	s_add_nc_u64 s[10:11], s[26:27], s[10:11]
	s_mov_b32 s26, s24
	v_dual_cndmask_b32 v10, v99, v102, s9 :: v_dual_bitop2_b32 v100, 8, v99 bitop3:0x14
	v_dual_mov_b32 v16, s24 :: v_dual_mov_b32 v18, s26
	s_delay_alu instid0(VALU_DEP_2) | instskip(NEXT) | instid1(VALU_DEP_3)
	v_lshlrev_b32_e32 v10, 2, v10
	v_cmp_gt_i32_e64 s9, 32, v100
	s_barrier_signal -1
	s_barrier_wait -1
	ds_bpermute_b32 v10, v10, v9
	v_dual_max_num_f32 v9, v9, v9 :: v_dual_cndmask_b32 v11, v99, v100, s9
	v_lshl_add_u32 v5, v5, 9, v76
	v_lshl_add_u32 v4, v4, 9, v76
	v_add_nc_u32_e32 v34, 0x3000, v117
	v_add_nc_u32_e32 v112, 0x3800, v117
	v_lshlrev_b32_e32 v11, 2, v11
	v_dual_mov_b32 v77, 0 :: v_dual_bitop2_b32 v101, 4, v99 bitop3:0x14
	v_mov_b32_e32 v17, s25
	s_clause 0x1
	scratch_store_b32 off, v77, off
	scratch_store_b96 off, v[16:18], off offset:4
	v_cmp_gt_i32_e64 s9, 32, v101
	s_wait_dscnt 0x0
	v_dual_mov_b32 v105, 32 :: v_dual_max_num_f32 v10, v10, v10
	s_delay_alu instid0(VALU_DEP_1) | instskip(SKIP_3) | instid1(VALU_DEP_1)
	v_max_num_f32_e32 v9, v9, v10
	ds_bpermute_b32 v10, v11, v9
	s_wait_dscnt 0x0
	v_dual_cndmask_b32 v11, v99, v101, s9 :: v_dual_max_num_f32 v10, v10, v10
	v_dual_lshlrev_b32 v11, 2, v11 :: v_dual_max_num_f32 v9, v9, v10
	ds_bpermute_b32 v10, v11, v9
	s_wait_dscnt 0x0
	v_dual_max_num_f32 v10, v10, v10 :: v_dual_bitop2_b32 v103, 2, v99 bitop3:0x14
	s_delay_alu instid0(VALU_DEP_1) | instskip(NEXT) | instid1(VALU_DEP_1)
	v_cmp_gt_i32_e64 s9, 32, v103
	v_dual_max_num_f32 v9, v9, v10 :: v_dual_cndmask_b32 v11, v99, v103, s9
	s_delay_alu instid0(VALU_DEP_1) | instskip(SKIP_3) | instid1(VALU_DEP_1)
	v_lshlrev_b32_e32 v11, 2, v11
	ds_bpermute_b32 v10, v11, v9
	s_wait_dscnt 0x0
	v_dual_max_num_f32 v10, v10, v10 :: v_dual_bitop2_b32 v104, 1, v99 bitop3:0x14
	v_max_num_f32_e32 v9, v9, v10
	s_delay_alu instid0(VALU_DEP_2) | instskip(NEXT) | instid1(VALU_DEP_1)
	v_cmp_gt_i32_e64 s9, 32, v104
	v_cndmask_b32_e64 v11, v99, v104, s9
	s_delay_alu instid0(VALU_DEP_1) | instskip(SKIP_3) | instid1(VALU_DEP_1)
	v_lshlrev_b32_e32 v11, 2, v11
	ds_bpermute_b32 v10, v11, v9
	s_wait_dscnt 0x0
	v_max_num_f32_e32 v10, v10, v10
	v_max_num_f32_e32 v9, v9, v10
	s_delay_alu instid0(VALU_DEP_1) | instskip(NEXT) | instid1(VALU_DEP_1)
	v_sub_f32_e32 v11, v0, v9
	v_mul_f32_e32 v0, 0x3fb8aa3b, v11
	s_delay_alu instid0(VALU_DEP_1) | instskip(SKIP_1) | instid1(VALU_DEP_1)
	v_fma_f32 v10, 0x3fb8aa3b, v11, -v0
	v_rndne_f32_e32 v12, v0
	v_sub_f32_e32 v0, v0, v12
	s_delay_alu instid0(VALU_DEP_3) | instskip(SKIP_2) | instid1(VALU_DEP_3)
	v_fmac_f32_e32 v10, 0x32a5705f, v11
	v_cvt_i32_f32_e32 v12, v12
	v_cmp_ngt_f32_e64 s9, 0xc2ce8ed0, v11
	v_dual_add_f32 v0, v0, v10 :: v_dual_lshlrev_b32 v10, 6, v119
	s_delay_alu instid0(VALU_DEP_1) | instskip(SKIP_1) | instid1(TRANS32_DEP_1)
	v_exp_f32_e32 v0, v0
	v_nop
	v_ldexp_f32 v12, v0, v12
	s_delay_alu instid0(VALU_DEP_1) | instskip(SKIP_2) | instid1(VALU_DEP_3)
	v_dual_mov_b32 v0, 0 :: v_dual_cndmask_b32 v15, 0, v12, s9
	v_cmp_nlt_f32_e64 s9, 0x42b17218, v11
	v_lshl_add_u64 v[12:13], v[78:79], 2, s[10:11]
	v_add_nc_u64_e32 v[20:21], src_flat_scratch_base_lo, v[0:1]
	s_delay_alu instid0(VALU_DEP_3) | instskip(SKIP_1) | instid1(VALU_DEP_4)
	v_cndmask_b32_e64 v11, 0x7f800000, v15, s9
	v_cmp_gt_u32_e64 s9, s34, v115
	v_add_nc_u64_e32 v[0:1], v[12:13], v[76:77]
	s_delay_alu instid0(VALU_DEP_2) | instskip(SKIP_2) | instid1(VALU_DEP_3)
	v_cndmask_b32_e64 v96, 0, v11, s9
	v_add3_u32 v11, 0x4a00, v10, v14
	s_lshl_b32 s9, s14, 2
	v_dual_cndmask_b32 v1, v21, v1 :: v_dual_cndmask_b32 v0, v20, v0
	s_delay_alu instid0(VALU_DEP_3)
	v_cvt_f16_f32_e32 v12, v96
	ds_store_b16 v11, v12
	flat_load_b128 v[12:15], v[0:1]
	s_wait_xcnt 0x0
	v_add_nc_u32_e32 v0, s9, v78
	s_clause 0x1
	scratch_store_b32 off, v77, off
	scratch_store_b96 off, v[16:18], off offset:4
	v_add_nc_u32_e32 v11, 0x2000, v117
	v_ashrrev_i32_e32 v1, 31, v0
	s_delay_alu instid0(VALU_DEP_1) | instskip(SKIP_2) | instid1(VALU_DEP_3)
	v_lshl_add_u64 v[22:23], v[0:1], 2, s[10:11]
	v_add_nc_u32_e32 v1, v118, v76
	v_add_nc_u32_e32 v0, s9, v0
	v_add_nc_u64_e32 v[22:23], v[22:23], v[76:77]
	s_delay_alu instid0(VALU_DEP_1)
	v_dual_cndmask_b32 v23, v21, v23, s2 :: v_dual_cndmask_b32 v22, v20, v22, s2
	s_wait_loadcnt_dscnt 0x0
	ds_store_b128 v1, v[12:15]
	flat_load_b128 v[12:15], v[22:23]
	v_ashrrev_i32_e32 v1, 31, v0
	s_clause 0x1
	scratch_store_b32 off, v77, off
	scratch_store_b96 off, v[16:18], off offset:4
	s_wait_xcnt 0x2
	v_lshl_add_u64 v[22:23], v[0:1], 2, s[10:11]
	v_lshl_add_u32 v1, v2, 9, v76
	v_lshl_add_u32 v2, v3, 9, v76
	s_delay_alu instid0(VALU_DEP_3) | instskip(NEXT) | instid1(VALU_DEP_1)
	v_add_nc_u64_e32 v[22:23], v[22:23], v[76:77]
	v_dual_cndmask_b32 v23, v21, v23, s3 :: v_dual_cndmask_b32 v22, v20, v22, s3
	s_wait_loadcnt_dscnt 0x0
	ds_store_b128 v1, v[12:15]
	flat_load_b128 v[12:15], v[22:23]
	s_wait_xcnt 0x0
	v_add_nc_u32_e32 v22, s9, v0
	s_clause 0x1
	scratch_store_b32 off, v77, off
	scratch_store_b96 off, v[16:18], off offset:4
	v_ashrrev_i32_e32 v23, 31, v22
	s_delay_alu instid0(VALU_DEP_1) | instskip(NEXT) | instid1(VALU_DEP_1)
	v_lshl_add_u64 v[0:1], v[22:23], 2, s[10:11]
	v_add_nc_u64_e32 v[0:1], v[0:1], v[76:77]
	s_delay_alu instid0(VALU_DEP_1)
	v_dual_cndmask_b32 v1, v21, v1, s4 :: v_dual_cndmask_b32 v0, v20, v0, s4
	s_wait_loadcnt_dscnt 0x0
	ds_store_b128 v2, v[12:15]
	flat_load_b128 v[0:3], v[0:1]
	v_add_nc_u32_e32 v12, s9, v22
	s_clause 0x1
	scratch_store_b32 off, v77, off
	scratch_store_b96 off, v[16:18], off offset:4
	v_ashrrev_i32_e32 v13, 31, v12
	s_delay_alu instid0(VALU_DEP_1) | instskip(SKIP_1) | instid1(VALU_DEP_2)
	v_lshl_add_u64 v[14:15], v[12:13], 2, s[10:11]
	v_add_nc_u32_e32 v12, s9, v12
	v_add_nc_u64_e32 v[14:15], v[14:15], v[76:77]
	s_delay_alu instid0(VALU_DEP_1) | instskip(NEXT) | instid1(VALU_DEP_2)
	v_dual_ashrrev_i32 v13, 31, v12 :: v_dual_cndmask_b32 v15, v21, v15, s5
	v_cndmask_b32_e64 v14, v20, v14, s5
	s_wait_loadcnt_dscnt 0x0
	ds_store_b128 v5, v[0:3]
	flat_load_b128 v[0:3], v[14:15]
	s_wait_xcnt 0x0
	v_lshl_add_u64 v[14:15], v[12:13], 2, s[10:11]
	v_lshl_add_u32 v5, v6, 9, v76
	s_clause 0x1
	scratch_store_b32 off, v77, off
	scratch_store_b96 off, v[16:18], off offset:4
	v_add_nc_u32_e32 v12, s9, v12
	v_add_nc_u64_e32 v[14:15], v[14:15], v[76:77]
	s_delay_alu instid0(VALU_DEP_1) | instskip(NEXT) | instid1(VALU_DEP_2)
	v_dual_ashrrev_i32 v13, 31, v12 :: v_dual_cndmask_b32 v15, v21, v15, s6
	v_cndmask_b32_e64 v14, v20, v14, s6
	s_wait_loadcnt_dscnt 0x0
	ds_store_b128 v5, v[0:3]
	flat_load_b128 v[0:3], v[14:15]
	s_wait_xcnt 0x0
	v_lshl_add_u64 v[14:15], v[12:13], 2, s[10:11]
	v_lshl_add_u32 v5, v7, 9, v76
	s_clause 0x1
	scratch_store_b32 off, v77, off
	scratch_store_b96 off, v[16:18], off offset:4
	v_add_nc_u64_e32 v[14:15], v[14:15], v[76:77]
	s_delay_alu instid0(VALU_DEP_1)
	v_dual_cndmask_b32 v7, v21, v15, s7 :: v_dual_cndmask_b32 v6, v20, v14, s7
	s_wait_loadcnt_dscnt 0x0
	ds_store_b128 v5, v[0:3]
	flat_load_b128 v[0:3], v[6:7]
	s_wait_xcnt 0x0
	v_add_nc_u32_e32 v6, s9, v12
	v_lshl_add_u32 v5, v8, 9, v76
	s_clause 0x1
	scratch_store_b32 off, v77, off
	scratch_store_b96 off, v[16:18], off offset:4
	v_add_nc_u32_e32 v12, 0x2800, v117
	s_wait_loadcnt_dscnt 0x0
	ds_store_b128 v5, v[0:3]
	v_dual_sub_f32 v5, v98, v9 :: v_dual_ashrrev_i32 v7, 31, v6
	v_mov_b32_e32 v98, v9
	s_delay_alu instid0(VALU_DEP_2) | instskip(NEXT) | instid1(VALU_DEP_3)
	v_cmp_ngt_f32_e32 vcc_lo, 0xc2ce8ed0, v5
	v_lshl_add_u64 v[6:7], v[6:7], 2, s[10:11]
	s_delay_alu instid0(VALU_DEP_1) | instskip(NEXT) | instid1(VALU_DEP_1)
	v_add_nc_u64_e32 v[6:7], v[6:7], v[76:77]
	v_dual_cndmask_b32 v7, v21, v7, s8 :: v_dual_cndmask_b32 v6, v20, v6, s8
	flat_load_b128 v[0:3], v[6:7]
	s_wait_xcnt 0x0
	v_mul_f32_e32 v6, 0x3fb8aa3b, v5
	s_delay_alu instid0(VALU_DEP_1) | instskip(SKIP_1) | instid1(VALU_DEP_1)
	v_fma_f32 v7, 0x3fb8aa3b, v5, -v6
	v_rndne_f32_e32 v8, v6
	v_dual_fmac_f32 v7, 0x32a5705f, v5 :: v_dual_sub_f32 v6, v6, v8
	s_delay_alu instid0(VALU_DEP_1) | instskip(SKIP_2) | instid1(VALU_DEP_3)
	v_add_f32_e32 v6, v6, v7
	v_cvt_i32_f32_e32 v7, v8
	v_add_nc_u32_e32 v8, 0x1800, v117
	v_exp_f32_e32 v6, v6
	v_nop
	s_delay_alu instid0(TRANS32_DEP_1) | instskip(NEXT) | instid1(VALU_DEP_1)
	v_ldexp_f32 v6, v6, v7
	v_dual_cndmask_b32 v6, 0, v6 :: v_dual_add_nc_u32 v7, 0x1000, v117
	v_cmp_nlt_f32_e32 vcc_lo, 0x42b17218, v5
	s_delay_alu instid0(VALU_DEP_2) | instskip(SKIP_1) | instid1(VALU_DEP_2)
	v_cndmask_b32_e32 v106, 0x7f800000, v6, vcc_lo
	v_add_nc_u32_e32 v6, 0x800, v117
	v_cvt_f16_f32_e32 v5, v106
	s_delay_alu instid0(VALU_DEP_1) | instskip(NEXT) | instid1(VALU_DEP_1)
	v_and_b32_e32 v5, 0xffff, v5
	v_mul_u32_u24_e32 v107, 0x10001, v5
	s_delay_alu instid0(VALU_DEP_1)
	v_pk_mul_f16 v58, v32, v107
	v_pk_mul_f16 v57, v33, v107
	s_wait_loadcnt_dscnt 0x0
	ds_store_b128 v4, v[0:3]
	s_wait_storecnt_dscnt 0x0
	s_barrier_signal -1
	s_barrier_wait -1
	ds_load_2addr_b64 v[108:111], v117 offset1:32
	ds_load_b128 v[122:125], v10 offset:18944
	ds_load_b128 v[126:129], v10 offset:18960
	;; [unrolled: 1-line block ×4, first 2 shown]
	ds_load_2addr_b64 v[138:141], v117 offset0:64 offset1:96
	ds_load_2addr_b64 v[142:145], v117 offset0:128 offset1:160
	ds_load_2addr_b64 v[146:149], v117 offset0:192 offset1:224
	ds_load_2addr_b64 v[150:153], v6 offset1:32
	ds_load_2addr_b64 v[154:157], v6 offset0:64 offset1:96
	ds_load_2addr_b64 v[92:95], v6 offset0:128 offset1:160
	ds_load_2addr_b64 v[88:91], v6 offset0:192 offset1:224
	ds_load_2addr_b64 v[84:87], v7 offset1:32
	;; [unrolled: 4-line block ×5, first 2 shown]
	ds_load_2addr_b64 v[8:11], v12 offset0:64 offset1:96
	ds_load_2addr_b64 v[4:7], v12 offset0:128 offset1:160
	s_wait_dscnt 0x19
	v_and_b32_e32 v32, 0xffff, v122
	v_lshrrev_b32_e32 v113, 16, v122
	v_and_b32_e32 v118, 0xffff, v123
	v_lshrrev_b32_e32 v117, 16, v123
	v_and_b32_e32 v119, 0xffff, v124
	v_mul_u32_u24_e32 v59, 0x10001, v32
	v_mul_u32_u24_e32 v113, 0x10001, v113
	v_dual_lshrrev_b32 v122, 16, v124 :: v_dual_lshrrev_b32 v158, 16, v125
	v_mul_u32_u24_e32 v117, 0x10001, v117
	s_delay_alu instid0(VALU_DEP_4)
	v_pk_mul_f16 v108, v108, v59
	v_pk_mul_f16 v109, v109, v59
	v_pk_fma_f16 v110, v110, v59, v57
	v_pk_fma_f16 v111, v111, v59, v58
	v_and_b32_e32 v123, 0xffff, v125
	v_pk_fma_f16 v108, v56, v107, v108
	v_pk_fma_f16 v107, v120, v107, v109
	s_wait_dscnt 0x15
	v_pk_fma_f16 v109, v140, v113, v110
	v_pk_fma_f16 v110, v141, v113, v111
	v_mul_u32_u24_e32 v111, 0x10001, v118
	v_pk_fma_f16 v108, v138, v113, v108
	v_pk_fma_f16 v107, v139, v113, v107
	v_mul_u32_u24_e32 v122, 0x10001, v122
	v_mul_u32_u24_e32 v123, 0x10001, v123
	s_wait_dscnt 0x14
	v_pk_fma_f16 v118, v144, v111, v109
	v_pk_fma_f16 v120, v145, v111, v110
	;; [unrolled: 1-line block ×4, first 2 shown]
	v_mul_u32_u24_e32 v143, 0x10001, v119
	s_wait_dscnt 0x13
	v_pk_fma_f16 v144, v148, v117, v118
	v_pk_fma_f16 v145, v149, v117, v120
	;; [unrolled: 1-line block ×4, first 2 shown]
	v_dual_lshrrev_b32 v124, 16, v126 :: v_dual_lshrrev_b32 v125, 16, v127
	s_wait_dscnt 0x12
	v_pk_fma_f16 v144, v152, v143, v144
	v_pk_fma_f16 v145, v153, v143, v145
	;; [unrolled: 1-line block ×4, first 2 shown]
	v_and_b32_e32 v126, 0xffff, v126
	s_wait_dscnt 0x11
	v_pk_fma_f16 v144, v156, v122, v144
	v_pk_fma_f16 v145, v157, v122, v145
	;; [unrolled: 1-line block ×4, first 2 shown]
	v_mul_u32_u24_e32 v122, 0x10001, v158
	s_wait_dscnt 0x10
	v_pk_fma_f16 v94, v94, v123, v144
	v_pk_fma_f16 v95, v95, v123, v145
	v_pk_fma_f16 v92, v92, v123, v146
	v_pk_fma_f16 v93, v93, v123, v107
	v_mul_u32_u24_e32 v107, 0x10001, v126
	s_wait_dscnt 0xf
	v_pk_fma_f16 v90, v90, v122, v94
	v_pk_fma_f16 v91, v91, v122, v95
	v_pk_fma_f16 v88, v88, v122, v92
	v_pk_fma_f16 v89, v89, v122, v93
	v_and_b32_e32 v127, 0xffff, v127
	v_mul_u32_u24_e32 v92, 0x10001, v124
	s_wait_dscnt 0xe
	v_pk_fma_f16 v86, v86, v107, v90
	v_pk_fma_f16 v87, v87, v107, v91
	v_pk_fma_f16 v84, v84, v107, v88
	v_pk_fma_f16 v85, v85, v107, v89
	v_mul_u32_u24_e32 v88, 0x10001, v127
	s_wait_dscnt 0xd
	v_pk_fma_f16 v82, v82, v92, v86
	v_pk_fma_f16 v83, v83, v92, v87
	v_pk_fma_f16 v80, v80, v92, v84
	v_pk_fma_f16 v81, v81, v92, v85
	v_dual_lshrrev_b32 v113, 16, v128 :: v_dual_lshrrev_b32 v138, 16, v129
	v_and_b32_e32 v128, 0xffff, v128
	v_mul_u32_u24_e32 v84, 0x10001, v125
	s_wait_dscnt 0xc
	v_pk_fma_f16 v78, v78, v88, v82
	v_pk_fma_f16 v79, v79, v88, v83
	v_pk_fma_f16 v76, v76, v88, v80
	v_pk_fma_f16 v77, v77, v88, v81
	v_mul_u32_u24_e32 v80, 0x10001, v128
	s_wait_dscnt 0xb
	v_pk_fma_f16 v74, v74, v84, v78
	v_pk_fma_f16 v75, v75, v84, v79
	v_pk_fma_f16 v72, v72, v84, v76
	v_pk_fma_f16 v73, v73, v84, v77
	v_and_b32_e32 v129, 0xffff, v129
	v_mul_u32_u24_e32 v76, 0x10001, v113
	s_wait_dscnt 0xa
	v_pk_fma_f16 v70, v70, v80, v74
	v_pk_fma_f16 v71, v71, v80, v75
	v_pk_fma_f16 v68, v68, v80, v72
	v_pk_fma_f16 v69, v69, v80, v73
	v_mul_u32_u24_e32 v72, 0x10001, v129
	s_wait_dscnt 0x9
	v_pk_fma_f16 v66, v66, v76, v70
	v_pk_fma_f16 v67, v67, v76, v71
	v_pk_fma_f16 v64, v64, v76, v68
	v_pk_fma_f16 v65, v65, v76, v69
	v_dual_lshrrev_b32 v139, 16, v130 :: v_dual_lshrrev_b32 v140, 16, v131
	v_and_b32_e32 v130, 0xffff, v130
	;; [unrolled: 27-line block ×3, first 2 shown]
	v_mul_u32_u24_e32 v48, 0x10001, v140
	s_wait_dscnt 0x4
	v_pk_fma_f16 v38, v38, v52, v46
	v_pk_fma_f16 v39, v39, v52, v47
	;; [unrolled: 1-line block ×4, first 2 shown]
	v_mul_u32_u24_e32 v44, 0x10001, v132
	s_wait_dscnt 0x3
	v_pk_fma_f16 v30, v30, v48, v38
	v_pk_fma_f16 v31, v31, v48, v39
	;; [unrolled: 1-line block ×4, first 2 shown]
	ds_load_2addr_b64 v[0:3], v12 offset0:192 offset1:224
	ds_load_2addr_b64 v[16:19], v34 offset1:32
	ds_load_2addr_b64 v[12:15], v34 offset0:64 offset1:96
	ds_load_2addr_b64 v[20:23], v34 offset0:128 offset1:160
	v_and_b32_e32 v133, 0xffff, v133
	v_mul_u32_u24_e32 v36, 0x10001, v141
	s_wait_dscnt 0x6
	v_pk_fma_f16 v26, v26, v44, v30
	v_pk_fma_f16 v27, v27, v44, v31
	v_pk_fma_f16 v24, v24, v44, v28
	v_pk_fma_f16 v25, v25, v44, v29
	v_mul_u32_u24_e32 v28, 0x10001, v133
	s_wait_dscnt 0x5
	v_pk_fma_f16 v10, v10, v36, v26
	v_pk_fma_f16 v11, v11, v36, v27
	v_pk_fma_f16 v8, v8, v36, v24
	v_pk_fma_f16 v9, v9, v36, v25
	ds_load_2addr_b64 v[32:35], v34 offset0:192 offset1:224
	ds_load_2addr_b64 v[40:43], v112 offset1:32
	ds_load_2addr_b64 v[56:59], v112 offset0:64 offset1:96
	ds_load_2addr_b64 v[108:111], v112 offset0:128 offset1:160
	;; [unrolled: 1-line block ×3, first 2 shown]
	v_dual_lshrrev_b32 v112, 16, v134 :: v_dual_lshrrev_b32 v117, 16, v135
	v_and_b32_e32 v134, 0xffff, v134
	v_mul_u32_u24_e32 v24, 0x10001, v142
	s_wait_dscnt 0x9
	v_pk_fma_f16 v6, v6, v28, v10
	v_pk_fma_f16 v7, v7, v28, v11
	;; [unrolled: 1-line block ×4, first 2 shown]
	v_mul_u32_u24_e32 v8, 0x10001, v134
	s_wait_dscnt 0x8
	v_pk_fma_f16 v2, v2, v24, v6
	v_pk_fma_f16 v3, v3, v24, v7
	;; [unrolled: 1-line block ×4, first 2 shown]
	v_and_b32_e32 v135, 0xffff, v135
	v_mul_u32_u24_e32 v4, 0x10001, v112
	s_wait_dscnt 0x7
	v_pk_fma_f16 v2, v18, v8, v2
	v_pk_fma_f16 v3, v19, v8, v3
	;; [unrolled: 1-line block ×4, first 2 shown]
	v_mul_u32_u24_e32 v5, 0x10001, v135
	s_wait_dscnt 0x6
	v_pk_fma_f16 v2, v14, v4, v2
	v_pk_fma_f16 v3, v15, v4, v3
	;; [unrolled: 1-line block ×4, first 2 shown]
	v_dual_lshrrev_b32 v143, 16, v136 :: v_dual_lshrrev_b32 v147, 16, v137
	v_and_b32_e32 v136, 0xffff, v136
	v_mul_u32_u24_e32 v4, 0x10001, v117
	s_wait_dscnt 0x5
	v_pk_fma_f16 v2, v22, v5, v2
	v_pk_fma_f16 v3, v23, v5, v3
	;; [unrolled: 1-line block ×4, first 2 shown]
	v_mul_u32_u24_e32 v5, 0x10001, v136
	s_wait_dscnt 0x4
	v_pk_fma_f16 v2, v34, v4, v2
	v_pk_fma_f16 v3, v35, v4, v3
	;; [unrolled: 1-line block ×4, first 2 shown]
	v_and_b32_e32 v137, 0xffff, v137
	v_mul_u32_u24_e32 v4, 0x10001, v143
	s_wait_dscnt 0x3
	v_pk_fma_f16 v2, v42, v5, v2
	v_pk_fma_f16 v3, v43, v5, v3
	v_pk_fma_f16 v0, v40, v5, v0
	v_pk_fma_f16 v1, v41, v5, v1
	v_mul_u32_u24_e32 v5, 0x10001, v137
	s_wait_dscnt 0x2
	v_pk_fma_f16 v2, v58, v4, v2
	v_pk_fma_f16 v3, v59, v4, v3
	v_pk_fma_f16 v0, v56, v4, v0
	v_pk_fma_f16 v1, v57, v4, v1
	;; [unrolled: 6-line block ×3, first 2 shown]
	v_fmac_f32_e32 v96, v97, v106
	s_wait_dscnt 0x0
	v_pk_fma_f16 v33, v120, v4, v2
	v_pk_fma_f16 v32, v121, v4, v3
	;; [unrolled: 1-line block ×4, first 2 shown]
	v_mov_b32_e32 v97, v96
	s_barrier_signal -1
	s_barrier_wait -1
.LBB73_32:
	v_cmp_lt_i32_e32 vcc_lo, v102, v105
	s_cmp_eq_u64 s[12:13], 0
	s_cselect_b32 s2, -1, 0
	s_cmp_lg_u32 s29, 0
	v_cndmask_b32_e32 v0, v99, v102, vcc_lo
	v_cmp_lt_i32_e32 vcc_lo, v100, v105
	s_cselect_b32 s3, -1, 0
	s_delay_alu instid0(SALU_CYCLE_1) | instskip(SKIP_3) | instid1(VALU_DEP_3)
	s_or_b32 s2, s3, s2
	v_cndmask_b32_e32 v1, v99, v100, vcc_lo
	v_lshlrev_b32_e32 v0, 2, v0
	v_cmp_lt_i32_e32 vcc_lo, v101, v105
	v_lshlrev_b32_e32 v1, 2, v1
	ds_bpermute_b32 v0, v0, v97
	v_cndmask_b32_e32 v2, v99, v101, vcc_lo
	v_cmp_lt_i32_e32 vcc_lo, v103, v105
	s_wait_dscnt 0x0
	v_add_f32_e32 v0, v97, v0
	ds_bpermute_b32 v1, v1, v0
	s_wait_dscnt 0x0
	v_dual_lshlrev_b32 v2, 2, v2 :: v_dual_add_f32 v0, v0, v1
	ds_bpermute_b32 v1, v2, v0
	v_cndmask_b32_e32 v2, v99, v103, vcc_lo
	v_cmp_lt_i32_e32 vcc_lo, v104, v105
	s_wait_dscnt 0x0
	s_delay_alu instid0(VALU_DEP_2) | instskip(SKIP_4) | instid1(VALU_DEP_1)
	v_dual_add_f32 v0, v0, v1 :: v_dual_lshlrev_b32 v2, 2, v2
	ds_bpermute_b32 v1, v2, v0
	s_wait_dscnt 0x0
	v_dual_add_f32 v0, v0, v1 :: v_dual_cndmask_b32 v2, v99, v104, vcc_lo
	s_and_b32 vcc_lo, exec_lo, s2
	v_lshlrev_b32_e32 v2, 2, v2
	ds_bpermute_b32 v1, v2, v0
	s_wait_dscnt 0x0
	v_add_f32_e32 v99, v0, v1
	s_cbranch_vccnz .LBB73_35
; %bb.33:
	v_mov_b32_e32 v0, s33
	global_load_b32 v1, v0, s[12:13] scale_offset
	s_wait_loadcnt 0x0
	v_dual_max_num_f32 v0, v98, v98 :: v_dual_max_num_f32 v2, v1, v1
	s_delay_alu instid0(VALU_DEP_1) | instskip(NEXT) | instid1(VALU_DEP_1)
	v_max_num_f32_e32 v0, v0, v2
	v_sub_f32_e32 v2, v98, v0
	s_delay_alu instid0(VALU_DEP_1) | instskip(SKIP_2) | instid1(VALU_DEP_3)
	v_mul_f32_e32 v3, 0x3fb8aa3b, v2
	v_sub_f32_e32 v1, v1, v0
	v_cmp_ngt_f32_e32 vcc_lo, 0xc2ce8ed0, v2
	v_fma_f32 v4, 0x3fb8aa3b, v2, -v3
	v_rndne_f32_e32 v5, v3
	s_delay_alu instid0(VALU_DEP_1) | instskip(SKIP_2) | instid1(VALU_DEP_3)
	v_dual_fmac_f32 v4, 0x32a5705f, v2 :: v_dual_sub_f32 v3, v3, v5
	v_mul_f32_e32 v6, 0x3fb8aa3b, v1
	v_cvt_i32_f32_e32 v5, v5
	v_add_f32_e32 v3, v3, v4
	s_delay_alu instid0(VALU_DEP_3) | instskip(SKIP_1) | instid1(VALU_DEP_3)
	v_fma_f32 v4, 0x3fb8aa3b, v1, -v6
	v_rndne_f32_e32 v7, v6
	v_exp_f32_e32 v3, v3
	v_nop
	s_delay_alu instid0(TRANS32_DEP_1) | instskip(NEXT) | instid1(VALU_DEP_3)
	v_ldexp_f32 v3, v3, v5
	v_cvt_i32_f32_e32 v5, v7
	s_delay_alu instid0(VALU_DEP_2) | instskip(SKIP_1) | instid1(VALU_DEP_2)
	v_cndmask_b32_e32 v3, 0, v3, vcc_lo
	v_cmp_nlt_f32_e32 vcc_lo, 0x42b17218, v2
	v_cndmask_b32_e32 v2, 0x7f800000, v3, vcc_lo
	v_sub_f32_e32 v6, v6, v7
	v_cmp_ngt_f32_e32 vcc_lo, 0xc2ce8ed0, v1
	v_fmac_f32_e32 v4, 0x32a5705f, v1
	s_delay_alu instid0(VALU_DEP_1) | instskip(NEXT) | instid1(VALU_DEP_1)
	v_add_f32_e32 v4, v6, v4
	v_exp_f32_e32 v4, v4
	v_nop
	s_delay_alu instid0(TRANS32_DEP_1) | instskip(SKIP_1) | instid1(VALU_DEP_2)
	v_ldexp_f32 v3, v4, v5
	v_cvt_f16_f32_e32 v4, v2
	v_cndmask_b32_e32 v3, 0, v3, vcc_lo
	v_cmp_nlt_f32_e32 vcc_lo, 0x42b17218, v1
	s_delay_alu instid0(VALU_DEP_3) | instskip(NEXT) | instid1(VALU_DEP_3)
	v_and_b32_e32 v4, 0xffff, v4
	v_cndmask_b32_e32 v1, 0x7f800000, v3, vcc_lo
	s_delay_alu instid0(VALU_DEP_2) | instskip(NEXT) | instid1(VALU_DEP_2)
	v_mul_u32_u24_e32 v3, 0x10001, v4
	v_fmac_f32_e32 v1, v99, v2
	s_delay_alu instid0(VALU_DEP_2)
	v_pk_mul_f16 v56, v56, v3
	v_pk_mul_f16 v120, v120, v3
	;; [unrolled: 1-line block ×4, first 2 shown]
	v_mov_b64_e32 v[98:99], v[0:1]
	s_mov_b32 s2, exec_lo
	v_cmpx_gt_i32_e64 s22, v114
	s_cbranch_execnz .LBB73_36
.LBB73_34:
	s_sendmsg sendmsg(MSG_DEALLOC_VGPRS)
	s_endpgm
.LBB73_35:
	s_delay_alu instid0(VALU_DEP_1)
	v_mov_b32_e32 v1, v99
	s_mov_b32 s2, exec_lo
	v_cmpx_gt_i32_e64 s22, v114
	s_cbranch_execz .LBB73_34
.LBB73_36:
	s_delay_alu instid0(VALU_DEP_2) | instskip(SKIP_3) | instid1(VALU_DEP_3)
	v_div_scale_f32 v2, null, v1, v1, 1.0
	v_mad_u32 v0, s28, s22, v114
	s_load_b32 s1, s[0:1], 0xd4
	v_div_scale_f32 v7, vcc_lo, 1.0, v1, 1.0
	v_rcp_f32_e32 v5, v2
	v_lshrrev_b32_e32 v16, 16, v33
	v_cvt_f32_f16_e32 v6, v120
	v_cvt_f32_f16_e32 v8, v33
	;; [unrolled: 1-line block ×3, first 2 shown]
	s_wait_xcnt 0x0
	v_cmp_eq_u32_e64 s0, 0, v115
	v_lshrrev_b32_e32 v11, 16, v56
	v_fma_f32 v3, -v2, v5, 1.0
	v_mad_u32 v0, v0, s23, s33
	v_lshrrev_b32_e32 v15, 16, v120
	s_delay_alu instid0(VALU_DEP_3) | instskip(NEXT) | instid1(VALU_DEP_1)
	v_dual_lshrrev_b32 v17, 16, v32 :: v_dual_fmac_f32 v5, v3, v5
	v_dual_mov_b32 v3, 0 :: v_dual_mul_f32 v9, v7, v5
	s_wait_kmcnt 0x0
	s_cmp_lg_u32 s1, 1
	s_delay_alu instid0(VALU_DEP_4) | instskip(SKIP_3) | instid1(VALU_DEP_1)
	v_mad_u32 v0, s1, v0, s29
	s_cselect_b32 s1, -1, 0
	v_fma_f32 v4, -v2, v9, v7
	s_and_b32 s0, s0, s1
	v_fmac_f32_e32 v9, v4, v5
	v_cvt_f32_f16_e32 v4, v56
	s_delay_alu instid0(VALU_DEP_2) | instskip(NEXT) | instid1(VALU_DEP_1)
	v_fma_f32 v2, -v2, v9, v7
	v_div_fmas_f32 v7, v2, v5, v9
	v_lshl_add_u32 v2, v0, 8, v116
	v_cvt_f32_f16_e32 v5, v11
	v_cvt_f32_f16_e32 v9, v16
	;; [unrolled: 1-line block ×3, first 2 shown]
	v_div_fixup_f32 v1, v7, v1, 1.0
	v_lshl_add_u64 v[12:13], v[2:3], 2, s[16:17]
	v_add_nc_u32_e32 v2, 0x80, v2
	v_cvt_f32_f16_e32 v7, v15
	s_delay_alu instid0(VALU_DEP_4) | instskip(NEXT) | instid1(VALU_DEP_3)
	v_cndmask_b32_e64 v14, v1, 1.0, s1
	v_lshl_add_u64 v[16:17], v[2:3], 2, s[16:17]
	s_delay_alu instid0(VALU_DEP_2) | instskip(NEXT) | instid1(VALU_DEP_4)
	v_pk_mul_f32 v[2:3], v[14:15], v[4:5] op_sel_hi:[0,1]
	v_pk_mul_f32 v[4:5], v[14:15], v[6:7] op_sel_hi:[0,1]
	v_pk_mul_f32 v[6:7], v[14:15], v[8:9] op_sel_hi:[0,1]
	v_pk_mul_f32 v[8:9], v[14:15], v[10:11] op_sel_hi:[0,1]
	s_clause 0x1
	global_store_b128 v[12:13], v[2:5], off
	global_store_b128 v[16:17], v[6:9], off
	s_wait_xcnt 0x0
	s_and_b32 exec_lo, exec_lo, s0
	s_cbranch_execz .LBB73_34
; %bb.37:
	global_store_b64 v0, v[98:99], s[18:19] scale_offset
	s_sendmsg sendmsg(MSG_DEALLOC_VGPRS)
	s_endpgm
	.section	.rodata,"a",@progbits
	.p2align	6, 0x0
	.amdhsa_kernel _ZL15flash_attn_tileILi256ELi256ELi4ELi1ELb1EEvPKcS1_S1_S1_S1_PKiPfP15HIP_vector_typeIfLj2EEffffjfiS5_IjLj3EEiiiiiiiiiiiliiliiiiil
		.amdhsa_group_segment_fixed_size 19200
		.amdhsa_private_segment_fixed_size 32
		.amdhsa_kernarg_size 464
		.amdhsa_user_sgpr_count 2
		.amdhsa_user_sgpr_dispatch_ptr 0
		.amdhsa_user_sgpr_queue_ptr 0
		.amdhsa_user_sgpr_kernarg_segment_ptr 1
		.amdhsa_user_sgpr_dispatch_id 0
		.amdhsa_user_sgpr_kernarg_preload_length 0
		.amdhsa_user_sgpr_kernarg_preload_offset 0
		.amdhsa_user_sgpr_private_segment_size 0
		.amdhsa_wavefront_size32 1
		.amdhsa_uses_dynamic_stack 0
		.amdhsa_enable_private_segment 1
		.amdhsa_system_sgpr_workgroup_id_x 1
		.amdhsa_system_sgpr_workgroup_id_y 1
		.amdhsa_system_sgpr_workgroup_id_z 1
		.amdhsa_system_sgpr_workgroup_info 0
		.amdhsa_system_vgpr_workitem_id 1
		.amdhsa_next_free_vgpr 159
		.amdhsa_next_free_sgpr 47
		.amdhsa_named_barrier_count 0
		.amdhsa_reserve_vcc 1
		.amdhsa_float_round_mode_32 0
		.amdhsa_float_round_mode_16_64 0
		.amdhsa_float_denorm_mode_32 3
		.amdhsa_float_denorm_mode_16_64 3
		.amdhsa_fp16_overflow 0
		.amdhsa_memory_ordered 1
		.amdhsa_forward_progress 1
		.amdhsa_inst_pref_size 109
		.amdhsa_round_robin_scheduling 0
		.amdhsa_exception_fp_ieee_invalid_op 0
		.amdhsa_exception_fp_denorm_src 0
		.amdhsa_exception_fp_ieee_div_zero 0
		.amdhsa_exception_fp_ieee_overflow 0
		.amdhsa_exception_fp_ieee_underflow 0
		.amdhsa_exception_fp_ieee_inexact 0
		.amdhsa_exception_int_div_zero 0
	.end_amdhsa_kernel
	.section	.text._ZL15flash_attn_tileILi256ELi256ELi4ELi1ELb1EEvPKcS1_S1_S1_S1_PKiPfP15HIP_vector_typeIfLj2EEffffjfiS5_IjLj3EEiiiiiiiiiiiliiliiiiil,"axG",@progbits,_ZL15flash_attn_tileILi256ELi256ELi4ELi1ELb1EEvPKcS1_S1_S1_S1_PKiPfP15HIP_vector_typeIfLj2EEffffjfiS5_IjLj3EEiiiiiiiiiiiliiliiiiil,comdat
.Lfunc_end73:
	.size	_ZL15flash_attn_tileILi256ELi256ELi4ELi1ELb1EEvPKcS1_S1_S1_S1_PKiPfP15HIP_vector_typeIfLj2EEffffjfiS5_IjLj3EEiiiiiiiiiiiliiliiiiil, .Lfunc_end73-_ZL15flash_attn_tileILi256ELi256ELi4ELi1ELb1EEvPKcS1_S1_S1_S1_PKiPfP15HIP_vector_typeIfLj2EEffffjfiS5_IjLj3EEiiiiiiiiiiiliiliiiiil
                                        ; -- End function
	.set _ZL15flash_attn_tileILi256ELi256ELi4ELi1ELb1EEvPKcS1_S1_S1_S1_PKiPfP15HIP_vector_typeIfLj2EEffffjfiS5_IjLj3EEiiiiiiiiiiiliiliiiiil.num_vgpr, 159
	.set _ZL15flash_attn_tileILi256ELi256ELi4ELi1ELb1EEvPKcS1_S1_S1_S1_PKiPfP15HIP_vector_typeIfLj2EEffffjfiS5_IjLj3EEiiiiiiiiiiiliiliiiiil.num_agpr, 0
	.set _ZL15flash_attn_tileILi256ELi256ELi4ELi1ELb1EEvPKcS1_S1_S1_S1_PKiPfP15HIP_vector_typeIfLj2EEffffjfiS5_IjLj3EEiiiiiiiiiiiliiliiiiil.numbered_sgpr, 47
	.set _ZL15flash_attn_tileILi256ELi256ELi4ELi1ELb1EEvPKcS1_S1_S1_S1_PKiPfP15HIP_vector_typeIfLj2EEffffjfiS5_IjLj3EEiiiiiiiiiiiliiliiiiil.num_named_barrier, 0
	.set _ZL15flash_attn_tileILi256ELi256ELi4ELi1ELb1EEvPKcS1_S1_S1_S1_PKiPfP15HIP_vector_typeIfLj2EEffffjfiS5_IjLj3EEiiiiiiiiiiiliiliiiiil.private_seg_size, 32
	.set _ZL15flash_attn_tileILi256ELi256ELi4ELi1ELb1EEvPKcS1_S1_S1_S1_PKiPfP15HIP_vector_typeIfLj2EEffffjfiS5_IjLj3EEiiiiiiiiiiiliiliiiiil.uses_vcc, 1
	.set _ZL15flash_attn_tileILi256ELi256ELi4ELi1ELb1EEvPKcS1_S1_S1_S1_PKiPfP15HIP_vector_typeIfLj2EEffffjfiS5_IjLj3EEiiiiiiiiiiiliiliiiiil.uses_flat_scratch, 1
	.set _ZL15flash_attn_tileILi256ELi256ELi4ELi1ELb1EEvPKcS1_S1_S1_S1_PKiPfP15HIP_vector_typeIfLj2EEffffjfiS5_IjLj3EEiiiiiiiiiiiliiliiiiil.has_dyn_sized_stack, 0
	.set _ZL15flash_attn_tileILi256ELi256ELi4ELi1ELb1EEvPKcS1_S1_S1_S1_PKiPfP15HIP_vector_typeIfLj2EEffffjfiS5_IjLj3EEiiiiiiiiiiiliiliiiiil.has_recursion, 0
	.set _ZL15flash_attn_tileILi256ELi256ELi4ELi1ELb1EEvPKcS1_S1_S1_S1_PKiPfP15HIP_vector_typeIfLj2EEffffjfiS5_IjLj3EEiiiiiiiiiiiliiliiiiil.has_indirect_call, 0
	.section	.AMDGPU.csdata,"",@progbits
; Kernel info:
; codeLenInByte = 13860
; TotalNumSgprs: 49
; NumVgprs: 159
; ScratchSize: 32
; MemoryBound: 0
; FloatMode: 240
; IeeeMode: 1
; LDSByteSize: 19200 bytes/workgroup (compile time only)
; SGPRBlocks: 0
; VGPRBlocks: 9
; NumSGPRsForWavesPerEU: 49
; NumVGPRsForWavesPerEU: 159
; NamedBarCnt: 0
; Occupancy: 6
; WaveLimiterHint : 1
; COMPUTE_PGM_RSRC2:SCRATCH_EN: 1
; COMPUTE_PGM_RSRC2:USER_SGPR: 2
; COMPUTE_PGM_RSRC2:TRAP_HANDLER: 0
; COMPUTE_PGM_RSRC2:TGID_X_EN: 1
; COMPUTE_PGM_RSRC2:TGID_Y_EN: 1
; COMPUTE_PGM_RSRC2:TGID_Z_EN: 1
; COMPUTE_PGM_RSRC2:TIDIG_COMP_CNT: 1
	.section	.text._ZL15flash_attn_tileILi256ELi256ELi2ELi1ELb1EEvPKcS1_S1_S1_S1_PKiPfP15HIP_vector_typeIfLj2EEffffjfiS5_IjLj3EEiiiiiiiiiiiliiliiiiil,"axG",@progbits,_ZL15flash_attn_tileILi256ELi256ELi2ELi1ELb1EEvPKcS1_S1_S1_S1_PKiPfP15HIP_vector_typeIfLj2EEffffjfiS5_IjLj3EEiiiiiiiiiiiliiliiiiil,comdat
	.globl	_ZL15flash_attn_tileILi256ELi256ELi2ELi1ELb1EEvPKcS1_S1_S1_S1_PKiPfP15HIP_vector_typeIfLj2EEffffjfiS5_IjLj3EEiiiiiiiiiiiliiliiiiil ; -- Begin function _ZL15flash_attn_tileILi256ELi256ELi2ELi1ELb1EEvPKcS1_S1_S1_S1_PKiPfP15HIP_vector_typeIfLj2EEffffjfiS5_IjLj3EEiiiiiiiiiiiliiliiiiil
	.p2align	8
	.type	_ZL15flash_attn_tileILi256ELi256ELi2ELi1ELb1EEvPKcS1_S1_S1_S1_PKiPfP15HIP_vector_typeIfLj2EEffffjfiS5_IjLj3EEiiiiiiiiiiiliiliiiiil,@function
_ZL15flash_attn_tileILi256ELi256ELi2ELi1ELb1EEvPKcS1_S1_S1_S1_PKiPfP15HIP_vector_typeIfLj2EEffffjfiS5_IjLj3EEiiiiiiiiiiiliiliiiiil: ; @_ZL15flash_attn_tileILi256ELi256ELi2ELi1ELb1EEvPKcS1_S1_S1_S1_PKiPfP15HIP_vector_typeIfLj2EEffffjfiS5_IjLj3EEiiiiiiiiiiiliiliiiiil
; %bb.0:
	s_clause 0x1
	s_load_b128 s[20:23], s[0:1], 0x5c
	s_load_b64 s[2:3], s[0:1], 0x80
	s_bfe_u32 s6, ttmp6, 0x40014
	s_lshr_b32 s5, ttmp7, 16
	s_add_co_i32 s6, s6, 1
	s_bfe_u32 s7, ttmp6, 0x40008
	s_mul_i32 s6, s5, s6
	s_getreg_b32 s42, hwreg(HW_REG_IB_STS2, 6, 4)
	s_add_co_i32 s7, s7, s6
	s_load_b64 s[38:39], s[0:1], 0xb8
	s_mov_b32 s37, 0
	s_mov_b64 s[30:31], 0
	s_wait_kmcnt 0x0
	s_cvt_f32_u32 s4, s23
	s_sub_co_i32 s8, 0, s23
	s_delay_alu instid0(SALU_CYCLE_2) | instskip(SKIP_1) | instid1(TRANS32_DEP_1)
	v_rcp_iflag_f32_e32 v1, s4
	v_nop
	v_readfirstlane_b32 s4, v1
	s_mul_f32 s4, s4, 0x4f7ffffe
	s_delay_alu instid0(SALU_CYCLE_3) | instskip(NEXT) | instid1(SALU_CYCLE_3)
	s_cvt_u32_f32 s4, s4
	s_mul_i32 s8, s8, s4
	s_delay_alu instid0(SALU_CYCLE_1) | instskip(NEXT) | instid1(SALU_CYCLE_1)
	s_mul_hi_u32 s8, s4, s8
	s_add_co_i32 s4, s4, s8
	s_cmp_eq_u32 s42, 0
	s_cselect_b32 s5, s5, s7
	s_delay_alu instid0(SALU_CYCLE_1) | instskip(NEXT) | instid1(SALU_CYCLE_1)
	s_mul_hi_u32 s4, s5, s4
	s_mul_i32 s6, s4, s23
	s_add_co_i32 s7, s4, 1
	s_sub_co_i32 s6, s5, s6
	s_delay_alu instid0(SALU_CYCLE_1)
	s_sub_co_i32 s8, s6, s23
	s_cmp_ge_u32 s6, s23
	s_cselect_b32 s4, s7, s4
	s_cselect_b32 s6, s8, s6
	s_add_co_i32 s7, s4, 1
	s_cmp_ge_u32 s6, s23
	s_cselect_b32 s28, s7, s4
	s_abs_i32 s4, s3
	s_mul_i32 s8, s28, s23
	s_cvt_f32_u32 s6, s4
	s_sub_co_i32 s7, 0, s4
	s_abs_i32 s9, s23
	s_sub_co_i32 s33, s5, s8
	v_rcp_iflag_f32_e32 v1, s6
	s_xor_b32 s3, s23, s3
	s_delay_alu instid0(SALU_CYCLE_1) | instskip(SKIP_1) | instid1(TRANS32_DEP_1)
	s_ashr_i32 s3, s3, 31
	v_nop
	v_readfirstlane_b32 s6, v1
	s_mul_f32 s6, s6, 0x4f7ffffe
	s_delay_alu instid0(SALU_CYCLE_3) | instskip(NEXT) | instid1(SALU_CYCLE_3)
	s_cvt_u32_f32 s6, s6
	s_mul_i32 s7, s7, s6
	s_delay_alu instid0(SALU_CYCLE_1) | instskip(NEXT) | instid1(SALU_CYCLE_1)
	s_mul_hi_u32 s7, s6, s7
	s_add_co_i32 s6, s6, s7
	s_delay_alu instid0(SALU_CYCLE_1) | instskip(NEXT) | instid1(SALU_CYCLE_1)
	s_mul_hi_u32 s5, s9, s6
	s_mul_i32 s6, s5, s4
	s_add_co_i32 s7, s5, 1
	s_sub_co_i32 s6, s9, s6
	s_delay_alu instid0(SALU_CYCLE_1)
	s_sub_co_i32 s8, s6, s4
	s_cmp_ge_u32 s6, s4
	s_cselect_b32 s5, s7, s5
	s_cselect_b32 s6, s8, s6
	s_add_co_i32 s7, s5, 1
	s_cmp_ge_u32 s6, s4
	s_cselect_b32 s4, s7, s5
	s_abs_i32 s36, s33
	s_xor_b32 s4, s4, s3
	s_delay_alu instid0(SALU_CYCLE_1) | instskip(NEXT) | instid1(SALU_CYCLE_1)
	s_sub_co_i32 s29, s4, s3
	s_abs_i32 s3, s29
	s_delay_alu instid0(SALU_CYCLE_1) | instskip(SKIP_1) | instid1(SALU_CYCLE_2)
	s_cvt_f32_u32 s4, s3
	s_sub_co_i32 s25, 0, s3
	v_rcp_iflag_f32_e32 v1, s4
	s_load_b512 s[4:19], s[0:1], 0x0
	v_nop
	s_delay_alu instid0(TRANS32_DEP_1) | instskip(SKIP_1) | instid1(SALU_CYCLE_3)
	v_readfirstlane_b32 s24, v1
	s_mul_f32 s24, s24, 0x4f7ffffe
	s_cvt_u32_f32 s24, s24
	s_delay_alu instid0(SALU_CYCLE_3) | instskip(NEXT) | instid1(SALU_CYCLE_1)
	s_mul_i32 s25, s25, s24
	s_mul_hi_u32 s25, s24, s25
	s_delay_alu instid0(SALU_CYCLE_1)
	s_add_co_i32 s40, s24, s25
	s_wait_kmcnt 0x0
	s_cmp_eq_u64 s[10:11], 0
	s_cbranch_scc1 .LBB74_2
; %bb.1:
	s_abs_i32 s26, s38
	s_abs_i32 s27, s28
	s_cvt_f32_u32 s24, s26
	s_sub_co_i32 s25, 0, s26
	s_delay_alu instid0(SALU_CYCLE_2) | instskip(SKIP_1) | instid1(TRANS32_DEP_1)
	v_rcp_iflag_f32_e32 v1, s24
	v_nop
	v_readfirstlane_b32 s24, v1
	s_mul_f32 s24, s24, 0x4f7ffffe
	s_delay_alu instid0(SALU_CYCLE_3) | instskip(NEXT) | instid1(SALU_CYCLE_3)
	s_cvt_u32_f32 s24, s24
	s_mul_i32 s25, s25, s24
	s_delay_alu instid0(SALU_CYCLE_1) | instskip(NEXT) | instid1(SALU_CYCLE_1)
	s_mul_hi_u32 s25, s24, s25
	s_add_co_i32 s24, s24, s25
	s_delay_alu instid0(SALU_CYCLE_1) | instskip(SKIP_2) | instid1(SALU_CYCLE_1)
	s_mul_hi_u32 s30, s27, s24
	s_load_b64 s[24:25], s[0:1], 0xc8
	s_mul_i32 s30, s30, s26
	s_sub_co_i32 s27, s27, s30
	s_ashr_i32 s30, s28, 31
	s_sub_co_i32 s31, s27, s26
	s_cmp_ge_u32 s27, s26
	s_cselect_b32 s27, s31, s27
	s_delay_alu instid0(SALU_CYCLE_1) | instskip(SKIP_2) | instid1(SALU_CYCLE_1)
	s_sub_co_i32 s31, s27, s26
	s_cmp_ge_u32 s27, s26
	s_cselect_b32 s26, s31, s27
	s_xor_b32 s26, s26, s30
	s_delay_alu instid0(SALU_CYCLE_1) | instskip(NEXT) | instid1(SALU_CYCLE_1)
	s_sub_co_i32 s26, s26, s30
	s_ashr_i32 s27, s26, 31
	s_wait_kmcnt 0x0
	s_mul_u64 s[24:25], s[24:25], s[26:27]
	s_delay_alu instid0(SALU_CYCLE_1)
	s_add_nc_u64 s[30:31], s[10:11], s[24:25]
.LBB74_2:
	s_clause 0x1
	s_load_b128 s[24:27], s[0:1], 0x40
	s_load_b64 s[34:35], s[0:1], 0x50
	v_mov_b32_e32 v49, 1.0
	s_mov_b32 s41, s37
	s_wait_kmcnt 0x0
	s_cmp_le_f32 s25, 0
	s_cbranch_scc1 .LBB74_4
; %bb.3:
	v_sub_co_u32 v1, s10, s33, s34
	s_and_b32 s25, s10, exec_lo
	s_cselect_b32 s25, s26, s27
	s_add_co_i32 s26, s33, 1
	v_readfirstlane_b32 s11, v1
	s_lshl_b32 s11, s11, 1
	s_delay_alu instid0(SALU_CYCLE_1) | instskip(SKIP_4) | instid1(SALU_CYCLE_3)
	s_or_b32 s11, s11, 1
	s_and_b32 s10, s10, exec_lo
	s_cselect_b32 s10, s26, s11
	s_cmp_neq_f32 s25, 1.0
	s_cvt_f32_i32 s10, s10
	s_cselect_b32 s11, s10, 1.0
	s_delay_alu instid0(SALU_CYCLE_1) | instskip(SKIP_1) | instid1(SALU_CYCLE_1)
	s_cmp_neq_f32 s11, 0
	s_cselect_b32 s10, s25, 1.0
	v_cvt_f64_f32_e64 v[2:3], |s10|
	s_delay_alu instid0(VALU_DEP_1) | instskip(SKIP_1) | instid1(VALU_DEP_1)
	v_frexp_exp_i32_f64_e32 v1, v[2:3]
	v_frexp_mant_f32_e64 v2, |s10|
	v_readfirstlane_b32 s25, v2
	s_cmp_lt_f32 s25, 0x3f2aaaab
	s_cselect_b32 vcc_lo, -1, 0
	s_delay_alu instid0(SALU_CYCLE_1) | instskip(SKIP_1) | instid1(SALU_CYCLE_1)
	s_and_b32 s26, vcc_lo, exec_lo
	s_cselect_b32 s26, 2.0, 1.0
	s_mul_f32 s25, s25, s26
	s_delay_alu instid0(SALU_CYCLE_3) | instskip(SKIP_1) | instid1(SALU_CYCLE_2)
	s_add_f32 s26, s25, 1.0
	s_add_f32 s34, s25, -1.0
	v_s_rcp_f32 s27, s26
	s_add_f32 s44, s26, -1.0
	v_subrev_co_ci_u32_e64 v1, null, 0, v1, vcc_lo
	s_delay_alu instid0(SALU_CYCLE_2) | instskip(NEXT) | instid1(TRANS32_DEP_1)
	s_sub_f32 s25, s25, s44
	s_mul_f32 s38, s34, s27
	v_cvt_f32_i32_e32 v1, v1
	s_delay_alu instid0(SALU_CYCLE_2) | instskip(NEXT) | instid1(SALU_CYCLE_3)
	s_mul_f32 s43, s26, s38
	v_dual_mov_b32 v3, s34 :: v_dual_mov_b32 v4, s43
	s_xor_b32 s45, s43, 0x80000000
	s_delay_alu instid0(SALU_CYCLE_1) | instskip(NEXT) | instid1(SALU_CYCLE_3)
	s_fmac_f32 s45, s38, s26
	s_fmac_f32 s45, s38, s25
	s_delay_alu instid0(SALU_CYCLE_3) | instskip(NEXT) | instid1(SALU_CYCLE_3)
	s_add_f32 s25, s43, s45
	v_dual_mov_b32 v6, s45 :: v_dual_mov_b32 v7, s25
	s_sub_f32 s26, s34, s25
	s_delay_alu instid0(SALU_CYCLE_3) | instskip(NEXT) | instid1(VALU_DEP_1)
	v_dual_mov_b32 v2, s25 :: v_dual_mov_b32 v5, s26
	v_pk_add_f32 v[2:3], v[2:3], v[4:5] neg_lo:[0,1] neg_hi:[0,1]
	s_delay_alu instid0(VALU_DEP_1) | instskip(NEXT) | instid1(VALU_DEP_1)
	v_pk_add_f32 v[2:3], v[2:3], v[6:7] neg_lo:[0,1] neg_hi:[0,1]
	v_readfirstlane_b32 s25, v3
	s_delay_alu instid0(VALU_DEP_2) | instskip(SKIP_1) | instid1(SALU_CYCLE_3)
	v_readfirstlane_b32 s34, v2
	s_add_f32 s25, s34, s25
	s_add_f32 s25, s26, s25
	s_delay_alu instid0(SALU_CYCLE_3) | instskip(NEXT) | instid1(SALU_CYCLE_3)
	s_mul_f32 s25, s27, s25
	s_add_f32 s26, s38, s25
	s_delay_alu instid0(SALU_CYCLE_3) | instskip(SKIP_1) | instid1(SALU_CYCLE_2)
	s_sub_f32 s27, s26, s38
	s_mul_f32 s34, s26, s26
	s_sub_f32 s25, s25, s27
	s_delay_alu instid0(SALU_CYCLE_2) | instskip(NEXT) | instid1(SALU_CYCLE_1)
	s_xor_b32 s27, s34, 0x80000000
	s_fmac_f32 s27, s26, s26
	s_delay_alu instid0(SALU_CYCLE_1) | instskip(NEXT) | instid1(SALU_CYCLE_3)
	s_add_f32 s38, s25, s25
	s_fmac_f32 s27, s26, s38
	s_mov_b32 s38, 0x3e76c4e1
	s_delay_alu instid0(SALU_CYCLE_2) | instskip(NEXT) | instid1(SALU_CYCLE_3)
	s_add_f32 s44, s34, s27
	s_fmaak_f32 s38, s44, s38, 0x3e91f4c4
	s_sub_f32 s34, s44, s34
	s_delay_alu instid0(SALU_CYCLE_2) | instskip(NEXT) | instid1(SALU_CYCLE_2)
	s_fmaak_f32 s38, s44, s38, 0x3ecccdef
	s_sub_f32 s34, s27, s34
	s_delay_alu instid0(SALU_CYCLE_2) | instskip(NEXT) | instid1(SALU_CYCLE_3)
	s_mul_f32 s43, s44, s38
	s_xor_b32 s45, s43, 0x80000000
	s_delay_alu instid0(SALU_CYCLE_1) | instskip(NEXT) | instid1(SALU_CYCLE_3)
	s_fmac_f32 s45, s44, s38
	s_fmac_f32 s45, s34, s38
	s_delay_alu instid0(SALU_CYCLE_3) | instskip(NEXT) | instid1(SALU_CYCLE_3)
	s_add_f32 s38, s43, s45
	s_sub_f32 s27, s38, s43
	s_add_f32 s43, s38, 0x3f2aaaaa
	s_delay_alu instid0(SALU_CYCLE_2) | instskip(NEXT) | instid1(SALU_CYCLE_2)
	s_sub_f32 s27, s45, s27
	s_add_f32 s45, s43, 0xbf2aaaaa
	s_delay_alu instid0(SALU_CYCLE_2) | instskip(NEXT) | instid1(SALU_CYCLE_2)
	s_add_f32 s27, s27, 0x31739010
	s_sub_f32 s45, s38, s45
	s_delay_alu instid0(SALU_CYCLE_2) | instskip(NEXT) | instid1(SALU_CYCLE_2)
	v_mov_b64_e32 v[2:3], s[26:27]
	v_mov_b64_e32 v[4:5], s[44:45]
	s_delay_alu instid0(VALU_DEP_1) | instskip(SKIP_2) | instid1(VALU_DEP_3)
	v_pk_mul_f32 v[6:7], v[2:3], v[4:5]
	v_pk_add_f32 v[2:3], v[2:3], v[4:5]
	v_mov_b32_e32 v9, s43
	v_xor_b32_e32 v8, 0x80000000, v6
	s_delay_alu instid0(VALU_DEP_3) | instskip(NEXT) | instid1(VALU_DEP_2)
	v_mov_b32_e32 v7, v3
	v_fmac_f32_e64 v8, s44, s26
	s_delay_alu instid0(VALU_DEP_1) | instskip(NEXT) | instid1(VALU_DEP_1)
	v_fmac_f32_e64 v8, s44, s25
	v_fmac_f32_e64 v8, s34, s26
	s_delay_alu instid0(VALU_DEP_1) | instskip(NEXT) | instid1(VALU_DEP_1)
	v_pk_add_f32 v[4:5], v[6:7], v[8:9]
	v_dual_mov_b32 v2, v5 :: v_dual_sub_f32 v7, s43, v5
	v_mul_f32_e32 v12, 0x3f317218, v1
	s_delay_alu instid0(VALU_DEP_2) | instskip(NEXT) | instid1(VALU_DEP_3)
	v_pk_mul_f32 v[10:11], v[4:5], v[2:3]
	v_add_f32_e32 v3, v3, v7
	s_delay_alu instid0(VALU_DEP_3) | instskip(NEXT) | instid1(VALU_DEP_3)
	v_xor_b32_e32 v7, 0x80000000, v12
	v_xor_b32_e32 v2, 0x80000000, v10
	s_delay_alu instid0(VALU_DEP_2) | instskip(NEXT) | instid1(VALU_DEP_2)
	v_dual_sub_f32 v6, v4, v6 :: v_dual_fmac_f32 v7, 0x3f317218, v1
	v_fmac_f32_e32 v2, v4, v5
	s_delay_alu instid0(VALU_DEP_2) | instskip(NEXT) | instid1(VALU_DEP_2)
	v_sub_f32_e32 v6, v8, v6
	v_fmac_f32_e32 v2, v4, v3
	s_delay_alu instid0(VALU_DEP_1) | instskip(SKIP_3) | instid1(VALU_DEP_2)
	v_fmac_f32_e32 v2, v6, v5
	v_fmamk_f32 v4, v1, 0xb102e308, v7
	v_ldexp_f32 v5, s26, 1
	v_ldexp_f32 v1, s25, 1
	v_dual_add_f32 v13, v10, v2 :: v_dual_mov_b32 v11, v5
	s_delay_alu instid0(VALU_DEP_1) | instskip(SKIP_1) | instid1(VALU_DEP_2)
	v_pk_add_f32 v[6:7], v[12:13], v[4:5]
	v_dual_mov_b32 v8, v13 :: v_dual_mov_b32 v3, v13
	v_dual_mov_b32 v9, v7 :: v_dual_mov_b32 v5, v6
	v_mov_b32_e32 v14, v7
	s_delay_alu instid0(VALU_DEP_2) | instskip(NEXT) | instid1(VALU_DEP_1)
	v_pk_add_f32 v[8:9], v[8:9], v[10:11] neg_lo:[0,1] neg_hi:[0,1]
	v_pk_add_f32 v[2:3], v[2:3], v[8:9] neg_lo:[0,1] neg_hi:[0,1]
	s_delay_alu instid0(VALU_DEP_1) | instskip(NEXT) | instid1(VALU_DEP_1)
	v_add_f32_e32 v1, v1, v2
	v_add_f32_e32 v13, v1, v3
	s_delay_alu instid0(VALU_DEP_1) | instskip(SKIP_1) | instid1(VALU_DEP_2)
	v_pk_add_f32 v[2:3], v[6:7], v[12:13]
	v_pk_add_f32 v[8:9], v[6:7], v[12:13] neg_lo:[0,1] neg_hi:[0,1]
	v_mov_b32_e32 v9, v3
	s_delay_alu instid0(VALU_DEP_1) | instskip(SKIP_2) | instid1(VALU_DEP_3)
	v_pk_add_f32 v[10:11], v[4:5], v[8:9]
	v_pk_add_f32 v[4:5], v[4:5], v[8:9] neg_lo:[0,1] neg_hi:[0,1]
	v_dual_mov_b32 v16, v3 :: v_dual_mov_b32 v5, v6
	v_dual_mov_b32 v12, v11 :: v_dual_mov_b32 v17, v11
	s_delay_alu instid0(VALU_DEP_3) | instskip(NEXT) | instid1(VALU_DEP_2)
	v_readfirstlane_b32 s25, v4
	v_pk_add_f32 v[8:9], v[12:13], v[6:7] neg_lo:[0,1] neg_hi:[0,1]
	s_delay_alu instid0(VALU_DEP_2) | instskip(NEXT) | instid1(VALU_DEP_2)
	v_dual_mov_b32 v4, v13 :: v_dual_mov_b32 v10, s25
	v_dual_mov_b32 v15, v8 :: v_dual_mov_b32 v1, v8
	s_delay_alu instid0(VALU_DEP_1) | instskip(NEXT) | instid1(VALU_DEP_2)
	v_pk_add_f32 v[6:7], v[16:17], v[14:15] neg_lo:[0,1] neg_hi:[0,1]
	v_pk_add_f32 v[2:3], v[2:3], v[0:1] neg_lo:[0,1] neg_hi:[0,1]
	v_mov_b32_e32 v2, s25
	s_delay_alu instid0(VALU_DEP_3) | instskip(NEXT) | instid1(VALU_DEP_1)
	v_pk_add_f32 v[4:5], v[4:5], v[6:7] neg_lo:[0,1] neg_hi:[0,1]
	v_pk_add_f32 v[2:3], v[2:3], v[4:5]
	s_delay_alu instid0(VALU_DEP_1) | instskip(NEXT) | instid1(VALU_DEP_2)
	v_readfirstlane_b32 s26, v2
	v_mov_b32_e32 v6, v3
	s_delay_alu instid0(VALU_DEP_1) | instskip(NEXT) | instid1(VALU_DEP_3)
	v_pk_add_f32 v[6:7], v[2:3], v[6:7]
	v_mov_b32_e32 v2, s26
	s_delay_alu instid0(VALU_DEP_2) | instskip(SKIP_1) | instid1(VALU_DEP_2)
	v_pk_add_f32 v[8:9], v[12:13], v[6:7]
	v_mov_b32_e32 v5, v6
	v_readfirstlane_b32 s27, v8
	s_delay_alu instid0(VALU_DEP_1) | instskip(NEXT) | instid1(VALU_DEP_1)
	v_mov_b32_e32 v3, s27
	v_pk_add_f32 v[2:3], v[2:3], v[10:11] neg_lo:[0,1] neg_hi:[0,1]
	s_delay_alu instid0(VALU_DEP_1) | instskip(NEXT) | instid1(VALU_DEP_2)
	v_readfirstlane_b32 s34, v2
	v_pk_add_f32 v[2:3], v[4:5], v[2:3] neg_lo:[0,1] neg_hi:[0,1]
	s_sub_f32 s26, s26, s34
	s_delay_alu instid0(VALU_DEP_1) | instskip(NEXT) | instid1(SALU_CYCLE_2)
	v_readfirstlane_b32 s34, v2
	s_sub_f32 s25, s25, s26
	v_readfirstlane_b32 s26, v3
	s_delay_alu instid0(SALU_CYCLE_2) | instskip(NEXT) | instid1(SALU_CYCLE_3)
	s_add_f32 s25, s34, s25
	s_add_f32 s25, s25, s26
	s_delay_alu instid0(SALU_CYCLE_3) | instskip(NEXT) | instid1(SALU_CYCLE_3)
	s_add_f32 s26, s27, s25
	s_mul_f32 s34, s11, s26
	s_sub_f32 s27, s26, s27
	s_delay_alu instid0(SALU_CYCLE_2) | instskip(NEXT) | instid1(SALU_CYCLE_2)
	s_xor_b32 s38, s34, 0x80000000
	s_sub_f32 s25, s25, s27
	s_fmac_f32 s38, s11, s26
	s_delay_alu instid0(SALU_CYCLE_3) | instskip(SKIP_1) | instid1(SALU_CYCLE_2)
	s_fmac_f32 s38, s11, s25
	v_cmp_class_f32_e64 s25, s34, 0x204
	s_add_f32 s26, s34, s38
	s_and_b32 s25, s25, exec_lo
	s_delay_alu instid0(SALU_CYCLE_2) | instskip(SKIP_1) | instid1(SALU_CYCLE_1)
	s_sub_f32 s25, s26, s34
	s_cselect_b32 s26, s34, s26
	s_and_b32 s27, s26, 0x7fffffff
	s_delay_alu instid0(SALU_CYCLE_1) | instskip(SKIP_1) | instid1(SALU_CYCLE_2)
	s_sub_f32 s25, s38, s25
	s_cmp_neq_f32 s27, 0x7f800000
	s_cselect_b32 s25, s25, 0
	s_cmp_eq_f32 s26, 0x42b17218
	s_cselect_b32 s27, 0x37000000, 0
	s_delay_alu instid0(SALU_CYCLE_1) | instskip(SKIP_1) | instid1(SALU_CYCLE_2)
	s_sub_f32 s26, s26, s27
	s_add_f32 s25, s27, s25
	s_mul_f32 s34, s26, 0x3fb8aa3b
	s_delay_alu instid0(SALU_CYCLE_3) | instskip(SKIP_3) | instid1(SALU_CYCLE_1)
	s_xor_b32 s38, s34, 0x80000000
	s_rndne_f32 s43, s34
	s_fmamk_f32 s38, s26, 0x3fb8aa3b, s38
	s_cmp_nlt_f32 s26, 0xc2ce8ed0
	s_sub_f32 s34, s34, s43
	s_delay_alu instid0(SALU_CYCLE_1)
	s_fmamk_f32 s38, s26, 0x32a5705f, s38
	s_cselect_b32 vcc_lo, -1, 0
	s_cmp_ngt_f32 s26, 0x42b17218
	s_trunc_f32 s26, s11
	s_add_f32 s34, s34, s38
	s_cvt_i32_f32 s38, s43
	s_delay_alu instid0(SALU_CYCLE_2)
	v_s_exp_f32 s34, s34
	v_nop
	s_delay_alu instid0(TRANS32_DEP_1) | instid1(SALU_CYCLE_1)
	v_ldexp_f32 v1, s34, s38
	s_mul_f32 s34, s11, 0.5
	s_delay_alu instid0(VALU_DEP_1) | instskip(SKIP_3) | instid1(VALU_DEP_1)
	v_cndmask_b32_e32 v1, 0, v1, vcc_lo
	s_cselect_b32 vcc_lo, -1, 0
	s_cmp_eq_f32 s26, s11
	s_trunc_f32 s38, s34
	v_cndmask_b32_e32 v1, 0x7f800000, v1, vcc_lo
	s_cselect_b32 s43, -1, 0
	s_delay_alu instid0(SALU_CYCLE_1) | instskip(NEXT) | instid1(VALU_DEP_1)
	s_cmp_neq_f32 s38, s34
	v_fma_f32 v2, s25, v1, v1
	v_cmp_class_f32_e64 vcc_lo, v1, 0x204
	s_cselect_b32 s27, -1, 0
	s_delay_alu instid0(SALU_CYCLE_1)
	s_and_b32 s25, s43, s27
	v_cndmask_b32_e32 v1, v2, v1, vcc_lo
	s_and_b32 s27, s25, exec_lo
	s_cselect_b32 s27, s10, 1.0
	s_cmp_eq_f32 s26, s11
	v_cmp_class_f32_e64 s26, s10, 0x204
	v_bfi_b32 v1, 0x7fffffff, v1, s27
	s_cselect_b32 vcc_lo, -1, 0
	s_cmp_lt_f32 s10, 0
	s_delay_alu instid0(VALU_DEP_1) | instskip(SKIP_2) | instid1(VALU_DEP_1)
	v_cndmask_b32_e32 v2, 0x7fc00000, v1, vcc_lo
	s_cselect_b32 vcc_lo, -1, 0
	s_cmp_eq_f32 s10, 0
	v_cndmask_b32_e32 v1, v1, v2, vcc_lo
	s_cselect_b32 s27, -1, 0
	s_delay_alu instid0(SALU_CYCLE_1) | instskip(SKIP_2) | instid1(SALU_CYCLE_1)
	s_or_b32 vcc_lo, s27, s26
	s_cmp_lt_f32 s11, 0
	s_cselect_b32 s11, -1, 0
	s_xor_b32 s11, s11, s27
	s_delay_alu instid0(SALU_CYCLE_1)
	s_and_b32 s11, s11, exec_lo
	s_cselect_b32 s11, 0, 0x7f800000
	s_and_b32 s25, s25, exec_lo
	s_cselect_b32 s25, s10, 0
	s_cmp_o_f32 s10, s10
	v_mov_b32_e32 v2, s25
	s_delay_alu instid0(VALU_DEP_1) | instskip(NEXT) | instid1(VALU_DEP_1)
	v_bfi_b32 v2, 0x7fffffff, s11, v2
	v_cndmask_b32_e32 v1, v1, v2, vcc_lo
	s_cselect_b32 vcc_lo, -1, 0
	s_delay_alu instid0(VALU_DEP_1)
	v_cndmask_b32_e32 v49, 0x7fc00000, v1, vcc_lo
.LBB74_4:
	s_bfe_u32 s11, ttmp6, 0x4000c
	s_and_b32 s25, ttmp6, 15
	s_add_co_i32 s11, s11, 1
	s_ashr_i32 s10, s33, 31
	s_mul_i32 s26, ttmp9, s11
	s_ashr_i32 s11, s29, 31
	s_add_co_i32 s25, s25, s26
	v_bfe_u32 v68, v0, 10, 10
	s_cmp_eq_u32 s42, 0
	s_load_b96 s[44:46], s[0:1], 0x70
	s_cselect_b32 s25, ttmp9, s25
	v_and_b32_e32 v87, 0x3ff, v0
	v_lshl_add_u32 v86, s25, 1, v68
	v_dual_lshlrev_b32 v47, 9, v68 :: v_dual_mov_b32 v75, 0
	s_delay_alu instid0(VALU_DEP_3) | instskip(NEXT) | instid1(VALU_DEP_3)
	v_lshlrev_b32_e32 v89, 3, v87
	v_mul_hi_u32 v1, s20, v86
	s_delay_alu instid0(VALU_DEP_3) | instskip(SKIP_1) | instid1(VALU_DEP_3)
	v_add_nc_u32_e32 v69, 0x1200, v47
	v_dual_lshlrev_b32 v0, 4, v87 :: v_dual_lshlrev_b32 v88, 2, v87
	v_add_nc_u32_e32 v1, v86, v1
	s_wait_kmcnt 0x0
	s_mul_i32 s20, s33, s45
	s_ashr_i32 s45, s44, 31
	s_delay_alu instid0(SALU_CYCLE_1) | instskip(SKIP_2) | instid1(VALU_DEP_1)
	s_lshr_b64 s[26:27], s[44:45], 2
	v_lshrrev_b32_e32 v1, s21, v1
	s_ashr_i32 s21, s20, 31
	v_mul_lo_u32 v1, v1, s22
	s_delay_alu instid0(VALU_DEP_1) | instskip(NEXT) | instid1(VALU_DEP_1)
	v_dual_mov_b32 v1, v75 :: v_dual_sub_nc_u32 v74, v86, v1
	v_mul_u64_e32 v[2:3], s[26:27], v[74:75]
	s_mul_i32 s26, s28, s46
	s_delay_alu instid0(SALU_CYCLE_1) | instskip(SKIP_2) | instid1(SALU_CYCLE_1)
	s_ashr_i32 s27, s26, 31
	s_cmp_eq_u64 s[14:15], 0
	s_add_nc_u64 s[4:5], s[4:5], s[26:27]
	s_add_nc_u64 s[4:5], s[4:5], s[20:21]
	s_delay_alu instid0(VALU_DEP_1) | instid1(SALU_CYCLE_1)
	v_lshl_add_u64 v[2:3], v[2:3], 2, s[4:5]
	s_mul_u64 s[4:5], s[36:37], s[40:41]
	s_delay_alu instid0(VALU_DEP_1)
	v_add_nc_u64_e32 v[8:9], v[2:3], v[0:1]
	s_clause 0x1
	global_load_b128 v[0:3], v[8:9], off
	global_load_b128 v[4:7], v[8:9], off offset:512
	s_wait_loadcnt 0x1
	v_fma_mixlo_f16 v0, s24, v0, 0
	v_fma_mixlo_f16 v1, s24, v1, 0
	s_wait_loadcnt 0x0
	v_fma_mixlo_f16 v4, s24, v4, 0
	v_fma_mixlo_f16 v5, s24, v5, 0
	;; [unrolled: 1-line block ×6, first 2 shown]
	v_lshlrev_b32_e32 v1, 16, v1
	v_and_b32_e32 v0, 0xffff, v0
	v_lshlrev_b32_e32 v5, 16, v5
	v_and_b32_e32 v4, 0xffff, v4
	;; [unrolled: 2-line block ×4, first 2 shown]
	v_or_b32_e32 v0, v1, v0
	v_or_b32_e32 v4, v5, v4
	v_add_nc_u32_e32 v5, v69, v89
	v_or3_b32 v1, v3, v2, 0
	v_or3_b32 v3, v7, v6, 0
	;; [unrolled: 1-line block ×4, first 2 shown]
	ds_store_2addr_b64 v5, v[0:1], v[2:3] offset1:32
	s_wait_dscnt 0x0
	s_barrier_signal -1
	s_barrier_wait -1
	s_cbranch_scc1 .LBB74_6
; %bb.5:
	s_load_b32 s2, s[0:1], 0xd0
	s_wait_kmcnt 0x0
	s_mul_i32 s2, s2, s28
	s_delay_alu instid0(SALU_CYCLE_1)
	s_add_co_i32 s2, s2, s25
	s_load_b32 s2, s[14:15], s2 offset:0x0 scale_offset
.LBB74_6:
	s_wait_xcnt 0x0
	s_clause 0x2
	s_load_b64 s[14:15], s[0:1], 0x8c
	s_load_b128 s[24:27], s[0:1], 0x98
	s_load_b64 s[20:21], s[0:1], 0xa8
	s_mul_i32 s4, s5, s3
	s_ashr_i32 s34, s39, 1
	s_sub_co_i32 s36, s36, s4
	s_ashr_i32 s29, s28, 31
	s_xor_b32 s11, s10, s11
	s_add_co_i32 s37, s5, 1
	s_sub_co_i32 s38, s36, s3
	v_dual_lshrrev_b32 v73, 3, v87 :: v_dual_bitop2_b32 v48, 28, v88 bitop3:0x40
	v_mul_u32_u24_e32 v72, 0x90, v87
	v_lshlrev_b32_e32 v76, 2, v88
	v_mbcnt_lo_u32_b32 v90, -1, 0
	s_wait_kmcnt 0x0
	s_ashr_i32 s4, s14, 2
	s_ashr_i32 s10, s26, 2
	s_cmp_ge_u32 s36, s3
	s_mul_u64 s[24:25], s[24:25], s[28:29]
	s_cselect_b32 s5, s37, s5
	s_cselect_b32 s14, s38, s36
	s_add_nc_u64 s[6:7], s[6:7], s[24:25]
	s_add_co_i32 s24, s5, 1
	s_cmp_ge_u32 s14, s3
	v_mul_lo_u32 v44, s10, v68
	s_cselect_b32 s3, s24, s5
	s_bfe_u32 s14, ttmp6, 0x40010
	s_xor_b32 s3, s3, s11
	s_and_b32 s5, ttmp7, 0xffff
	s_add_co_i32 s14, s14, 1
	s_sub_co_i32 s3, s3, s11
	s_bfe_u32 s24, ttmp6, 0x40004
	s_mul_i32 s11, s5, s14
	s_mul_i32 s14, s3, s15
	;; [unrolled: 1-line block ×3, first 2 shown]
	s_add_co_i32 s24, s24, s11
	s_ashr_i32 s15, s14, 31
	s_ashr_i32 s27, s26, 31
	s_cmp_eq_u32 s42, 0
	s_mul_u64 s[20:21], s[20:21], s[28:29]
	s_cselect_b32 s24, s5, s24
	s_add_nc_u64 s[6:7], s[6:7], s[14:15]
	s_sub_co_i32 s3, s2, 32
	s_lshl_b32 s14, s24, 5
	s_add_nc_u64 s[8:9], s[8:9], s[20:21]
	s_cmp_ge_i32 s14, s3
	s_add_nc_u64 s[8:9], s[8:9], s[26:27]
	s_cbranch_scc1 .LBB74_17
; %bb.7:
	v_lshl_add_u32 v0, v68, 2, v73
	s_ashr_i32 s5, s4, 31
	v_dual_mov_b32 v77, 0 :: v_dual_lshlrev_b32 v1, 2, v48
	s_lshl_b32 s11, s4, 3
	s_delay_alu instid0(VALU_DEP_2)
	v_mul_lo_u32 v50, s4, v0
	s_cmp_lg_u64 s[30:31], 0
	v_add_nc_u32_e32 v80, v47, v76
	s_cselect_b32 s25, -1, 0
	s_lshl_b32 s15, s10, 1
	v_ashrrev_i32_e32 v45, 31, v44
	v_mad_u32_u24 v81, 0x90, v0, v1
	v_add_nc_u32_e32 v0, s15, v44
	v_lshl_add_u32 v5, v68, 9, v76
	v_mad_u32 v78, v74, s34, v87
	v_lshl_add_u32 v79, v68, 6, 0x1600
	s_delay_alu instid0(VALU_DEP_4) | instskip(SKIP_2) | instid1(VALU_DEP_3)
	v_dual_add_nc_u32 v52, s11, v50 :: v_dual_add_nc_u32 v2, s15, v0
	v_ashrrev_i32_e32 v1, 31, v0
	v_dual_mov_b32 v40, v77 :: v_dual_add_nc_u32 v83, 0x400, v5
	v_dual_add_nc_u32 v54, s11, v52 :: v_dual_add_nc_u32 v4, s15, v2
	v_dual_mov_b32 v59, v77 :: v_dual_add_nc_u32 v84, 0x800, v5
	v_dual_mov_b32 v16, 0xfeffffff :: v_dual_ashrrev_i32 v3, 31, v2
	s_delay_alu instid0(VALU_DEP_3)
	v_ashrrev_i32_e32 v55, 31, v54
	v_add_nc_u32_e32 v93, 0xc00, v5
	v_dual_ashrrev_i32 v5, 31, v4 :: v_dual_add_nc_u32 v56, s11, v54
	v_ashrrev_i32_e32 v53, 31, v52
	v_lshlrev_b64_e32 v[60:61], 2, v[44:45]
	v_lshlrev_b64_e32 v[62:63], 2, v[0:1]
	;; [unrolled: 1-line block ×4, first 2 shown]
	v_lshl_add_u32 v82, v87, 1, v79
	v_dual_mov_b32 v70, v77 :: v_dual_add_nc_u32 v85, 0x480, v81
	v_dual_mov_b32 v94, v77 :: v_dual_add_nc_u32 v91, 0x900, v81
	;; [unrolled: 1-line block ×3, first 2 shown]
	v_dual_ashrrev_i32 v51, 31, v50 :: v_dual_ashrrev_i32 v57, 31, v56
	v_dual_mov_b32 v71, v77 :: v_dual_lshlrev_b32 v58, 2, v48
	v_mbcnt_lo_u32_b32 v45, -1, 0
	s_ashr_i32 s11, s10, 31
	s_add_nc_u64 s[20:21], s[0:1], 0xd0
	s_mov_b32 s26, 0xbbbac73d
.LBB74_8:                               ; =>This Inner Loop Header: Depth=1
	s_ashr_i32 s15, s14, 31
	s_delay_alu instid0(SALU_CYCLE_1) | instskip(NEXT) | instid1(SALU_CYCLE_1)
	s_mul_u64 s[36:37], s[14:15], s[4:5]
	s_lshl_b64 s[36:37], s[36:37], 2
	s_delay_alu instid0(SALU_CYCLE_1) | instskip(NEXT) | instid1(SALU_CYCLE_1)
	s_add_nc_u64 s[36:37], s[6:7], s[36:37]
	v_lshl_add_u64 v[0:1], v[50:51], 2, s[36:37]
	v_lshl_add_u64 v[2:3], v[52:53], 2, s[36:37]
	;; [unrolled: 1-line block ×4, first 2 shown]
	s_delay_alu instid0(VALU_DEP_4) | instskip(NEXT) | instid1(VALU_DEP_4)
	v_add_nc_u64_e32 v[6:7], v[0:1], v[58:59]
	v_add_nc_u64_e32 v[4:5], v[2:3], v[58:59]
	s_delay_alu instid0(VALU_DEP_4) | instskip(NEXT) | instid1(VALU_DEP_4)
	v_add_nc_u64_e32 v[2:3], v[8:9], v[58:59]
	v_add_nc_u64_e32 v[0:1], v[10:11], v[58:59]
	s_clause 0x3
	global_load_b128 v[8:11], v[6:7], off
	global_load_b128 v[12:15], v[4:5], off
	;; [unrolled: 1-line block ×4, first 2 shown]
	s_wait_loadcnt 0x3
	ds_store_b128 v81, v[8:11]
	s_wait_loadcnt 0x2
	ds_store_b128 v85, v[12:15]
	;; [unrolled: 2-line block ×4, first 2 shown]
	s_wait_dscnt 0x0
	s_barrier_signal -1
	s_barrier_wait -1
	ds_load_b128 v[8:11], v72
	ds_load_b128 v[12:15], v69
	v_mov_b32_e32 v19, 0
                                        ; implicit-def: $vgpr18
	s_wait_dscnt 0x0
	;;#ASMSTART
	v_dot2_f32_f16 v19, v8, v12, v19
	;;#ASMEND
	;;#ASMSTART
	v_dot2_f32_f16 v19, v9, v13, v19
	;;#ASMEND
	;;#ASMSTART
	v_dot2_f32_f16 v19, v10, v14, v19
	;;#ASMEND
	;;#ASMSTART
	v_dot2_f32_f16 v19, v11, v15, v19
	;;#ASMEND
	ds_load_b128 v[8:11], v72 offset:16
	ds_load_b128 v[12:15], v69 offset:16
	s_wait_dscnt 0x0
	;;#ASMSTART
	v_dot2_f32_f16 v19, v8, v12, v19
	;;#ASMEND
	;;#ASMSTART
	v_dot2_f32_f16 v19, v9, v13, v19
	;;#ASMEND
	;;#ASMSTART
	v_dot2_f32_f16 v19, v10, v14, v19
	;;#ASMEND
	;;#ASMSTART
	v_dot2_f32_f16 v19, v11, v15, v19
	;;#ASMEND
	ds_load_b128 v[8:11], v72 offset:32
	ds_load_b128 v[12:15], v69 offset:32
	;; [unrolled: 15-line block ×7, first 2 shown]
	s_wait_dscnt 0x0
	;;#ASMSTART
	v_dot2_f32_f16 v19, v8, v12, v19
	;;#ASMEND
	;;#ASMSTART
	v_dot2_f32_f16 v19, v9, v13, v19
	;;#ASMEND
	;; [unrolled: 3-line block ×4, first 2 shown]
	s_barrier_signal -1
	s_barrier_wait -1
	s_clause 0x3
	global_load_b128 v[8:11], v[6:7], off offset:128
	global_load_b128 v[12:15], v[4:5], off offset:128
	;; [unrolled: 1-line block ×4, first 2 shown]
	s_wait_loadcnt 0x3
	ds_store_b128 v81, v[8:11]
	s_wait_loadcnt 0x2
	ds_store_b128 v85, v[12:15]
	;; [unrolled: 2-line block ×4, first 2 shown]
	s_wait_dscnt 0x0
	s_barrier_signal -1
	s_barrier_wait -1
	ds_load_b128 v[8:11], v72
	ds_load_b128 v[12:15], v69 offset:128
	s_wait_dscnt 0x0
	;;#ASMSTART
	v_dot2_f32_f16 v19, v8, v12, v19
	;;#ASMEND
	;;#ASMSTART
	v_dot2_f32_f16 v19, v9, v13, v19
	;;#ASMEND
	;;#ASMSTART
	v_dot2_f32_f16 v19, v10, v14, v19
	;;#ASMEND
	;;#ASMSTART
	v_dot2_f32_f16 v19, v11, v15, v19
	;;#ASMEND
	ds_load_b128 v[8:11], v72 offset:16
	ds_load_b128 v[12:15], v69 offset:144
	s_wait_dscnt 0x0
	;;#ASMSTART
	v_dot2_f32_f16 v19, v8, v12, v19
	;;#ASMEND
	;;#ASMSTART
	v_dot2_f32_f16 v19, v9, v13, v19
	;;#ASMEND
	;;#ASMSTART
	v_dot2_f32_f16 v19, v10, v14, v19
	;;#ASMEND
	;;#ASMSTART
	v_dot2_f32_f16 v19, v11, v15, v19
	;;#ASMEND
	ds_load_b128 v[8:11], v72 offset:32
	;; [unrolled: 15-line block ×7, first 2 shown]
	ds_load_b128 v[12:15], v69 offset:240
	s_wait_dscnt 0x0
	;;#ASMSTART
	v_dot2_f32_f16 v19, v8, v12, v19
	;;#ASMEND
	;;#ASMSTART
	v_dot2_f32_f16 v19, v9, v13, v19
	;;#ASMEND
	;; [unrolled: 3-line block ×4, first 2 shown]
	s_barrier_signal -1
	s_barrier_wait -1
	s_clause 0x3
	global_load_b128 v[8:11], v[6:7], off offset:256
	global_load_b128 v[12:15], v[4:5], off offset:256
	global_load_b128 v[20:23], v[2:3], off offset:256
	global_load_b128 v[24:27], v[0:1], off offset:256
	s_wait_loadcnt 0x3
	ds_store_b128 v81, v[8:11]
	s_wait_loadcnt 0x2
	ds_store_b128 v85, v[12:15]
	;; [unrolled: 2-line block ×4, first 2 shown]
	s_wait_dscnt 0x0
	s_barrier_signal -1
	s_barrier_wait -1
	ds_load_b128 v[8:11], v72
	ds_load_b128 v[12:15], v69 offset:256
	s_wait_dscnt 0x0
	;;#ASMSTART
	v_dot2_f32_f16 v19, v8, v12, v19
	;;#ASMEND
	;;#ASMSTART
	v_dot2_f32_f16 v19, v9, v13, v19
	;;#ASMEND
	;;#ASMSTART
	v_dot2_f32_f16 v19, v10, v14, v19
	;;#ASMEND
	;;#ASMSTART
	v_dot2_f32_f16 v19, v11, v15, v19
	;;#ASMEND
	ds_load_b128 v[8:11], v72 offset:16
	ds_load_b128 v[12:15], v69 offset:272
	s_wait_dscnt 0x0
	;;#ASMSTART
	v_dot2_f32_f16 v19, v8, v12, v19
	;;#ASMEND
	;;#ASMSTART
	v_dot2_f32_f16 v19, v9, v13, v19
	;;#ASMEND
	;;#ASMSTART
	v_dot2_f32_f16 v19, v10, v14, v19
	;;#ASMEND
	;;#ASMSTART
	v_dot2_f32_f16 v19, v11, v15, v19
	;;#ASMEND
	ds_load_b128 v[8:11], v72 offset:32
	;; [unrolled: 15-line block ×7, first 2 shown]
	ds_load_b128 v[12:15], v69 offset:368
	s_wait_dscnt 0x0
	;;#ASMSTART
	v_dot2_f32_f16 v19, v8, v12, v19
	;;#ASMEND
	;;#ASMSTART
	v_dot2_f32_f16 v19, v9, v13, v19
	;;#ASMEND
	;; [unrolled: 3-line block ×4, first 2 shown]
	s_barrier_signal -1
	s_barrier_wait -1
	s_clause 0x3
	global_load_b128 v[6:9], v[6:7], off offset:384
	global_load_b128 v[10:13], v[4:5], off offset:384
	;; [unrolled: 1-line block ×4, first 2 shown]
	s_wait_loadcnt 0x3
	ds_store_b128 v81, v[6:9]
	s_wait_loadcnt 0x2
	ds_store_b128 v85, v[10:13]
	;; [unrolled: 2-line block ×4, first 2 shown]
	s_wait_dscnt 0x0
	s_barrier_signal -1
	s_barrier_wait -1
	ds_load_b128 v[0:3], v72
	ds_load_b128 v[4:7], v69 offset:384
	s_wait_dscnt 0x0
	;;#ASMSTART
	v_dot2_f32_f16 v19, v0, v4, v19
	;;#ASMEND
	;;#ASMSTART
	v_dot2_f32_f16 v19, v1, v5, v19
	;;#ASMEND
	;;#ASMSTART
	v_dot2_f32_f16 v19, v2, v6, v19
	;;#ASMEND
	;;#ASMSTART
	v_dot2_f32_f16 v19, v3, v7, v19
	;;#ASMEND
	ds_load_b128 v[0:3], v72 offset:16
	ds_load_b128 v[4:7], v69 offset:400
	s_wait_dscnt 0x0
	;;#ASMSTART
	v_dot2_f32_f16 v19, v0, v4, v19
	;;#ASMEND
	;;#ASMSTART
	v_dot2_f32_f16 v19, v1, v5, v19
	;;#ASMEND
	;;#ASMSTART
	v_dot2_f32_f16 v19, v2, v6, v19
	;;#ASMEND
	;;#ASMSTART
	v_dot2_f32_f16 v19, v3, v7, v19
	;;#ASMEND
	ds_load_b128 v[0:3], v72 offset:32
	;; [unrolled: 15-line block ×7, first 2 shown]
	ds_load_b128 v[4:7], v69 offset:496
	s_wait_dscnt 0x0
	;;#ASMSTART
	v_dot2_f32_f16 v19, v0, v4, v19
	;;#ASMEND
	;;#ASMSTART
	v_dot2_f32_f16 v19, v1, v5, v19
	;;#ASMEND
	;; [unrolled: 3-line block ×4, first 2 shown]
	v_cmp_ngt_f32_e64 s27, 0x3f200000, |v19|
	s_and_saveexec_b32 s29, s27
	s_delay_alu instid0(SALU_CYCLE_1)
	s_xor_b32 s27, exec_lo, s29
	s_cbranch_execnz .LBB74_12
; %bb.9:                                ;   in Loop: Header=BB74_8 Depth=1
	s_and_not1_saveexec_b32 s27, s27
	s_cbranch_execnz .LBB74_13
.LBB74_10:                              ;   in Loop: Header=BB74_8 Depth=1
	s_or_b32 exec_lo, exec_lo, s27
	s_delay_alu instid0(SALU_CYCLE_1)
	s_and_not1_b32 vcc_lo, exec_lo, s25
	s_cbranch_vccnz .LBB74_14
.LBB74_11:                              ;   in Loop: Header=BB74_8 Depth=1
	v_add_nc_u32_e32 v0, s14, v78
	global_load_u16 v0, v0, s[30:31] scale_offset
	s_wait_loadcnt 0x0
	v_cvt_f32_f16_e32 v0, v0
	s_delay_alu instid0(VALU_DEP_1)
	v_mul_f32_e32 v17, v49, v0
	s_branch .LBB74_15
.LBB74_12:                              ;   in Loop: Header=BB74_8 Depth=1
	v_add_f32_e64 v0, |v19|, |v19|
	s_delay_alu instid0(VALU_DEP_1) | instskip(SKIP_1) | instid1(VALU_DEP_2)
	v_mul_f32_e32 v1, 0x3fb8aa3b, v0
	v_cmp_ngt_f32_e32 vcc_lo, 0xc2ce8ed0, v0
	v_rndne_f32_e32 v2, v1
	v_fma_f32 v3, 0x3fb8aa3b, v0, -v1
	s_delay_alu instid0(VALU_DEP_2) | instskip(NEXT) | instid1(VALU_DEP_2)
	v_sub_f32_e32 v1, v1, v2
	v_fmac_f32_e32 v3, 0x32a5705f, v0
	v_cvt_i32_f32_e32 v2, v2
	s_delay_alu instid0(VALU_DEP_2) | instskip(NEXT) | instid1(VALU_DEP_1)
	v_add_f32_e32 v1, v1, v3
	v_exp_f32_e32 v1, v1
	v_nop
	s_delay_alu instid0(TRANS32_DEP_1) | instskip(NEXT) | instid1(VALU_DEP_1)
	v_ldexp_f32 v1, v1, v2
	v_cndmask_b32_e32 v1, 0, v1, vcc_lo
	v_cmp_nlt_f32_e32 vcc_lo, 0x42b17218, v0
	s_delay_alu instid0(VALU_DEP_2) | instskip(NEXT) | instid1(VALU_DEP_1)
	v_cndmask_b32_e32 v0, 0x7f800000, v1, vcc_lo
	v_add_f32_e32 v0, 1.0, v0
	s_delay_alu instid0(VALU_DEP_1) | instskip(SKIP_1) | instid1(TRANS32_DEP_1)
	v_rcp_f32_e32 v0, v0
	v_nop
	v_fma_f32 v18, v0, -2.0, 1.0
	s_and_not1_saveexec_b32 s27, s27
	s_cbranch_execz .LBB74_10
.LBB74_13:                              ;   in Loop: Header=BB74_8 Depth=1
	v_mul_f32_e32 v0, v19, v19
	s_delay_alu instid0(VALU_DEP_1) | instskip(NEXT) | instid1(VALU_DEP_1)
	v_fmaak_f32 v1, s26, v0, 0x3ca908c9
	v_fmaak_f32 v1, v0, v1, 0xbd5c1c4e
	s_delay_alu instid0(VALU_DEP_1) | instskip(NEXT) | instid1(VALU_DEP_1)
	v_fmaak_f32 v1, v0, v1, 0x3e088382
	v_fmaak_f32 v1, v0, v1, 0xbeaaaa99
	s_delay_alu instid0(VALU_DEP_1) | instskip(NEXT) | instid1(VALU_DEP_1)
	v_mul_f32_e64 v1, |v19|, v1
	v_fma_f32 v18, v0, v1, |v19|
	s_or_b32 exec_lo, exec_lo, s27
	s_delay_alu instid0(SALU_CYCLE_1)
	s_and_not1_b32 vcc_lo, exec_lo, s25
	s_cbranch_vccz .LBB74_11
.LBB74_14:                              ;   in Loop: Header=BB74_8 Depth=1
	v_mov_b32_e32 v17, 0
.LBB74_15:                              ;   in Loop: Header=BB74_8 Depth=1
	s_mul_u64 s[36:37], s[14:15], s[10:11]
	s_delay_alu instid0(SALU_CYCLE_1)
	s_lshl_b64 s[36:37], s[36:37], 2
	s_barrier_signal -1
	s_add_nc_u64 s[36:37], s[8:9], s[36:37]
	s_barrier_wait -1
	v_add_nc_u64_e32 v[0:1], s[36:37], v[60:61]
	v_add_nc_u64_e32 v[2:3], s[36:37], v[62:63]
	;; [unrolled: 1-line block ×4, first 2 shown]
	v_bfi_b32 v18, 0x7fffffff, v18, v19
	v_xor_b32_e32 v19, 16, v45
	v_add_nc_u64_e32 v[0:1], v[0:1], v[76:77]
	v_add_nc_u64_e32 v[8:9], v[2:3], v[76:77]
	;; [unrolled: 1-line block ×4, first 2 shown]
	v_fmac_f32_e32 v17, s35, v18
	v_cmp_gt_i32_e32 vcc_lo, 32, v19
	v_max_num_f32_e32 v18, v16, v16
	s_clause 0x3
	global_load_b128 v[0:3], v[0:1], off
	global_load_b128 v[4:7], v[8:9], off
	;; [unrolled: 1-line block ×4, first 2 shown]
	s_or_b32 s36, s14, 8
	v_add_nc_u32_e32 v95, 0x800, v89
	v_dual_cndmask_b32 v19, v45, v19 :: v_dual_add_f32 v20, 0x40051340, v17
	s_ashr_i32 s37, s36, 31
	s_delay_alu instid0(SALU_CYCLE_1) | instskip(NEXT) | instid1(VALU_DEP_1)
	s_mul_u64 s[36:37], s[36:37], s[10:11]
	v_dual_max_num_f32 v18, v18, v20 :: v_dual_lshlrev_b32 v19, 2, v19
	v_xor_b32_e32 v20, 8, v45
	s_lshl_b64 s[36:37], s[36:37], 2
	s_delay_alu instid0(SALU_CYCLE_1) | instskip(SKIP_4) | instid1(VALU_DEP_1)
	s_add_nc_u64 s[36:37], s[8:9], s[36:37]
	ds_bpermute_b32 v19, v19, v18
	v_cmp_gt_i32_e32 vcc_lo, 32, v20
	s_wait_dscnt 0x0
	v_dual_cndmask_b32 v20, v45, v20 :: v_dual_max_num_f32 v19, v19, v19
	v_dual_lshlrev_b32 v20, 2, v20 :: v_dual_max_num_f32 v18, v18, v19
	ds_bpermute_b32 v19, v20, v18
	s_wait_dscnt 0x0
	v_dual_max_num_f32 v19, v19, v19 :: v_dual_bitop2_b32 v20, 4, v45 bitop3:0x14
	s_delay_alu instid0(VALU_DEP_1) | instskip(NEXT) | instid1(VALU_DEP_2)
	v_cmp_gt_i32_e32 vcc_lo, 32, v20
	v_dual_max_num_f32 v18, v18, v19 :: v_dual_cndmask_b32 v20, v45, v20, vcc_lo
	s_delay_alu instid0(VALU_DEP_1) | instskip(SKIP_3) | instid1(VALU_DEP_1)
	v_lshlrev_b32_e32 v20, 2, v20
	ds_bpermute_b32 v19, v20, v18
	s_wait_dscnt 0x0
	v_dual_max_num_f32 v19, v19, v19 :: v_dual_bitop2_b32 v20, 2, v45 bitop3:0x14
	v_max_num_f32_e32 v18, v18, v19
	s_delay_alu instid0(VALU_DEP_2) | instskip(SKIP_1) | instid1(VALU_DEP_1)
	v_cmp_gt_i32_e32 vcc_lo, 32, v20
	v_cndmask_b32_e32 v20, v45, v20, vcc_lo
	v_lshlrev_b32_e32 v20, 2, v20
	ds_bpermute_b32 v19, v20, v18
	v_xor_b32_e32 v20, 1, v45
	s_delay_alu instid0(VALU_DEP_1) | instskip(SKIP_2) | instid1(VALU_DEP_1)
	v_cmp_gt_i32_e32 vcc_lo, 32, v20
	s_wait_dscnt 0x0
	v_max_num_f32_e32 v19, v19, v19
	v_dual_max_num_f32 v18, v18, v19 :: v_dual_cndmask_b32 v20, v45, v20, vcc_lo
	s_delay_alu instid0(VALU_DEP_1) | instskip(SKIP_3) | instid1(VALU_DEP_1)
	v_lshlrev_b32_e32 v20, 2, v20
	ds_bpermute_b32 v19, v20, v18
	s_wait_dscnt 0x0
	v_max_num_f32_e32 v19, v19, v19
	v_max_num_f32_e32 v46, v18, v19
	s_delay_alu instid0(VALU_DEP_1) | instskip(NEXT) | instid1(VALU_DEP_1)
	v_dual_sub_f32 v17, v17, v46 :: v_dual_sub_f32 v16, v16, v46
	v_dual_mul_f32 v18, 0x3fb8aa3b, v17 :: v_dual_mul_f32 v21, 0x3fb8aa3b, v16
	v_cmp_ngt_f32_e32 vcc_lo, 0xc2ce8ed0, v17
	s_delay_alu instid0(VALU_DEP_2) | instskip(SKIP_1) | instid1(VALU_DEP_4)
	v_fma_f32 v19, 0x3fb8aa3b, v17, -v18
	v_rndne_f32_e32 v20, v18
	v_rndne_f32_e32 v23, v21
	s_delay_alu instid0(VALU_DEP_2) | instskip(SKIP_2) | instid1(VALU_DEP_2)
	v_dual_fmac_f32 v19, 0x32a5705f, v17 :: v_dual_sub_f32 v18, v18, v20
	v_fma_f32 v22, 0x3fb8aa3b, v16, -v21
	v_cvt_i32_f32_e32 v20, v20
	v_fmac_f32_e32 v22, 0x32a5705f, v16
	s_delay_alu instid0(VALU_DEP_4) | instskip(SKIP_1) | instid1(VALU_DEP_1)
	v_add_f32_e32 v18, v18, v19
	v_sub_f32_e32 v19, v21, v23
	v_add_f32_e32 v19, v19, v22
	s_delay_alu instid0(VALU_DEP_3) | instskip(NEXT) | instid1(VALU_DEP_1)
	v_exp_f32_e32 v18, v18
	v_exp_f32_e32 v19, v19
	s_delay_alu instid0(TRANS32_DEP_2) | instskip(SKIP_1) | instid1(VALU_DEP_2)
	v_ldexp_f32 v18, v18, v20
	v_cvt_i32_f32_e32 v20, v23
	v_cndmask_b32_e32 v18, 0, v18, vcc_lo
	v_cmp_nlt_f32_e32 vcc_lo, 0x42b17218, v17
	s_delay_alu instid0(TRANS32_DEP_1) | instid1(VALU_DEP_3)
	v_ldexp_f32 v19, v19, v20
	s_delay_alu instid0(VALU_DEP_3) | instskip(SKIP_1) | instid1(VALU_DEP_2)
	v_cndmask_b32_e32 v75, 0x7f800000, v18, vcc_lo
	v_cmp_ngt_f32_e32 vcc_lo, 0xc2ce8ed0, v16
	v_cvt_f16_f32_e32 v18, v75
	s_delay_alu instid0(VALU_DEP_4)
	v_cndmask_b32_e32 v17, 0, v19, vcc_lo
	v_cmp_nlt_f32_e32 vcc_lo, 0x42b17218, v16
	ds_store_b16 v82, v18
	s_wait_loadcnt 0x3
	ds_store_b128 v80, v[0:3]
	s_wait_loadcnt 0x2
	ds_store_b128 v83, v[4:7]
	s_wait_loadcnt 0x1
	ds_store_b128 v84, v[8:11]
	s_wait_loadcnt 0x0
	ds_store_b128 v93, v[12:15]
	s_wait_dscnt 0x0
	s_barrier_signal -1
	s_barrier_wait -1
	ds_load_b128 v[0:3], v79
	v_cndmask_b32_e32 v96, 0x7f800000, v17, vcc_lo
	ds_load_2addr_b64 v[20:23], v89 offset1:32
	v_add_nc_u64_e32 v[4:5], s[36:37], v[60:61]
	v_add_nc_u64_e32 v[8:9], s[36:37], v[64:65]
	;; [unrolled: 1-line block ×3, first 2 shown]
	v_cvt_f16_f32_e32 v10, v96
	s_delay_alu instid0(VALU_DEP_4) | instskip(NEXT) | instid1(VALU_DEP_2)
	v_add_nc_u64_e32 v[24:25], v[4:5], v[76:77]
	v_and_b32_e32 v12, 0xffff, v10
	v_add_nc_u64_e32 v[10:11], s[36:37], v[66:67]
	v_add_nc_u64_e32 v[32:33], v[8:9], v[76:77]
	v_add_nc_u64_e32 v[26:27], v[6:7], v[76:77]
	s_or_b32 s36, s14, 16
	v_mul_u32_u24_e32 v97, 0x10001, v12
	s_ashr_i32 s37, s36, 31
	s_delay_alu instid0(VALU_DEP_4)
	v_add_nc_u64_e32 v[34:35], v[10:11], v[76:77]
	s_wait_dscnt 0x1
	v_and_b32_e32 v4, 0xffff, v0
	v_pk_mul_f16 v98, v41, v97
	v_pk_mul_f16 v99, v40, v97
	ds_load_2addr_b64 v[28:31], v89 offset0:64 offset1:96
	ds_load_2addr_b64 v[40:43], v89 offset0:128 offset1:160
	;; [unrolled: 1-line block ×3, first 2 shown]
	v_lshrrev_b32_e32 v0, 16, v0
	v_mul_u32_u24_e32 v100, 0x10001, v4
	ds_load_2addr_b64 v[12:15], v95 offset1:32
	ds_load_2addr_b64 v[16:19], v95 offset0:64 offset1:96
	ds_load_2addr_b64 v[8:11], v95 offset0:128 offset1:160
	;; [unrolled: 1-line block ×3, first 2 shown]
	s_wait_dscnt 0x0
	s_barrier_signal -1
	v_mul_u32_u24_e32 v0, 0x10001, v0
	v_pk_mul_f16 v20, v20, v100
	v_pk_mul_f16 v21, v21, v100
	v_pk_fma_f16 v98, v22, v100, v98
	v_pk_fma_f16 v99, v23, v100, v99
	s_barrier_wait -1
	v_pk_fma_f16 v71, v71, v97, v20
	v_pk_fma_f16 v70, v70, v97, v21
	s_clause 0x1
	global_load_b128 v[20:23], v[24:25], off
	global_load_b128 v[24:27], v[26:27], off
	s_mul_u64 s[36:37], s[36:37], s[10:11]
	v_pk_fma_f16 v97, v30, v0, v98
	v_pk_fma_f16 v98, v31, v0, v99
	;; [unrolled: 1-line block ×4, first 2 shown]
	s_clause 0x1
	global_load_b128 v[28:31], v[32:33], off
	global_load_b128 v[32:35], v[34:35], off
	v_and_b32_e32 v70, 0xffff, v1
	v_lshrrev_b32_e32 v1, 16, v1
	s_lshl_b64 s[36:37], s[36:37], 2
	s_wait_loadcnt 0x3
	ds_store_b128 v80, v[20:23]
	s_wait_loadcnt 0x2
	ds_store_b128 v83, v[24:27]
	;; [unrolled: 2-line block ×4, first 2 shown]
	v_mul_u32_u24_e32 v70, 0x10001, v70
	s_add_nc_u64 s[36:37], s[8:9], s[36:37]
	v_mul_u32_u24_e32 v99, 0x10001, v1
	s_wait_dscnt 0x0
	s_barrier_signal -1
	v_pk_fma_f16 v97, v42, v70, v97
	v_pk_fma_f16 v98, v43, v70, v98
	;; [unrolled: 1-line block ×4, first 2 shown]
	v_add_nc_u64_e32 v[0:1], s[36:37], v[60:61]
	v_pk_fma_f16 v38, v38, v99, v97
	v_pk_fma_f16 v39, v39, v99, v98
	;; [unrolled: 1-line block ×4, first 2 shown]
	v_add_nc_u64_e32 v[36:37], s[36:37], v[66:67]
	s_barrier_wait -1
	v_add_nc_u64_e32 v[70:71], v[0:1], v[76:77]
	v_and_b32_e32 v0, 0xffff, v2
	v_lshrrev_b32_e32 v1, 16, v2
	v_and_b32_e32 v2, 0xffff, v3
	v_add_nc_u64_e32 v[102:103], v[36:37], v[76:77]
	s_delay_alu instid0(VALU_DEP_4) | instskip(NEXT) | instid1(VALU_DEP_4)
	v_mul_u32_u24_e32 v0, 0x10001, v0
	v_mul_u32_u24_e32 v1, 0x10001, v1
	v_lshrrev_b32_e32 v3, 16, v3
	v_mul_u32_u24_e32 v2, 0x10001, v2
	v_add_nc_u64_e32 v[40:41], s[36:37], v[62:63]
	v_pk_fma_f16 v36, v14, v0, v38
	v_pk_fma_f16 v37, v15, v0, v39
	;; [unrolled: 1-line block ×4, first 2 shown]
	ds_load_b128 v[12:15], v79 offset:16
	v_pk_fma_f16 v18, v18, v1, v36
	v_pk_fma_f16 v19, v19, v1, v37
	;; [unrolled: 1-line block ×4, first 2 shown]
	v_mul_u32_u24_e32 v1, 0x10001, v3
	v_pk_fma_f16 v3, v10, v2, v18
	v_pk_fma_f16 v10, v11, v2, v19
	;; [unrolled: 1-line block ×3, first 2 shown]
	ds_load_2addr_b64 v[16:19], v89 offset1:32
	v_add_nc_u64_e32 v[42:43], s[36:37], v[64:65]
	v_add_nc_u64_e32 v[98:99], v[40:41], v[76:77]
	v_pk_fma_f16 v0, v9, v2, v0
	v_pk_fma_f16 v21, v7, v1, v10
	;; [unrolled: 1-line block ×4, first 2 shown]
	s_or_b32 s36, s14, 24
	v_add_nc_u64_e32 v[100:101], v[42:43], v[76:77]
	ds_load_2addr_b64 v[24:27], v89 offset0:64 offset1:96
	ds_load_2addr_b64 v[40:43], v89 offset0:128 offset1:160
	;; [unrolled: 1-line block ×3, first 2 shown]
	ds_load_2addr_b64 v[32:35], v95 offset1:32
	ds_load_2addr_b64 v[8:11], v95 offset0:64 offset1:96
	v_pk_fma_f16 v23, v5, v1, v0
	s_wait_dscnt 0x6
	v_and_b32_e32 v28, 0xffff, v12
	v_lshrrev_b32_e32 v12, 16, v12
	ds_load_2addr_b64 v[4:7], v95 offset0:128 offset1:160
	ds_load_2addr_b64 v[0:3], v95 offset0:192 offset1:224
	s_wait_dscnt 0x0
	s_barrier_signal -1
	v_mul_u32_u24_e32 v28, 0x10001, v28
	s_barrier_wait -1
	s_ashr_i32 s37, s36, 31
	s_delay_alu instid0(VALU_DEP_1)
	v_pk_fma_f16 v29, v16, v28, v22
	v_pk_fma_f16 v30, v17, v28, v23
	v_pk_fma_f16 v31, v18, v28, v20
	v_pk_fma_f16 v28, v19, v28, v21
	s_clause 0x1
	global_load_b128 v[16:19], v[70:71], off
	global_load_b128 v[20:23], v[98:99], off
	s_wait_xcnt 0x0
	v_and_b32_e32 v98, 0xffff, v13
	v_lshrrev_b32_e32 v13, 16, v13
	v_mul_u32_u24_e32 v12, 0x10001, v12
	s_mul_u64 s[36:37], s[36:37], s[10:11]
	s_delay_alu instid0(VALU_DEP_3) | instskip(SKIP_1) | instid1(VALU_DEP_2)
	v_mul_u32_u24_e32 v98, 0x10001, v98
	s_lshl_b64 s[36:37], s[36:37], 2
	v_pk_fma_f16 v70, v24, v12, v29
	v_pk_fma_f16 v71, v25, v12, v30
	;; [unrolled: 1-line block ×4, first 2 shown]
	s_clause 0x1
	global_load_b128 v[24:27], v[100:101], off
	global_load_b128 v[28:31], v[102:103], off
	s_add_nc_u64 s[36:37], s[8:9], s[36:37]
	v_mul_u32_u24_e32 v99, 0x10001, v13
	v_pk_fma_f16 v70, v40, v98, v70
	v_pk_fma_f16 v71, v41, v98, v71
	;; [unrolled: 1-line block ×4, first 2 shown]
	v_add_nc_u64_e32 v[12:13], s[36:37], v[60:61]
	s_wait_xcnt 0x1
	v_pk_fma_f16 v100, v36, v99, v70
	v_pk_fma_f16 v101, v37, v99, v71
	;; [unrolled: 1-line block ×4, first 2 shown]
	v_add_nc_u64_e32 v[42:43], s[36:37], v[64:65]
	v_add_nc_u64_e32 v[70:71], s[36:37], v[66:67]
	;; [unrolled: 1-line block ×3, first 2 shown]
	v_and_b32_e32 v12, 0xffff, v14
	v_lshrrev_b32_e32 v13, 16, v14
	v_and_b32_e32 v14, 0xffff, v15
	v_lshrrev_b32_e32 v15, 16, v15
	v_add_nc_u64_e32 v[36:37], v[42:43], v[76:77]
	v_mul_u32_u24_e32 v12, 0x10001, v12
	v_mul_u32_u24_e32 v13, 0x10001, v13
	;; [unrolled: 1-line block ×3, first 2 shown]
	v_add_nc_u64_e32 v[42:43], v[70:71], v[76:77]
	v_add_nc_u64_e32 v[40:41], s[36:37], v[62:63]
	v_pk_fma_f16 v32, v32, v12, v100
	v_pk_fma_f16 v33, v33, v12, v101
	v_pk_fma_f16 v34, v34, v12, v97
	v_pk_fma_f16 v12, v35, v12, v98
	s_wait_loadcnt 0x3
	ds_store_b128 v80, v[16:19]
	s_wait_loadcnt 0x2
	ds_store_b128 v83, v[20:23]
	;; [unrolled: 2-line block ×4, first 2 shown]
	s_wait_dscnt 0x0
	s_barrier_signal -1
	s_barrier_wait -1
	ds_load_b128 v[24:27], v79 offset:32
	v_pk_fma_f16 v8, v8, v13, v32
	v_pk_fma_f16 v9, v9, v13, v33
	;; [unrolled: 1-line block ×4, first 2 shown]
	ds_load_2addr_b64 v[28:31], v89 offset1:32
	v_mul_u32_u24_e32 v12, 0x10001, v15
	v_pk_fma_f16 v4, v4, v14, v8
	v_pk_fma_f16 v5, v5, v14, v9
	;; [unrolled: 1-line block ×4, first 2 shown]
	v_add_nc_u64_e32 v[40:41], v[40:41], v[76:77]
	v_pk_fma_f16 v70, v0, v12, v4
	v_pk_fma_f16 v71, v1, v12, v5
	;; [unrolled: 1-line block ×4, first 2 shown]
	ds_load_2addr_b64 v[32:35], v89 offset0:64 offset1:96
	ds_load_2addr_b64 v[20:23], v89 offset0:128 offset1:160
	ds_load_2addr_b64 v[16:19], v89 offset0:192 offset1:224
	ds_load_2addr_b64 v[12:15], v95 offset1:32
	ds_load_2addr_b64 v[8:11], v95 offset0:64 offset1:96
	ds_load_2addr_b64 v[4:7], v95 offset0:128 offset1:160
	;; [unrolled: 1-line block ×3, first 2 shown]
	s_wait_dscnt 0x0
	s_barrier_signal -1
	v_and_b32_e32 v99, 0xffff, v24
	v_dual_lshrrev_b32 v24, 16, v24 :: v_dual_lshrrev_b32 v100, 16, v25
	s_barrier_wait -1
	s_delay_alu instid0(VALU_DEP_2) | instskip(NEXT) | instid1(VALU_DEP_2)
	v_mul_u32_u24_e32 v99, 0x10001, v99
	v_mul_u32_u24_e32 v103, 0x10001, v24
	v_lshrrev_b32_e32 v101, 16, v27
	v_and_b32_e32 v102, 0xffff, v25
	v_and_b32_e32 v104, 0xffff, v26
	v_pk_fma_f16 v70, v28, v99, v70
	v_pk_fma_f16 v71, v29, v99, v71
	;; [unrolled: 1-line block ×4, first 2 shown]
	v_lshrrev_b32_e32 v99, 16, v26
	v_and_b32_e32 v105, 0xffff, v27
	s_clause 0x1
	global_load_b128 v[24:27], v[38:39], off
	global_load_b128 v[28:31], v[40:41], off
	s_wait_xcnt 0x0
	v_pk_fma_f16 v40, v32, v103, v70
	v_pk_fma_f16 v41, v33, v103, v71
	;; [unrolled: 1-line block ×4, first 2 shown]
	s_clause 0x1
	global_load_b128 v[32:35], v[36:37], off
	global_load_b128 v[36:39], v[42:43], off
	s_wait_xcnt 0x0
	v_mul_u32_u24_e32 v42, 0x10001, v102
	v_mul_u32_u24_e32 v43, 0x10001, v100
	s_wait_loadcnt 0x3
	ds_store_b128 v80, v[24:27]
	s_wait_loadcnt 0x2
	ds_store_b128 v83, v[28:31]
	;; [unrolled: 2-line block ×4, first 2 shown]
	v_pk_fma_f16 v20, v20, v42, v40
	v_pk_fma_f16 v21, v21, v42, v41
	v_pk_fma_f16 v22, v22, v42, v70
	v_mul_u32_u24_e32 v40, 0x10001, v104
	v_pk_fma_f16 v23, v23, v42, v71
	v_pk_fma_f16 v16, v16, v43, v20
	v_pk_fma_f16 v17, v17, v43, v21
	v_pk_fma_f16 v18, v18, v43, v22
	v_mul_u32_u24_e32 v20, 0x10001, v99
	v_pk_fma_f16 v19, v19, v43, v23
	;; [unrolled: 5-line block ×3, first 2 shown]
	v_pk_fma_f16 v8, v8, v20, v12
	v_pk_fma_f16 v9, v9, v20, v13
	;; [unrolled: 1-line block ×3, first 2 shown]
	s_wait_dscnt 0x0
	v_pk_fma_f16 v13, v11, v20, v15
	v_pk_fma_f16 v4, v4, v16, v8
	;; [unrolled: 1-line block ×4, first 2 shown]
	s_barrier_signal -1
	s_barrier_wait -1
	ds_load_b128 v[8:11], v79 offset:48
	v_mul_u32_u24_e32 v12, 0x10001, v101
	v_pk_fma_f16 v7, v7, v16, v13
	v_fmac_f32_e32 v75, v94, v96
	s_delay_alu instid0(VALU_DEP_3)
	v_pk_fma_f16 v36, v0, v12, v4
	v_pk_fma_f16 v37, v1, v12, v5
	;; [unrolled: 1-line block ×4, first 2 shown]
	ds_load_2addr_b64 v[0:3], v89 offset1:32
	ds_load_2addr_b64 v[4:7], v89 offset0:64 offset1:96
	ds_load_2addr_b64 v[12:15], v89 offset0:128 offset1:160
	;; [unrolled: 1-line block ×3, first 2 shown]
	ds_load_2addr_b64 v[20:23], v95 offset1:32
	ds_load_2addr_b64 v[24:27], v95 offset0:64 offset1:96
	ds_load_2addr_b64 v[28:31], v95 offset0:128 offset1:160
	;; [unrolled: 1-line block ×3, first 2 shown]
	s_wait_dscnt 0x0
	s_barrier_signal -1
	s_barrier_wait -1
	s_load_b32 s15, s[20:21], 0x4
	v_and_b32_e32 v40, 0xffff, v8
	v_dual_lshrrev_b32 v8, 16, v8 :: v_dual_lshrrev_b32 v42, 16, v10
	v_lshrrev_b32_e32 v41, 16, v9
	v_and_b32_e32 v9, 0xffff, v9
	s_delay_alu instid0(VALU_DEP_4) | instskip(NEXT) | instid1(VALU_DEP_4)
	v_mul_u32_u24_e32 v40, 0x10001, v40
	v_mul_u32_u24_e32 v8, 0x10001, v8
	v_and_b32_e32 v10, 0xffff, v10
	v_lshrrev_b32_e32 v43, 16, v11
	v_mul_u32_u24_e32 v9, 0x10001, v9
	v_pk_fma_f16 v0, v0, v40, v36
	v_pk_fma_f16 v1, v1, v40, v37
	;; [unrolled: 1-line block ×4, first 2 shown]
	v_and_b32_e32 v11, 0xffff, v11
	v_pk_fma_f16 v0, v4, v8, v0
	v_pk_fma_f16 v1, v5, v8, v1
	v_pk_fma_f16 v2, v6, v8, v2
	v_pk_fma_f16 v3, v7, v8, v3
	v_mul_u32_u24_e32 v4, 0x10001, v41
	v_pk_fma_f16 v0, v12, v9, v0
	v_pk_fma_f16 v1, v13, v9, v1
	v_pk_fma_f16 v2, v14, v9, v2
	v_pk_fma_f16 v3, v15, v9, v3
	v_mul_u32_u24_e32 v5, 0x10001, v10
	;; [unrolled: 5-line block ×5, first 2 shown]
	v_pk_fma_f16 v0, v28, v5, v0
	v_pk_fma_f16 v1, v29, v5, v1
	;; [unrolled: 1-line block ×4, first 2 shown]
	s_wait_kmcnt 0x0
	s_lshl_b32 s15, s15, 5
	v_pk_fma_f16 v71, v32, v4, v0
	v_pk_fma_f16 v70, v33, v4, v1
	;; [unrolled: 1-line block ×4, first 2 shown]
	s_add_co_i32 s14, s15, s14
	s_delay_alu instid0(SALU_CYCLE_1)
	s_cmp_lt_i32 s14, s3
	s_cbranch_scc0 .LBB74_18
; %bb.16:                               ;   in Loop: Header=BB74_8 Depth=1
	v_dual_mov_b32 v16, v46 :: v_dual_mov_b32 v94, v75
	s_branch .LBB74_8
.LBB74_17:
	v_dual_mov_b32 v71, 0 :: v_dual_mov_b32 v46, 0xfeffffff
	v_dual_mov_b32 v70, 0 :: v_dual_mov_b32 v41, 0
	v_mov_b32_e32 v40, 0
.LBB74_18:
	s_cmp_gt_i32 s2, s14
	s_cbranch_scc1 .LBB74_21
; %bb.19:
	v_mbcnt_lo_u32_b32 v0, -1, 0
	v_mov_b32_e32 v20, 32
	s_delay_alu instid0(VALU_DEP_2)
	v_xor_b32_e32 v92, 16, v0
	v_xor_b32_e32 v91, 8, v0
	;; [unrolled: 1-line block ×5, first 2 shown]
	s_cbranch_execz .LBB74_22
; %bb.20:
	v_mov_b32_e32 v90, v0
	s_branch .LBB74_32
.LBB74_21:
                                        ; implicit-def: $vgpr0
                                        ; implicit-def: $vgpr20
                                        ; implicit-def: $vgpr92
                                        ; implicit-def: $vgpr91
                                        ; implicit-def: $vgpr93
                                        ; implicit-def: $vgpr94
                                        ; implicit-def: $vgpr95
.LBB74_22:
	v_lshl_add_u32 v17, v68, 2, v73
	s_ashr_i32 s15, s14, 31
	s_ashr_i32 s5, s4, 31
	s_mov_b32 s36, 0
	s_mul_u64 s[20:21], s[14:15], s[4:5]
	v_mul_lo_u32 v10, s4, v17
	s_lshl_b64 s[20:21], s[20:21], 2
	v_dual_mov_b32 v2, 0 :: v_dual_lshlrev_b32 v3, 20, v90
	s_add_nc_u64 s[20:21], s[6:7], s[20:21]
	s_mov_b32 s37, s36
	s_mov_b32 s38, s36
	v_mov_b32_e32 v5, 0
	v_add_nc_u64_e32 v[6:7], src_flat_scratch_base_lo, v[2:3]
	s_sub_co_i32 s7, s2, s14
	s_lshl_b32 s4, s4, 3
	s_delay_alu instid0(VALU_DEP_4) | instskip(SKIP_2) | instid1(VALU_DEP_3)
	v_dual_ashrrev_i32 v11, 31, v10 :: v_dual_lshlrev_b32 v4, 2, v48
	v_cmp_gt_i32_e32 vcc_lo, s7, v17
	v_dual_add_nc_u32 v22, s4, v10 :: v_dual_add_nc_u32 v16, 8, v17
	v_lshl_add_u64 v[0:1], v[10:11], 2, s[20:21]
	s_delay_alu instid0(VALU_DEP_2) | instskip(NEXT) | instid1(VALU_DEP_2)
	v_cmp_gt_i32_e64 s2, s7, v16
	v_add_nc_u64_e32 v[8:9], v[0:1], v[4:5]
	v_dual_mov_b32 v0, s36 :: v_dual_mov_b32 v1, s37
	v_dual_mov_b32 v2, s38 :: v_dual_ashrrev_i32 v23, 31, v22
	s_clause 0x1
	scratch_store_b32 off, v5, off
	scratch_store_b96 off, v[0:2], off offset:4
	v_dual_cndmask_b32 v13, v7, v9 :: v_dual_cndmask_b32 v12, v6, v8
	v_lshl_add_u64 v[10:11], v[22:23], 2, s[20:21]
	v_mad_u32_u24 v16, 0x90, v17, v4
	v_add_nc_u64_e32 v[26:27], 0x80, v[8:9]
	flat_load_b128 v[12:15], v[12:13]
	v_add_nc_u64_e32 v[10:11], v[10:11], v[4:5]
	s_clause 0x1
	scratch_store_b32 off, v5, off
	scratch_store_b96 off, v[0:2], off offset:4
	v_dual_cndmask_b32 v27, v7, v27 :: v_dual_cndmask_b32 v26, v6, v26
	v_dual_cndmask_b32 v19, v7, v11, s2 :: v_dual_cndmask_b32 v18, v6, v10, s2
	s_wait_loadcnt_dscnt 0x0
	ds_store_b128 v16, v[12:15]
	v_add_nc_u32_e32 v14, s4, v22
	s_delay_alu instid0(VALU_DEP_1) | instskip(SKIP_1) | instid1(VALU_DEP_1)
	v_ashrrev_i32_e32 v15, 31, v14
	s_wait_xcnt 0x2
	v_lshl_add_u64 v[12:13], v[14:15], 2, s[20:21]
	v_add_nc_u32_e32 v15, 16, v17
	flat_load_b128 v[18:21], v[18:19]
	s_clause 0x1
	scratch_store_b32 off, v5, off
	scratch_store_b96 off, v[0:2], off offset:4
	v_add_nc_u32_e32 v17, 24, v17
	v_add_nc_u64_e32 v[12:13], v[12:13], v[4:5]
	v_cmp_gt_i32_e64 s3, s7, v15
	s_delay_alu instid0(VALU_DEP_1) | instskip(SKIP_2) | instid1(VALU_DEP_2)
	v_dual_cndmask_b32 v23, v7, v13, s3 :: v_dual_cndmask_b32 v22, v6, v12, s3
	v_add_nc_u32_e32 v14, s4, v14
	v_cmp_gt_i32_e64 s4, s7, v17
	v_ashrrev_i32_e32 v15, 31, v14
	s_delay_alu instid0(VALU_DEP_1) | instskip(NEXT) | instid1(VALU_DEP_1)
	v_lshl_add_u64 v[14:15], v[14:15], 2, s[20:21]
	v_add_nc_u64_e32 v[14:15], v[14:15], v[4:5]
	v_mov_b32_e32 v4, v5
	s_wait_loadcnt_dscnt 0x0
	ds_store_b128 v16, v[18:21] offset:1152
	flat_load_b128 v[18:21], v[22:23]
	s_wait_xcnt 0x0
	v_dual_cndmask_b32 v23, v7, v15, s4 :: v_dual_cndmask_b32 v22, v6, v14, s4
	s_clause 0x1
	scratch_store_b32 off, v5, off
	scratch_store_b96 off, v[0:2], off offset:4
	s_wait_loadcnt_dscnt 0x0
	ds_store_b128 v16, v[18:21] offset:2304
	flat_load_b128 v[18:21], v[22:23]
	s_wait_loadcnt_dscnt 0x0
	ds_store_b128 v16, v[18:21] offset:3456
	s_wait_storecnt_dscnt 0x0
	s_barrier_signal -1
	s_barrier_wait -1
	ds_load_b128 v[18:21], v72
	s_wait_xcnt 0x0
	ds_load_b128 v[22:25], v69
	s_wait_dscnt 0x0
	;;#ASMSTART
	v_dot2_f32_f16 v4, v18, v22, v4
	;;#ASMEND
	;;#ASMSTART
	v_dot2_f32_f16 v4, v19, v23, v4
	;;#ASMEND
	;;#ASMSTART
	v_dot2_f32_f16 v4, v20, v24, v4
	;;#ASMEND
	;;#ASMSTART
	v_dot2_f32_f16 v4, v21, v25, v4
	;;#ASMEND
	ds_load_b128 v[18:21], v72 offset:16
	ds_load_b128 v[22:25], v69 offset:16
	s_wait_dscnt 0x0
	;;#ASMSTART
	v_dot2_f32_f16 v4, v18, v22, v4
	;;#ASMEND
	;;#ASMSTART
	v_dot2_f32_f16 v4, v19, v23, v4
	;;#ASMEND
	;;#ASMSTART
	v_dot2_f32_f16 v4, v20, v24, v4
	;;#ASMEND
	;;#ASMSTART
	v_dot2_f32_f16 v4, v21, v25, v4
	;;#ASMEND
	ds_load_b128 v[18:21], v72 offset:32
	ds_load_b128 v[22:25], v69 offset:32
	;; [unrolled: 15-line block ×7, first 2 shown]
	s_wait_dscnt 0x0
	;;#ASMSTART
	v_dot2_f32_f16 v4, v18, v22, v4
	;;#ASMEND
	;;#ASMSTART
	v_dot2_f32_f16 v4, v19, v23, v4
	;;#ASMEND
	;; [unrolled: 3-line block ×4, first 2 shown]
	s_barrier_signal -1
	s_barrier_wait -1
	s_clause 0x1
	scratch_store_b32 off, v5, off
	scratch_store_b96 off, v[0:2], off offset:4
	flat_load_b128 v[18:21], v[26:27]
	v_add_nc_u64_e32 v[22:23], 0x80, v[10:11]
	s_clause 0x1
	scratch_store_b32 off, v5, off
	scratch_store_b96 off, v[0:2], off offset:4
	s_wait_xcnt 0x2
	v_add_nc_u64_e32 v[26:27], 0x100, v[8:9]
	v_add_nc_u64_e32 v[8:9], 0x180, v[8:9]
	v_dual_cndmask_b32 v23, v7, v23, s2 :: v_dual_cndmask_b32 v22, v6, v22, s2
	s_delay_alu instid0(VALU_DEP_3) | instskip(NEXT) | instid1(VALU_DEP_3)
	v_dual_cndmask_b32 v27, v7, v27 :: v_dual_cndmask_b32 v26, v6, v26
	v_dual_cndmask_b32 v9, v7, v9 :: v_dual_cndmask_b32 v8, v6, v8
	s_wait_loadcnt_dscnt 0x0
	ds_store_b128 v16, v[18:21]
	flat_load_b128 v[18:21], v[22:23]
	s_wait_xcnt 0x0
	v_add_nc_u64_e32 v[22:23], 0x80, v[12:13]
	s_clause 0x1
	scratch_store_b32 off, v5, off
	scratch_store_b96 off, v[0:2], off offset:4
	v_dual_cndmask_b32 v23, v7, v23, s3 :: v_dual_cndmask_b32 v22, v6, v22, s3
	s_wait_loadcnt_dscnt 0x0
	ds_store_b128 v16, v[18:21] offset:1152
	flat_load_b128 v[18:21], v[22:23]
	s_wait_xcnt 0x0
	v_add_nc_u64_e32 v[22:23], 0x80, v[14:15]
	s_clause 0x1
	scratch_store_b32 off, v5, off
	scratch_store_b96 off, v[0:2], off offset:4
	v_dual_cndmask_b32 v23, v7, v23, s4 :: v_dual_cndmask_b32 v22, v6, v22, s4
	s_wait_loadcnt_dscnt 0x0
	ds_store_b128 v16, v[18:21] offset:2304
	flat_load_b128 v[18:21], v[22:23]
	s_wait_loadcnt_dscnt 0x0
	ds_store_b128 v16, v[18:21] offset:3456
	s_wait_storecnt_dscnt 0x0
	s_barrier_signal -1
	s_barrier_wait -1
	ds_load_b128 v[18:21], v72
	s_wait_xcnt 0x0
	ds_load_b128 v[22:25], v69 offset:128
	s_wait_dscnt 0x0
	;;#ASMSTART
	v_dot2_f32_f16 v4, v18, v22, v4
	;;#ASMEND
	;;#ASMSTART
	v_dot2_f32_f16 v4, v19, v23, v4
	;;#ASMEND
	;;#ASMSTART
	v_dot2_f32_f16 v4, v20, v24, v4
	;;#ASMEND
	;;#ASMSTART
	v_dot2_f32_f16 v4, v21, v25, v4
	;;#ASMEND
	ds_load_b128 v[18:21], v72 offset:16
	ds_load_b128 v[22:25], v69 offset:144
	s_wait_dscnt 0x0
	;;#ASMSTART
	v_dot2_f32_f16 v4, v18, v22, v4
	;;#ASMEND
	;;#ASMSTART
	v_dot2_f32_f16 v4, v19, v23, v4
	;;#ASMEND
	;;#ASMSTART
	v_dot2_f32_f16 v4, v20, v24, v4
	;;#ASMEND
	;;#ASMSTART
	v_dot2_f32_f16 v4, v21, v25, v4
	;;#ASMEND
	ds_load_b128 v[18:21], v72 offset:32
	;; [unrolled: 15-line block ×7, first 2 shown]
	ds_load_b128 v[22:25], v69 offset:240
	s_wait_dscnt 0x0
	;;#ASMSTART
	v_dot2_f32_f16 v4, v18, v22, v4
	;;#ASMEND
	;;#ASMSTART
	v_dot2_f32_f16 v4, v19, v23, v4
	;;#ASMEND
	;; [unrolled: 3-line block ×4, first 2 shown]
	s_barrier_signal -1
	s_barrier_wait -1
	s_clause 0x1
	scratch_store_b32 off, v5, off
	scratch_store_b96 off, v[0:2], off offset:4
	flat_load_b128 v[18:21], v[26:27]
	v_add_nc_u64_e32 v[22:23], 0x100, v[10:11]
	s_clause 0x1
	scratch_store_b32 off, v5, off
	scratch_store_b96 off, v[0:2], off offset:4
	v_dual_cndmask_b32 v23, v7, v23, s2 :: v_dual_cndmask_b32 v22, v6, v22, s2
	s_wait_loadcnt_dscnt 0x0
	ds_store_b128 v16, v[18:21]
	flat_load_b128 v[18:21], v[22:23]
	s_wait_xcnt 0x0
	v_add_nc_u64_e32 v[22:23], 0x100, v[12:13]
	s_clause 0x1
	scratch_store_b32 off, v5, off
	scratch_store_b96 off, v[0:2], off offset:4
	v_add_nc_u64_e32 v[12:13], 0x180, v[12:13]
	v_dual_cndmask_b32 v23, v7, v23, s3 :: v_dual_cndmask_b32 v22, v6, v22, s3
	s_delay_alu instid0(VALU_DEP_2)
	v_dual_cndmask_b32 v13, v7, v13, s3 :: v_dual_cndmask_b32 v12, v6, v12, s3
	s_wait_loadcnt_dscnt 0x0
	ds_store_b128 v16, v[18:21] offset:1152
	flat_load_b128 v[18:21], v[22:23]
	s_wait_xcnt 0x0
	v_add_nc_u64_e32 v[22:23], 0x100, v[14:15]
	s_clause 0x1
	scratch_store_b32 off, v5, off
	scratch_store_b96 off, v[0:2], off offset:4
	v_dual_cndmask_b32 v23, v7, v23, s4 :: v_dual_cndmask_b32 v22, v6, v22, s4
	s_wait_loadcnt_dscnt 0x0
	ds_store_b128 v16, v[18:21] offset:2304
	flat_load_b128 v[18:21], v[22:23]
	s_wait_loadcnt_dscnt 0x0
	ds_store_b128 v16, v[18:21] offset:3456
	s_wait_storecnt_dscnt 0x0
	s_barrier_signal -1
	s_barrier_wait -1
	ds_load_b128 v[18:21], v72
	s_wait_xcnt 0x0
	ds_load_b128 v[22:25], v69 offset:256
	s_wait_dscnt 0x0
	;;#ASMSTART
	v_dot2_f32_f16 v4, v18, v22, v4
	;;#ASMEND
	;;#ASMSTART
	v_dot2_f32_f16 v4, v19, v23, v4
	;;#ASMEND
	;;#ASMSTART
	v_dot2_f32_f16 v4, v20, v24, v4
	;;#ASMEND
	;;#ASMSTART
	v_dot2_f32_f16 v4, v21, v25, v4
	;;#ASMEND
	ds_load_b128 v[18:21], v72 offset:16
	ds_load_b128 v[22:25], v69 offset:272
	s_wait_dscnt 0x0
	;;#ASMSTART
	v_dot2_f32_f16 v4, v18, v22, v4
	;;#ASMEND
	;;#ASMSTART
	v_dot2_f32_f16 v4, v19, v23, v4
	;;#ASMEND
	;;#ASMSTART
	v_dot2_f32_f16 v4, v20, v24, v4
	;;#ASMEND
	;;#ASMSTART
	v_dot2_f32_f16 v4, v21, v25, v4
	;;#ASMEND
	ds_load_b128 v[18:21], v72 offset:32
	;; [unrolled: 15-line block ×7, first 2 shown]
	ds_load_b128 v[22:25], v69 offset:368
	s_wait_dscnt 0x0
	;;#ASMSTART
	v_dot2_f32_f16 v4, v18, v22, v4
	;;#ASMEND
	;;#ASMSTART
	v_dot2_f32_f16 v4, v19, v23, v4
	;;#ASMEND
	;; [unrolled: 3-line block ×4, first 2 shown]
	s_barrier_signal -1
	s_barrier_wait -1
	s_clause 0x1
	scratch_store_b32 off, v5, off
	scratch_store_b96 off, v[0:2], off offset:4
	flat_load_b128 v[18:21], v[8:9]
	s_wait_xcnt 0x0
	v_add_nc_u64_e32 v[8:9], 0x180, v[10:11]
	s_clause 0x1
	scratch_store_b32 off, v5, off
	scratch_store_b96 off, v[0:2], off offset:4
	v_dual_cndmask_b32 v9, v7, v9, s2 :: v_dual_cndmask_b32 v8, v6, v8, s2
	s_wait_loadcnt_dscnt 0x0
	ds_store_b128 v16, v[18:21]
	flat_load_b128 v[8:11], v[8:9]
	s_clause 0x1
	scratch_store_b32 off, v5, off
	scratch_store_b96 off, v[0:2], off offset:4
	s_wait_loadcnt_dscnt 0x0
	ds_store_b128 v16, v[8:11] offset:1152
	flat_load_b128 v[8:11], v[12:13]
	s_wait_xcnt 0x0
	v_add_nc_u64_e32 v[12:13], 0x180, v[14:15]
	s_clause 0x1
	scratch_store_b32 off, v5, off
	scratch_store_b96 off, v[0:2], off offset:4
                                        ; implicit-def: $vgpr0
	v_dual_cndmask_b32 v7, v7, v13, s4 :: v_dual_cndmask_b32 v6, v6, v12, s4
	s_wait_loadcnt_dscnt 0x0
	ds_store_b128 v16, v[8:11] offset:2304
	flat_load_b128 v[6:9], v[6:7]
	s_wait_loadcnt_dscnt 0x0
	ds_store_b128 v16, v[6:9] offset:3456
	s_wait_storecnt_dscnt 0x0
	s_barrier_signal -1
	s_barrier_wait -1
	s_wait_xcnt 0x0
	ds_load_b128 v[6:9], v72
	ds_load_b128 v[10:13], v69 offset:384
	s_wait_dscnt 0x0
	;;#ASMSTART
	v_dot2_f32_f16 v4, v6, v10, v4
	;;#ASMEND
	;;#ASMSTART
	v_dot2_f32_f16 v4, v7, v11, v4
	;;#ASMEND
	;;#ASMSTART
	v_dot2_f32_f16 v4, v8, v12, v4
	;;#ASMEND
	;;#ASMSTART
	v_dot2_f32_f16 v4, v9, v13, v4
	;;#ASMEND
	ds_load_b128 v[6:9], v72 offset:16
	ds_load_b128 v[10:13], v69 offset:400
	s_wait_dscnt 0x0
	;;#ASMSTART
	v_dot2_f32_f16 v4, v6, v10, v4
	;;#ASMEND
	;;#ASMSTART
	v_dot2_f32_f16 v4, v7, v11, v4
	;;#ASMEND
	;;#ASMSTART
	v_dot2_f32_f16 v4, v8, v12, v4
	;;#ASMEND
	;;#ASMSTART
	v_dot2_f32_f16 v4, v9, v13, v4
	;;#ASMEND
	ds_load_b128 v[6:9], v72 offset:32
	ds_load_b128 v[10:13], v69 offset:416
	s_wait_dscnt 0x0
	;;#ASMSTART
	v_dot2_f32_f16 v4, v6, v10, v4
	;;#ASMEND
	;;#ASMSTART
	v_dot2_f32_f16 v4, v7, v11, v4
	;;#ASMEND
	;;#ASMSTART
	v_dot2_f32_f16 v4, v8, v12, v4
	;;#ASMEND
	;;#ASMSTART
	v_dot2_f32_f16 v4, v9, v13, v4
	;;#ASMEND
	ds_load_b128 v[6:9], v72 offset:48
	ds_load_b128 v[10:13], v69 offset:432
	s_wait_dscnt 0x0
	;;#ASMSTART
	v_dot2_f32_f16 v4, v6, v10, v4
	;;#ASMEND
	;;#ASMSTART
	v_dot2_f32_f16 v4, v7, v11, v4
	;;#ASMEND
	;;#ASMSTART
	v_dot2_f32_f16 v4, v8, v12, v4
	;;#ASMEND
	;;#ASMSTART
	v_dot2_f32_f16 v4, v9, v13, v4
	;;#ASMEND
	ds_load_b128 v[6:9], v72 offset:64
	ds_load_b128 v[10:13], v69 offset:448
	s_wait_dscnt 0x0
	;;#ASMSTART
	v_dot2_f32_f16 v4, v6, v10, v4
	;;#ASMEND
	;;#ASMSTART
	v_dot2_f32_f16 v4, v7, v11, v4
	;;#ASMEND
	;;#ASMSTART
	v_dot2_f32_f16 v4, v8, v12, v4
	;;#ASMEND
	;;#ASMSTART
	v_dot2_f32_f16 v4, v9, v13, v4
	;;#ASMEND
	ds_load_b128 v[6:9], v72 offset:80
	ds_load_b128 v[10:13], v69 offset:464
	s_wait_dscnt 0x0
	;;#ASMSTART
	v_dot2_f32_f16 v4, v6, v10, v4
	;;#ASMEND
	;;#ASMSTART
	v_dot2_f32_f16 v4, v7, v11, v4
	;;#ASMEND
	;;#ASMSTART
	v_dot2_f32_f16 v4, v8, v12, v4
	;;#ASMEND
	;;#ASMSTART
	v_dot2_f32_f16 v4, v9, v13, v4
	;;#ASMEND
	ds_load_b128 v[6:9], v72 offset:96
	ds_load_b128 v[10:13], v69 offset:480
	s_wait_dscnt 0x0
	;;#ASMSTART
	v_dot2_f32_f16 v4, v6, v10, v4
	;;#ASMEND
	;;#ASMSTART
	v_dot2_f32_f16 v4, v7, v11, v4
	;;#ASMEND
	;;#ASMSTART
	v_dot2_f32_f16 v4, v8, v12, v4
	;;#ASMEND
	;;#ASMSTART
	v_dot2_f32_f16 v4, v9, v13, v4
	;;#ASMEND
	ds_load_b128 v[6:9], v72 offset:112
	ds_load_b128 v[10:13], v69 offset:496
	s_wait_dscnt 0x0
	;;#ASMSTART
	v_dot2_f32_f16 v4, v6, v10, v4
	;;#ASMEND
	;;#ASMSTART
	v_dot2_f32_f16 v4, v7, v11, v4
	;;#ASMEND
	;; [unrolled: 3-line block ×4, first 2 shown]
	v_cmp_ngt_f32_e64 s2, 0x3f200000, |v4|
	s_and_saveexec_b32 s3, s2
	s_delay_alu instid0(SALU_CYCLE_1)
	s_xor_b32 s2, exec_lo, s3
	s_cbranch_execz .LBB74_24
; %bb.23:
	v_add_f32_e64 v0, |v4|, |v4|
	s_delay_alu instid0(VALU_DEP_1) | instskip(SKIP_1) | instid1(VALU_DEP_2)
	v_mul_f32_e32 v1, 0x3fb8aa3b, v0
	v_cmp_ngt_f32_e32 vcc_lo, 0xc2ce8ed0, v0
	v_rndne_f32_e32 v2, v1
	v_fma_f32 v5, 0x3fb8aa3b, v0, -v1
	s_delay_alu instid0(VALU_DEP_2) | instskip(NEXT) | instid1(VALU_DEP_2)
	v_sub_f32_e32 v1, v1, v2
	v_fmamk_f32 v5, v0, 0x32a5705f, v5
	v_cvt_i32_f32_e32 v2, v2
	s_delay_alu instid0(VALU_DEP_2) | instskip(NEXT) | instid1(VALU_DEP_1)
	v_add_f32_e32 v1, v1, v5
	v_exp_f32_e32 v1, v1
	v_nop
	s_delay_alu instid0(TRANS32_DEP_1) | instskip(NEXT) | instid1(VALU_DEP_1)
	v_ldexp_f32 v1, v1, v2
	v_cndmask_b32_e32 v1, 0, v1, vcc_lo
	v_cmp_nlt_f32_e32 vcc_lo, 0x42b17218, v0
	s_delay_alu instid0(VALU_DEP_2) | instskip(NEXT) | instid1(VALU_DEP_1)
	v_cndmask_b32_e32 v0, 0x7f800000, v1, vcc_lo
	v_add_f32_e32 v0, 1.0, v0
	s_delay_alu instid0(VALU_DEP_1) | instskip(SKIP_1) | instid1(TRANS32_DEP_1)
	v_rcp_f32_e32 v0, v0
	v_nop
	v_fma_f32 v0, v0, -2.0, 1.0
.LBB74_24:
	s_and_not1_saveexec_b32 s2, s2
	s_cbranch_execz .LBB74_26
; %bb.25:
	v_mul_f32_e32 v0, v4, v4
	s_mov_b32 s3, 0xbbbac73d
	s_delay_alu instid0(VALU_DEP_1) | instid1(SALU_CYCLE_1)
	v_fmaak_f32 v1, s3, v0, 0x3ca908c9
	s_delay_alu instid0(VALU_DEP_1) | instskip(NEXT) | instid1(VALU_DEP_1)
	v_fmaak_f32 v1, v0, v1, 0xbd5c1c4e
	v_fmaak_f32 v1, v0, v1, 0x3e088382
	s_delay_alu instid0(VALU_DEP_1) | instskip(NEXT) | instid1(VALU_DEP_1)
	v_fmaak_f32 v1, v0, v1, 0xbeaaaa99
	v_mul_f32_e64 v1, |v4|, v1
	s_delay_alu instid0(VALU_DEP_1)
	v_fma_f32 v0, v0, v1, |v4|
.LBB74_26:
	s_or_b32 exec_lo, exec_lo, s2
	s_delay_alu instid0(VALU_DEP_1) | instskip(SKIP_1) | instid1(VALU_DEP_1)
	v_bfi_b32 v0, 0x7fffffff, v0, v4
	s_mov_b32 s2, exec_lo
	v_dual_mov_b32 v1, v46 :: v_dual_mul_f32 v0, s35, v0
	v_cmpx_gt_i32_e64 s7, v87
	s_cbranch_execz .LBB74_31
; %bb.27:
	s_cmp_eq_u64 s[30:31], 0
	s_cbranch_scc1 .LBB74_29
; %bb.28:
	v_mul_lo_u32 v1, v74, s34
	s_delay_alu instid0(VALU_DEP_1) | instskip(SKIP_3) | instid1(VALU_DEP_1)
	v_add3_u32 v1, v1, v87, s14
	global_load_u16 v1, v1, s[30:31] scale_offset
	s_wait_loadcnt 0x0
	v_cvt_f32_f16_e32 v1, v1
	v_mul_f32_e32 v1, v49, v1
	s_branch .LBB74_30
.LBB74_29:
	v_mov_b32_e32 v1, 0
.LBB74_30:
	s_delay_alu instid0(VALU_DEP_1) | instskip(NEXT) | instid1(VALU_DEP_1)
	v_dual_add_f32 v0, v0, v1 :: v_dual_max_num_f32 v2, v46, v46
	v_add_f32_e32 v1, 0x40051340, v0
	s_delay_alu instid0(VALU_DEP_1)
	v_max_num_f32_e32 v1, v2, v1
.LBB74_31:
	s_or_b32 exec_lo, exec_lo, s2
	v_xor_b32_e32 v92, 16, v90
	v_xor_b32_e32 v93, 4, v90
	v_xor_b32_e32 v95, 1, v90
	v_xor_b32_e32 v94, 2, v90
	s_ashr_i32 s11, s10, 31
	v_cmp_gt_i32_e32 vcc_lo, 32, v92
	s_mul_u64 s[2:3], s[14:15], s[10:11]
	v_dual_add_nc_u32 v101, 2, v68 :: v_dual_add_nc_u32 v103, 4, v68
	s_lshl_b64 s[2:3], s[2:3], 2
	v_dual_cndmask_b32 v2, v90, v92, vcc_lo :: v_dual_bitop2_b32 v91, 8, v90 bitop3:0x14
	s_add_nc_u64 s[20:21], s[8:9], s[2:3]
	s_mov_b32 s4, 0
	v_cmp_gt_i32_e64 s3, s7, v68
	s_mov_b32 s6, s4
	v_cmp_gt_i32_e32 vcc_lo, 32, v91
	v_lshlrev_b32_e32 v2, 2, v2
	s_mov_b32 s5, s4
	s_delay_alu instid0(SALU_CYCLE_1)
	v_dual_mov_b32 v74, s6 :: v_dual_mov_b32 v73, s5
	v_cndmask_b32_e32 v4, v90, v91, vcc_lo
	ds_bpermute_b32 v2, v2, v1
	v_max_num_f32_e32 v1, v1, v1
	v_cmp_gt_i32_e32 vcc_lo, 32, v93
	s_wait_dscnt 0x0
	s_barrier_signal -1
	s_barrier_wait -1
	v_lshl_add_u32 v104, v101, 9, v76
	v_lshl_add_u32 v106, v103, 9, v76
	v_lshlrev_b32_e32 v4, 2, v4
	v_dual_ashrrev_i32 v45, 31, v44 :: v_dual_lshlrev_b32 v5, 1, v87
	v_lshlrev_b32_e32 v98, 6, v68
	s_delay_alu instid0(VALU_DEP_2) | instskip(SKIP_1) | instid1(VALU_DEP_1)
	v_lshlrev_b64_e32 v[56:57], 2, v[44:45]
	v_max_num_f32_e32 v2, v2, v2
	v_max_num_f32_e32 v1, v1, v2
	ds_bpermute_b32 v2, v4, v1
	v_cndmask_b32_e32 v4, v90, v93, vcc_lo
	v_cmp_gt_i32_e32 vcc_lo, 32, v94
	s_wait_dscnt 0x0
	s_delay_alu instid0(VALU_DEP_2) | instskip(NEXT) | instid1(VALU_DEP_1)
	v_dual_lshlrev_b32 v4, 2, v4 :: v_dual_max_num_f32 v2, v2, v2
	v_max_num_f32_e32 v1, v1, v2
	ds_bpermute_b32 v2, v4, v1
	v_cndmask_b32_e32 v4, v90, v94, vcc_lo
	v_cmp_gt_i32_e32 vcc_lo, 32, v95
	s_wait_dscnt 0x0
	s_delay_alu instid0(VALU_DEP_2) | instskip(NEXT) | instid1(VALU_DEP_1)
	v_dual_lshlrev_b32 v4, 2, v4 :: v_dual_max_num_f32 v2, v2, v2
	v_max_num_f32_e32 v1, v1, v2
	ds_bpermute_b32 v2, v4, v1
	v_cndmask_b32_e32 v4, v90, v95, vcc_lo
	s_wait_dscnt 0x0
	s_delay_alu instid0(VALU_DEP_1) | instskip(NEXT) | instid1(VALU_DEP_1)
	v_dual_lshlrev_b32 v4, 2, v4 :: v_dual_max_num_f32 v2, v2, v2
	v_max_num_f32_e32 v1, v1, v2
	ds_bpermute_b32 v2, v4, v1
	s_wait_dscnt 0x0
	v_max_num_f32_e32 v2, v2, v2
	s_delay_alu instid0(VALU_DEP_1) | instskip(NEXT) | instid1(VALU_DEP_1)
	v_max_num_f32_e32 v96, v1, v2
	v_sub_f32_e32 v2, v0, v96
	s_delay_alu instid0(VALU_DEP_1) | instskip(SKIP_2) | instid1(VALU_DEP_3)
	v_mul_f32_e32 v0, 0x3fb8aa3b, v2
	v_cmp_ngt_f32_e32 vcc_lo, 0xc2ce8ed0, v2
	v_cmp_nlt_f32_e64 s2, 0x42b17218, v2
	v_fma_f32 v1, 0x3fb8aa3b, v2, -v0
	v_rndne_f32_e32 v4, v0
	s_delay_alu instid0(VALU_DEP_1) | instskip(NEXT) | instid1(VALU_DEP_1)
	v_dual_fmac_f32 v1, 0x32a5705f, v2 :: v_dual_sub_f32 v0, v0, v4
	v_dual_mov_b32 v2, 0 :: v_dual_add_f32 v0, v0, v1
	v_cvt_i32_f32_e32 v1, v4
	s_delay_alu instid0(VALU_DEP_2) | instskip(SKIP_4) | instid1(TRANS32_DEP_1)
	v_add_nc_u64_e32 v[78:79], src_flat_scratch_base_lo, v[2:3]
	v_add3_u32 v2, 0x1600, v98, v5
	v_add_nc_u32_e32 v105, 6, v68
	v_exp_f32_e32 v0, v0
	v_nop
	v_ldexp_f32 v4, v0, v1
	v_add_nc_u64_e32 v[0:1], s[20:21], v[56:57]
	s_delay_alu instid0(VALU_DEP_2) | instskip(SKIP_1) | instid1(VALU_DEP_2)
	v_cndmask_b32_e32 v4, 0, v4, vcc_lo
	v_cmp_gt_u32_e32 vcc_lo, s7, v87
	v_cndmask_b32_e64 v4, 0x7f800000, v4, s2
	s_lshl_b32 s2, s10, 1
	s_delay_alu instid0(VALU_DEP_1) | instskip(SKIP_2) | instid1(VALU_DEP_3)
	v_dual_mov_b32 v77, 0 :: v_dual_cndmask_b32 v97, 0, v4, vcc_lo
	v_cmp_gt_i32_e32 vcc_lo, s7, v101
	v_add_nc_u32_e32 v4, s2, v44
	v_add_nc_u64_e32 v[0:1], v[0:1], v[76:77]
	v_mov_b32_e32 v72, s4
	v_cvt_f16_f32_e32 v3, v97
	s_add_co_i32 s4, s7, -8
	s_delay_alu instid0(VALU_DEP_3)
	v_dual_ashrrev_i32 v5, 31, v4 :: v_dual_cndmask_b32 v1, v79, v1, s3
	s_clause 0x1
	scratch_store_b32 off, v77, off
	scratch_store_b96 off, v[72:74], off offset:4
	v_lshlrev_b64_e32 v[80:81], 2, v[4:5]
	ds_store_b16 v2, v3
	v_add_nc_u64_e32 v[6:7], s[20:21], v[80:81]
	s_delay_alu instid0(VALU_DEP_1) | instskip(NEXT) | instid1(VALU_DEP_1)
	v_add_nc_u64_e32 v[6:7], v[6:7], v[76:77]
	v_dual_cndmask_b32 v0, v78, v0, s3 :: v_dual_cndmask_b32 v7, v79, v7, vcc_lo
	flat_load_b128 v[0:3], v[0:1]
	v_cndmask_b32_e32 v6, v78, v6, vcc_lo
	v_cmp_gt_i32_e32 vcc_lo, s7, v103
	v_add_nc_u32_e32 v102, v47, v76
	s_clause 0x1
	scratch_store_b32 off, v77, off
	scratch_store_b96 off, v[72:74], off offset:4
	v_add_nc_u32_e32 v4, s2, v4
	s_delay_alu instid0(VALU_DEP_1) | instskip(NEXT) | instid1(VALU_DEP_1)
	v_ashrrev_i32_e32 v5, 31, v4
	v_lshlrev_b64_e32 v[82:83], 2, v[4:5]
	s_wait_loadcnt_dscnt 0x0
	ds_store_b128 v102, v[0:3]
	flat_load_b128 v[0:3], v[6:7]
	s_wait_xcnt 0x0
	v_add_nc_u64_e32 v[6:7], s[20:21], v[82:83]
	s_clause 0x1
	scratch_store_b32 off, v77, off
	scratch_store_b96 off, v[72:74], off offset:4
	v_add_nc_u64_e32 v[6:7], v[6:7], v[76:77]
	s_delay_alu instid0(VALU_DEP_1) | instskip(SKIP_3) | instid1(SALU_CYCLE_1)
	v_dual_cndmask_b32 v7, v79, v7 :: v_dual_cndmask_b32 v6, v78, v6
	v_cmp_gt_i32_e32 vcc_lo, s7, v105
	v_add_nc_u32_e32 v4, s2, v4
	s_or_b32 s2, s14, 8
	s_ashr_i32 s3, s2, 31
	s_delay_alu instid0(VALU_DEP_1) | instskip(SKIP_1) | instid1(SALU_CYCLE_1)
	v_ashrrev_i32_e32 v5, 31, v4
	s_mul_u64 s[2:3], s[2:3], s[10:11]
	s_lshl_b64 s[2:3], s[2:3], 2
	s_delay_alu instid0(VALU_DEP_1) | instskip(SKIP_1) | instid1(SALU_CYCLE_1)
	v_lshlrev_b64_e32 v[84:85], 2, v[4:5]
	s_add_nc_u64 s[2:3], s[8:9], s[2:3]
	v_add_nc_u64_e32 v[42:43], s[2:3], v[80:81]
	s_delay_alu instid0(VALU_DEP_2) | instskip(NEXT) | instid1(VALU_DEP_2)
	v_add_nc_u64_e32 v[4:5], s[20:21], v[84:85]
	v_add_nc_u64_e32 v[42:43], v[42:43], v[76:77]
	s_delay_alu instid0(VALU_DEP_2) | instskip(NEXT) | instid1(VALU_DEP_1)
	v_add_nc_u64_e32 v[4:5], v[4:5], v[76:77]
	v_dual_cndmask_b32 v5, v79, v5 :: v_dual_cndmask_b32 v4, v78, v4
	v_cmp_gt_i32_e32 vcc_lo, s4, v68
	s_wait_loadcnt_dscnt 0x0
	ds_store_b128 v104, v[0:3]
	flat_load_b128 v[0:3], v[6:7]
	s_clause 0x1
	scratch_store_b32 off, v77, off
	scratch_store_b96 off, v[72:74], off offset:4
	s_wait_loadcnt_dscnt 0x0
	ds_store_b128 v106, v[0:3]
	flat_load_b128 v[0:3], v[4:5]
	s_wait_xcnt 0x0
	v_add_nc_u64_e32 v[4:5], s[2:3], v[56:57]
	s_delay_alu instid0(VALU_DEP_1) | instskip(NEXT) | instid1(VALU_DEP_1)
	v_add_nc_u64_e32 v[4:5], v[4:5], v[76:77]
	v_dual_cndmask_b32 v16, v78, v4 :: v_dual_add_nc_u32 v99, 0x800, v89
	s_delay_alu instid0(VALU_DEP_2)
	v_cndmask_b32_e32 v17, v79, v5, vcc_lo
	v_lshl_add_u32 v100, v105, 9, v76
	v_cmp_gt_i32_e32 vcc_lo, s4, v101
	v_dual_cndmask_b32 v43, v79, v43 :: v_dual_cndmask_b32 v42, v78, v42
	v_cmp_gt_i32_e32 vcc_lo, s4, v103
	s_wait_loadcnt_dscnt 0x0
	ds_store_b128 v100, v[0:3]
	s_wait_storecnt_dscnt 0x0
	s_barrier_signal -1
	s_barrier_wait -1
	ds_load_2addr_b64 v[36:39], v89 offset1:32
	ds_load_b128 v[8:11], v98 offset:5632
	ds_load_2addr_b64 v[32:35], v89 offset0:64 offset1:96
	ds_load_2addr_b64 v[28:31], v89 offset0:128 offset1:160
	;; [unrolled: 1-line block ×3, first 2 shown]
	ds_load_2addr_b64 v[20:23], v99 offset1:32
	ds_load_2addr_b64 v[12:15], v99 offset0:64 offset1:96
	ds_load_2addr_b64 v[4:7], v99 offset0:128 offset1:160
	;; [unrolled: 1-line block ×3, first 2 shown]
	s_wait_dscnt 0x0
	s_barrier_signal -1
	s_barrier_wait -1
	s_clause 0x1
	scratch_store_b32 off, v77, off
	scratch_store_b96 off, v[72:74], off offset:4
	flat_load_b128 v[16:19], v[16:17]
	s_clause 0x1
	scratch_store_b32 off, v77, off
	scratch_store_b96 off, v[72:74], off offset:4
	s_wait_loadcnt_dscnt 0x0
	ds_store_b128 v102, v[16:19]
	flat_load_b128 v[16:19], v[42:43]
	s_wait_xcnt 0x0
	v_add_nc_u64_e32 v[42:43], s[2:3], v[82:83]
	s_clause 0x1
	scratch_store_b32 off, v77, off
	scratch_store_b96 off, v[72:74], off offset:4
	v_add_nc_u64_e32 v[42:43], v[42:43], v[76:77]
	s_delay_alu instid0(VALU_DEP_1)
	v_dual_cndmask_b32 v43, v79, v43 :: v_dual_cndmask_b32 v42, v78, v42
	v_cmp_gt_i32_e32 vcc_lo, s4, v105
	s_wait_loadcnt_dscnt 0x0
	ds_store_b128 v104, v[16:19]
	flat_load_b128 v[16:19], v[42:43]
	s_wait_xcnt 0x0
	v_add_nc_u64_e32 v[42:43], s[2:3], v[84:85]
	s_clause 0x1
	scratch_store_b32 off, v77, off
	scratch_store_b96 off, v[72:74], off offset:4
	s_or_b32 s2, s14, 16
	s_delay_alu instid0(SALU_CYCLE_1) | instskip(NEXT) | instid1(SALU_CYCLE_1)
	s_ashr_i32 s3, s2, 31
	s_mul_u64 s[4:5], s[2:3], s[10:11]
	v_add_nc_u64_e32 v[42:43], v[42:43], v[76:77]
	s_lshl_b64 s[4:5], s[4:5], 2
	s_add_co_i32 s3, s7, -16
	s_add_nc_u64 s[4:5], s[8:9], s[4:5]
	s_delay_alu instid0(VALU_DEP_1)
	v_dual_cndmask_b32 v43, v79, v43 :: v_dual_cndmask_b32 v42, v78, v42
	s_wait_loadcnt_dscnt 0x0
	ds_store_b128 v106, v[16:19]
	flat_load_b128 v[16:19], v[42:43]
	s_wait_xcnt 0x0
	v_sub_f32_e32 v42, v46, v96
	s_delay_alu instid0(VALU_DEP_1) | instskip(NEXT) | instid1(VALU_DEP_1)
	v_mul_f32_e32 v43, 0x3fb8aa3b, v42
	v_fma_f32 v44, 0x3fb8aa3b, v42, -v43
	v_rndne_f32_e32 v45, v43
	s_delay_alu instid0(VALU_DEP_1) | instskip(SKIP_2) | instid1(VALU_DEP_3)
	v_dual_sub_f32 v43, v43, v45 :: v_dual_fmac_f32 v44, 0x32a5705f, v42
	v_cmp_ngt_f32_e32 vcc_lo, 0xc2ce8ed0, v42
	v_cmp_nlt_f32_e64 s2, 0x42b17218, v42
	v_add_f32_e32 v43, v43, v44
	v_cvt_i32_f32_e32 v44, v45
	s_delay_alu instid0(VALU_DEP_2) | instskip(SKIP_1) | instid1(TRANS32_DEP_1)
	v_exp_f32_e32 v43, v43
	v_nop
	v_ldexp_f32 v43, v43, v44
	v_add_nc_u64_e32 v[44:45], s[4:5], v[80:81]
	s_delay_alu instid0(VALU_DEP_1) | instskip(NEXT) | instid1(VALU_DEP_3)
	v_add_nc_u64_e32 v[44:45], v[44:45], v[76:77]
	v_cndmask_b32_e32 v42, 0, v43, vcc_lo
	v_cmp_gt_i32_e32 vcc_lo, s3, v68
	s_delay_alu instid0(VALU_DEP_2) | instskip(SKIP_2) | instid1(VALU_DEP_3)
	v_cndmask_b32_e64 v107, 0x7f800000, v42, s2
	v_add_nc_u64_e32 v[42:43], s[4:5], v[56:57]
	v_cmp_gt_i32_e64 s2, s3, v101
	v_cvt_f16_f32_e32 v46, v107
	v_fmac_f32_e32 v97, v75, v107
	s_delay_alu instid0(VALU_DEP_3) | instskip(SKIP_3) | instid1(VALU_DEP_3)
	v_cndmask_b32_e64 v53, v79, v45, s2
	v_add_nc_u64_e32 v[42:43], v[42:43], v[76:77]
	v_and_b32_e32 v45, 0xffff, v10
	v_and_b32_e32 v46, 0xffff, v46
	v_dual_mov_b32 v75, v97 :: v_dual_cndmask_b32 v55, v79, v43, vcc_lo
	v_and_b32_e32 v43, 0xffff, v8
	s_delay_alu instid0(VALU_DEP_3)
	v_mul_u32_u24_e32 v46, 0x10001, v46
	v_cndmask_b32_e32 v54, v78, v42, vcc_lo
	v_cmp_gt_i32_e32 vcc_lo, s3, v103
	v_lshrrev_b32_e32 v8, 16, v8
	v_mul_u32_u24_e32 v42, 0x10001, v43
	v_pk_mul_f16 v41, v41, v46
	v_pk_mul_f16 v40, v40, v46
	v_and_b32_e32 v43, 0xffff, v9
	v_mul_u32_u24_e32 v8, 0x10001, v8
	v_pk_mul_f16 v36, v36, v42
	v_pk_mul_f16 v37, v37, v42
	v_pk_fma_f16 v38, v38, v42, v41
	v_pk_fma_f16 v39, v39, v42, v40
	v_lshrrev_b32_e32 v9, 16, v9
	v_pk_fma_f16 v36, v71, v46, v36
	v_pk_fma_f16 v37, v70, v46, v37
	v_mul_u32_u24_e32 v40, 0x10001, v43
	v_pk_fma_f16 v34, v34, v8, v38
	v_pk_fma_f16 v35, v35, v8, v39
	v_pk_fma_f16 v32, v32, v8, v36
	v_pk_fma_f16 v8, v33, v8, v37
	v_mul_u32_u24_e32 v9, 0x10001, v9
	v_pk_fma_f16 v30, v30, v40, v34
	v_pk_fma_f16 v31, v31, v40, v35
	;; [unrolled: 5-line block ×3, first 2 shown]
	v_pk_fma_f16 v24, v24, v9, v28
	v_pk_fma_f16 v9, v25, v9, v8
	v_cndmask_b32_e64 v52, v78, v44, s2
	v_pk_fma_f16 v58, v22, v29, v26
	v_pk_fma_f16 v59, v23, v29, v27
	;; [unrolled: 1-line block ×4, first 2 shown]
	v_cmp_gt_i32_e64 s2, s3, v105
	s_wait_loadcnt_dscnt 0x0
	ds_store_b128 v100, v[16:19]
	s_wait_storecnt_dscnt 0x0
	s_barrier_signal -1
	s_barrier_wait -1
	ds_load_2addr_b64 v[44:47], v89 offset1:32
	ds_load_b128 v[48:51], v98 offset:5648
	ds_load_2addr_b64 v[40:43], v89 offset0:64 offset1:96
	ds_load_2addr_b64 v[36:39], v89 offset0:128 offset1:160
	;; [unrolled: 1-line block ×3, first 2 shown]
	ds_load_2addr_b64 v[28:31], v99 offset1:32
	ds_load_2addr_b64 v[24:27], v99 offset0:64 offset1:96
	ds_load_2addr_b64 v[20:23], v99 offset0:128 offset1:160
	;; [unrolled: 1-line block ×3, first 2 shown]
	s_wait_dscnt 0x0
	s_barrier_signal -1
	s_barrier_wait -1
	s_clause 0x1
	scratch_store_b32 off, v77, off
	scratch_store_b96 off, v[72:74], off offset:4
	flat_load_b128 v[60:63], v[54:55]
	s_clause 0x1
	scratch_store_b32 off, v77, off
	scratch_store_b96 off, v[72:74], off offset:4
	s_wait_loadcnt_dscnt 0x0
	ds_store_b128 v102, v[60:63]
	flat_load_b128 v[52:55], v[52:53]
	v_add_nc_u64_e32 v[60:61], s[4:5], v[82:83]
	s_wait_loadcnt_dscnt 0x0
	ds_store_b128 v104, v[52:55]
	s_wait_xcnt 0x0
	v_add_nc_u64_e32 v[52:53], s[4:5], v[84:85]
	v_add_nc_u64_e32 v[54:55], v[60:61], v[76:77]
	s_clause 0x1
	scratch_store_b32 off, v77, off
	scratch_store_b96 off, v[72:74], off offset:4
	s_sub_co_i32 s4, s7, 24
	v_add_nc_u64_e32 v[52:53], v[52:53], v[76:77]
	v_dual_cndmask_b32 v55, v79, v55 :: v_dual_cndmask_b32 v54, v78, v54
	v_cmp_gt_i32_e32 vcc_lo, s4, v68
	s_delay_alu instid0(VALU_DEP_3)
	v_dual_cndmask_b32 v61, v79, v53, s2 :: v_dual_cndmask_b32 v60, v78, v52, s2
	flat_load_b128 v[52:55], v[54:55]
	s_clause 0x1
	scratch_store_b32 off, v77, off
	scratch_store_b96 off, v[72:74], off offset:4
	s_or_b32 s2, s14, 24
	s_delay_alu instid0(SALU_CYCLE_1) | instskip(NEXT) | instid1(SALU_CYCLE_1)
	s_ashr_i32 s3, s2, 31
	s_mul_u64 s[2:3], s[2:3], s[10:11]
	s_delay_alu instid0(SALU_CYCLE_1) | instskip(NEXT) | instid1(SALU_CYCLE_1)
	s_lshl_b64 s[2:3], s[2:3], 2
	s_add_nc_u64 s[2:3], s[8:9], s[2:3]
	s_delay_alu instid0(SALU_CYCLE_1) | instskip(SKIP_1) | instid1(VALU_DEP_2)
	v_add_nc_u64_e32 v[56:57], s[2:3], v[56:57]
	v_add_nc_u64_e32 v[80:81], s[2:3], v[80:81]
	;; [unrolled: 1-line block ×3, first 2 shown]
	v_lshrrev_b32_e32 v10, 16, v10
	s_delay_alu instid0(VALU_DEP_3) | instskip(NEXT) | instid1(VALU_DEP_3)
	v_add_nc_u64_e32 v[80:81], v[80:81], v[76:77]
	v_cndmask_b32_e32 v109, v79, v57, vcc_lo
	s_delay_alu instid0(VALU_DEP_3) | instskip(SKIP_3) | instid1(VALU_DEP_4)
	v_mul_u32_u24_e32 v10, 0x10001, v10
	v_cndmask_b32_e32 v108, v78, v56, vcc_lo
	v_cmp_gt_i32_e32 vcc_lo, s4, v101
	v_and_b32_e32 v101, 0xffff, v51
	v_pk_fma_f16 v14, v14, v10, v58
	v_pk_fma_f16 v15, v15, v10, v59
	;; [unrolled: 1-line block ×4, first 2 shown]
	v_dual_cndmask_b32 v81, v79, v81 :: v_dual_cndmask_b32 v80, v78, v80
	v_cmp_gt_i32_e32 vcc_lo, s4, v103
	s_wait_loadcnt_dscnt 0x0
	ds_store_b128 v106, v[52:55]
	flat_load_b128 v[52:55], v[60:61]
	s_wait_xcnt 0x0
	v_and_b32_e32 v60, 0xffff, v11
	v_lshrrev_b32_e32 v11, 16, v11
	s_delay_alu instid0(VALU_DEP_2) | instskip(NEXT) | instid1(VALU_DEP_2)
	v_mul_u32_u24_e32 v57, 0x10001, v60
	v_mul_u32_u24_e32 v10, 0x10001, v11
	s_delay_alu instid0(VALU_DEP_2) | instskip(SKIP_3) | instid1(VALU_DEP_4)
	v_pk_fma_f16 v6, v6, v57, v14
	v_pk_fma_f16 v7, v7, v57, v15
	;; [unrolled: 1-line block ×5, first 2 shown]
	s_delay_alu instid0(VALU_DEP_4) | instskip(NEXT) | instid1(VALU_DEP_4)
	v_pk_fma_f16 v113, v3, v10, v7
	v_pk_fma_f16 v114, v0, v10, v4
	s_delay_alu instid0(VALU_DEP_4)
	v_pk_fma_f16 v115, v1, v10, v5
	s_wait_loadcnt_dscnt 0x0
	ds_store_b128 v100, v[52:55]
	s_wait_storecnt_dscnt 0x0
	s_barrier_signal -1
	s_barrier_wait -1
	ds_load_2addr_b64 v[64:67], v89 offset1:32
	ds_load_b128 v[68:71], v98 offset:5664
	ds_load_2addr_b64 v[60:63], v89 offset0:64 offset1:96
	ds_load_2addr_b64 v[56:59], v89 offset0:128 offset1:160
	;; [unrolled: 1-line block ×3, first 2 shown]
	ds_load_2addr_b64 v[12:15], v99 offset1:32
	ds_load_2addr_b64 v[8:11], v99 offset0:64 offset1:96
	ds_load_2addr_b64 v[4:7], v99 offset0:128 offset1:160
	;; [unrolled: 1-line block ×3, first 2 shown]
	s_wait_dscnt 0x0
	s_barrier_signal -1
	s_barrier_wait -1
	s_clause 0x1
	scratch_store_b32 off, v77, off
	scratch_store_b96 off, v[72:74], off offset:4
	flat_load_b128 v[108:111], v[108:109]
	s_wait_loadcnt_dscnt 0x0
	ds_store_b128 v102, v[108:111]
	s_clause 0x1
	scratch_store_b32 off, v77, off
	scratch_store_b96 off, v[72:74], off offset:4
	flat_load_b128 v[108:111], v[80:81]
	s_wait_xcnt 0x0
	v_add_nc_u64_e32 v[80:81], s[2:3], v[82:83]
	s_delay_alu instid0(VALU_DEP_1) | instskip(NEXT) | instid1(VALU_DEP_1)
	v_add_nc_u64_e32 v[80:81], v[80:81], v[76:77]
	v_dual_cndmask_b32 v81, v79, v81 :: v_dual_cndmask_b32 v80, v78, v80
	v_cmp_gt_i32_e32 vcc_lo, s4, v105
	s_wait_loadcnt_dscnt 0x0
	ds_store_b128 v104, v[108:111]
	s_clause 0x1
	scratch_store_b32 off, v77, off
	scratch_store_b96 off, v[72:74], off offset:4
	flat_load_b128 v[80:83], v[80:81]
	s_wait_loadcnt_dscnt 0x0
	ds_store_b128 v106, v[80:83]
	s_wait_xcnt 0x0
	v_add_nc_u64_e32 v[80:81], s[2:3], v[84:85]
	s_clause 0x1
	scratch_store_b32 off, v77, off
	scratch_store_b96 off, v[72:74], off offset:4
	v_dual_lshrrev_b32 v82, 16, v50 :: v_dual_lshrrev_b32 v83, 16, v51
	v_and_b32_e32 v84, 0xffff, v49
	v_and_b32_e32 v85, 0xffff, v50
	v_add_nc_u64_e32 v[80:81], v[80:81], v[76:77]
	v_and_b32_e32 v76, 0xffff, v48
	s_wait_xcnt 0x0
	s_delay_alu instid0(VALU_DEP_1) | instskip(NEXT) | instid1(VALU_DEP_3)
	v_mul_u32_u24_e32 v72, 0x10001, v76
	v_dual_cndmask_b32 v79, v79, v81 :: v_dual_cndmask_b32 v78, v78, v80
	v_dual_lshrrev_b32 v80, 16, v48 :: v_dual_lshrrev_b32 v81, 16, v49
	s_delay_alu instid0(VALU_DEP_3)
	v_pk_fma_f16 v46, v46, v72, v112
	v_pk_fma_f16 v44, v44, v72, v114
	flat_load_b128 v[48:51], v[78:79]
	v_mul_u32_u24_e32 v73, 0x10001, v80
	v_pk_fma_f16 v45, v45, v72, v115
	v_pk_fma_f16 v47, v47, v72, v113
	v_mul_u32_u24_e32 v72, 0x10001, v84
	s_delay_alu instid0(VALU_DEP_4)
	v_pk_fma_f16 v42, v42, v73, v46
	v_pk_fma_f16 v40, v40, v73, v44
	v_pk_fma_f16 v41, v41, v73, v45
	v_mul_u32_u24_e32 v44, 0x10001, v81
	v_pk_fma_f16 v43, v43, v73, v47
	v_pk_fma_f16 v38, v38, v72, v42
	v_pk_fma_f16 v36, v36, v72, v40
	v_pk_fma_f16 v37, v37, v72, v41
	v_mul_u32_u24_e32 v40, 0x10001, v85
	v_pk_fma_f16 v39, v39, v72, v43
	;; [unrolled: 5-line block ×5, first 2 shown]
	v_pk_fma_f16 v22, v22, v32, v26
	v_pk_fma_f16 v24, v20, v32, v24
	v_pk_fma_f16 v21, v21, v32, v25
	v_mov_b32_e32 v20, 32
	v_pk_fma_f16 v23, v23, v32, v27
	v_pk_fma_f16 v18, v18, v28, v22
	v_and_b32_e32 v22, 0xffff, v68
	v_pk_fma_f16 v16, v16, v28, v24
	v_pk_fma_f16 v17, v17, v28, v21
	v_lshrrev_b32_e32 v21, 16, v68
	v_pk_fma_f16 v19, v19, v28, v23
	v_mul_u32_u24_e32 v22, 0x10001, v22
	v_and_b32_e32 v26, 0xffff, v69
	v_dual_lshrrev_b32 v23, 16, v69 :: v_dual_lshrrev_b32 v24, 16, v70
	v_mul_u32_u24_e32 v21, 0x10001, v21
	s_delay_alu instid0(VALU_DEP_4)
	v_pk_fma_f16 v16, v64, v22, v16
	v_pk_fma_f16 v17, v65, v22, v17
	v_mul_u32_u24_e32 v26, 0x10001, v26
	v_pk_fma_f16 v18, v66, v22, v18
	v_pk_fma_f16 v19, v67, v22, v19
	;; [unrolled: 1-line block ×4, first 2 shown]
	v_and_b32_e32 v27, 0xffff, v70
	v_mul_u32_u24_e32 v23, 0x10001, v23
	v_pk_fma_f16 v18, v62, v21, v18
	v_pk_fma_f16 v19, v63, v21, v19
	;; [unrolled: 1-line block ×4, first 2 shown]
	v_mul_u32_u24_e32 v22, 0x10001, v27
	v_pk_fma_f16 v18, v58, v26, v18
	v_pk_fma_f16 v19, v59, v26, v19
	;; [unrolled: 1-line block ×4, first 2 shown]
	v_and_b32_e32 v28, 0xffff, v71
	v_mul_u32_u24_e32 v21, 0x10001, v24
	v_pk_fma_f16 v18, v54, v23, v18
	v_pk_fma_f16 v19, v55, v23, v19
	;; [unrolled: 1-line block ×4, first 2 shown]
	v_dual_mov_b32 v46, v96 :: v_dual_lshrrev_b32 v25, 16, v71
	v_mul_u32_u24_e32 v24, 0x10001, v28
	v_pk_fma_f16 v17, v14, v22, v18
	v_pk_fma_f16 v18, v15, v22, v19
	;; [unrolled: 1-line block ×4, first 2 shown]
	v_mul_u32_u24_e32 v16, 0x10001, v25
	v_pk_fma_f16 v10, v10, v21, v17
	v_pk_fma_f16 v11, v11, v21, v18
	;; [unrolled: 1-line block ×4, first 2 shown]
	s_delay_alu instid0(VALU_DEP_4) | instskip(NEXT) | instid1(VALU_DEP_4)
	v_pk_fma_f16 v8, v6, v24, v10
	v_pk_fma_f16 v9, v7, v24, v11
	s_delay_alu instid0(VALU_DEP_4) | instskip(NEXT) | instid1(VALU_DEP_4)
	v_pk_fma_f16 v21, v0, v16, v4
	v_pk_fma_f16 v38, v1, v16, v5
	;; [unrolled: 3-line block ×3, first 2 shown]
	s_wait_loadcnt_dscnt 0x0
	ds_store_b128 v100, v[48:51]
	s_wait_storecnt_dscnt 0x0
	s_barrier_signal -1
	s_barrier_wait -1
	ds_load_b128 v[12:15], v98 offset:5680
	ds_load_2addr_b64 v[4:7], v89 offset1:32
	ds_load_2addr_b64 v[0:3], v89 offset0:64 offset1:96
	ds_load_2addr_b64 v[8:11], v89 offset0:128 offset1:160
	;; [unrolled: 1-line block ×3, first 2 shown]
	ds_load_2addr_b64 v[22:25], v99 offset1:32
	ds_load_2addr_b64 v[26:29], v99 offset0:64 offset1:96
	ds_load_2addr_b64 v[30:33], v99 offset0:128 offset1:160
	;; [unrolled: 1-line block ×3, first 2 shown]
	s_wait_dscnt 0x0
	s_barrier_signal -1
	s_barrier_wait -1
	v_and_b32_e32 v41, 0xffff, v12
	v_dual_lshrrev_b32 v12, 16, v12 :: v_dual_lshrrev_b32 v42, 16, v13
	v_and_b32_e32 v13, 0xffff, v13
	v_dual_lshrrev_b32 v43, 16, v14 :: v_dual_lshrrev_b32 v44, 16, v15
	s_delay_alu instid0(VALU_DEP_4) | instskip(NEXT) | instid1(VALU_DEP_4)
	v_mul_u32_u24_e32 v41, 0x10001, v41
	v_mul_u32_u24_e32 v12, 0x10001, v12
	s_delay_alu instid0(VALU_DEP_4)
	v_mul_u32_u24_e32 v13, 0x10001, v13
	v_and_b32_e32 v14, 0xffff, v14
	v_and_b32_e32 v15, 0xffff, v15
	v_pk_fma_f16 v4, v4, v41, v21
	v_pk_fma_f16 v5, v5, v41, v38
	;; [unrolled: 1-line block ×4, first 2 shown]
	s_delay_alu instid0(VALU_DEP_4) | instskip(NEXT) | instid1(VALU_DEP_4)
	v_pk_fma_f16 v0, v0, v12, v4
	v_pk_fma_f16 v1, v1, v12, v5
	s_delay_alu instid0(VALU_DEP_4) | instskip(NEXT) | instid1(VALU_DEP_4)
	v_pk_fma_f16 v2, v2, v12, v6
	v_pk_fma_f16 v3, v3, v12, v7
	v_mul_u32_u24_e32 v4, 0x10001, v42
	v_pk_fma_f16 v0, v8, v13, v0
	v_pk_fma_f16 v1, v9, v13, v1
	v_pk_fma_f16 v2, v10, v13, v2
	v_pk_fma_f16 v3, v11, v13, v3
	v_mul_u32_u24_e32 v5, 0x10001, v14
	v_pk_fma_f16 v0, v16, v4, v0
	v_pk_fma_f16 v1, v17, v4, v1
	;; [unrolled: 5-line block ×5, first 2 shown]
	v_pk_fma_f16 v2, v32, v5, v2
	v_pk_fma_f16 v3, v33, v5, v3
	s_delay_alu instid0(VALU_DEP_4) | instskip(NEXT) | instid1(VALU_DEP_4)
	v_pk_fma_f16 v71, v34, v4, v0
	v_pk_fma_f16 v70, v35, v4, v1
	s_delay_alu instid0(VALU_DEP_4) | instskip(NEXT) | instid1(VALU_DEP_4)
	v_pk_fma_f16 v41, v36, v4, v2
	v_pk_fma_f16 v40, v37, v4, v3
.LBB74_32:
	v_cmp_lt_i32_e32 vcc_lo, v92, v20
	s_cmp_eq_u64 s[12:13], 0
	s_cselect_b32 s2, -1, 0
	s_cmp_lg_u32 s24, 0
	v_cndmask_b32_e32 v0, v90, v92, vcc_lo
	v_cmp_lt_i32_e32 vcc_lo, v91, v20
	s_cselect_b32 s3, -1, 0
	s_delay_alu instid0(SALU_CYCLE_1) | instskip(NEXT) | instid1(VALU_DEP_2)
	s_or_b32 s2, s3, s2
	v_dual_cndmask_b32 v1, v90, v91 :: v_dual_lshlrev_b32 v0, 2, v0
	v_cmp_lt_i32_e32 vcc_lo, v93, v20
	s_delay_alu instid0(VALU_DEP_2)
	v_lshlrev_b32_e32 v1, 2, v1
	ds_bpermute_b32 v0, v0, v75
	v_cndmask_b32_e32 v2, v90, v93, vcc_lo
	v_cmp_lt_i32_e32 vcc_lo, v94, v20
	s_wait_dscnt 0x0
	v_add_f32_e32 v0, v75, v0
	ds_bpermute_b32 v1, v1, v0
	s_wait_dscnt 0x0
	v_dual_lshlrev_b32 v2, 2, v2 :: v_dual_add_f32 v0, v0, v1
	ds_bpermute_b32 v1, v2, v0
	v_cndmask_b32_e32 v2, v90, v94, vcc_lo
	v_cmp_lt_i32_e32 vcc_lo, v95, v20
	s_wait_dscnt 0x0
	s_delay_alu instid0(VALU_DEP_2) | instskip(SKIP_4) | instid1(VALU_DEP_1)
	v_dual_add_f32 v0, v0, v1 :: v_dual_lshlrev_b32 v2, 2, v2
	ds_bpermute_b32 v1, v2, v0
	s_wait_dscnt 0x0
	v_dual_add_f32 v0, v0, v1 :: v_dual_cndmask_b32 v2, v90, v95, vcc_lo
	s_and_b32 vcc_lo, exec_lo, s2
	v_lshlrev_b32_e32 v2, 2, v2
	ds_bpermute_b32 v1, v2, v0
	s_wait_dscnt 0x0
	v_add_f32_e32 v47, v0, v1
	s_cbranch_vccnz .LBB74_35
; %bb.33:
	v_mov_b32_e32 v0, s33
	global_load_b32 v1, v0, s[12:13] scale_offset
	s_wait_loadcnt 0x0
	v_dual_max_num_f32 v0, v46, v46 :: v_dual_max_num_f32 v2, v1, v1
	s_delay_alu instid0(VALU_DEP_1) | instskip(NEXT) | instid1(VALU_DEP_1)
	v_max_num_f32_e32 v0, v0, v2
	v_sub_f32_e32 v2, v46, v0
	s_delay_alu instid0(VALU_DEP_1) | instskip(SKIP_2) | instid1(VALU_DEP_3)
	v_mul_f32_e32 v3, 0x3fb8aa3b, v2
	v_sub_f32_e32 v1, v1, v0
	v_cmp_ngt_f32_e32 vcc_lo, 0xc2ce8ed0, v2
	v_fma_f32 v4, 0x3fb8aa3b, v2, -v3
	v_rndne_f32_e32 v5, v3
	s_delay_alu instid0(VALU_DEP_1) | instskip(SKIP_2) | instid1(VALU_DEP_3)
	v_dual_fmac_f32 v4, 0x32a5705f, v2 :: v_dual_sub_f32 v3, v3, v5
	v_mul_f32_e32 v6, 0x3fb8aa3b, v1
	v_cvt_i32_f32_e32 v5, v5
	v_add_f32_e32 v3, v3, v4
	s_delay_alu instid0(VALU_DEP_3) | instskip(SKIP_1) | instid1(VALU_DEP_3)
	v_fma_f32 v4, 0x3fb8aa3b, v1, -v6
	v_rndne_f32_e32 v7, v6
	v_exp_f32_e32 v3, v3
	v_nop
	s_delay_alu instid0(TRANS32_DEP_1) | instskip(NEXT) | instid1(VALU_DEP_3)
	v_ldexp_f32 v3, v3, v5
	v_cvt_i32_f32_e32 v5, v7
	s_delay_alu instid0(VALU_DEP_2) | instskip(SKIP_1) | instid1(VALU_DEP_2)
	v_cndmask_b32_e32 v3, 0, v3, vcc_lo
	v_cmp_nlt_f32_e32 vcc_lo, 0x42b17218, v2
	v_cndmask_b32_e32 v2, 0x7f800000, v3, vcc_lo
	v_sub_f32_e32 v6, v6, v7
	v_cmp_ngt_f32_e32 vcc_lo, 0xc2ce8ed0, v1
	v_fmac_f32_e32 v4, 0x32a5705f, v1
	s_delay_alu instid0(VALU_DEP_1) | instskip(NEXT) | instid1(VALU_DEP_1)
	v_add_f32_e32 v4, v6, v4
	v_exp_f32_e32 v4, v4
	v_nop
	s_delay_alu instid0(TRANS32_DEP_1) | instskip(SKIP_1) | instid1(VALU_DEP_2)
	v_ldexp_f32 v3, v4, v5
	v_cvt_f16_f32_e32 v4, v2
	v_cndmask_b32_e32 v3, 0, v3, vcc_lo
	v_cmp_nlt_f32_e32 vcc_lo, 0x42b17218, v1
	s_delay_alu instid0(VALU_DEP_3) | instskip(NEXT) | instid1(VALU_DEP_3)
	v_and_b32_e32 v4, 0xffff, v4
	v_cndmask_b32_e32 v1, 0x7f800000, v3, vcc_lo
	s_delay_alu instid0(VALU_DEP_2) | instskip(NEXT) | instid1(VALU_DEP_2)
	v_mul_u32_u24_e32 v3, 0x10001, v4
	v_fmac_f32_e32 v1, v47, v2
	s_delay_alu instid0(VALU_DEP_2)
	v_pk_mul_f16 v71, v71, v3
	v_pk_mul_f16 v70, v70, v3
	;; [unrolled: 1-line block ×4, first 2 shown]
	v_mov_b64_e32 v[46:47], v[0:1]
	s_mov_b32 s2, exec_lo
	v_cmpx_gt_i32_e64 s22, v86
	s_cbranch_execnz .LBB74_36
.LBB74_34:
	s_sendmsg sendmsg(MSG_DEALLOC_VGPRS)
	s_endpgm
.LBB74_35:
	s_delay_alu instid0(VALU_DEP_1)
	v_mov_b32_e32 v1, v47
	s_mov_b32 s2, exec_lo
	s_wait_xcnt 0x0
	v_cmpx_gt_i32_e64 s22, v86
	s_cbranch_execz .LBB74_34
.LBB74_36:
	v_div_scale_f32 v2, null, v1, v1, 1.0
	v_mad_u32 v0, s28, s22, v86
	s_load_b32 s1, s[0:1], 0xd4
	v_div_scale_f32 v7, vcc_lo, 1.0, v1, 1.0
	s_delay_alu instid0(VALU_DEP_3)
	v_rcp_f32_e32 v5, v2
	v_lshrrev_b32_e32 v16, 16, v41
	v_cvt_f32_f16_e32 v6, v70
	v_cvt_f32_f16_e32 v8, v41
	;; [unrolled: 1-line block ×3, first 2 shown]
	s_wait_xcnt 0x0
	v_cmp_eq_u32_e64 s0, 0, v87
	v_lshrrev_b32_e32 v11, 16, v71
	v_fma_f32 v3, -v2, v5, 1.0
	v_mad_u32 v0, v0, s23, s33
	v_dual_lshrrev_b32 v15, 16, v70 :: v_dual_lshrrev_b32 v17, 16, v40
	s_delay_alu instid0(VALU_DEP_3) | instskip(NEXT) | instid1(VALU_DEP_1)
	v_dual_fmac_f32 v5, v3, v5 :: v_dual_mov_b32 v3, 0
	v_mul_f32_e32 v9, v7, v5
	s_wait_kmcnt 0x0
	s_cmp_lg_u32 s1, 1
	s_delay_alu instid0(VALU_DEP_4) | instskip(SKIP_3) | instid1(VALU_DEP_1)
	v_mad_u32 v0, s1, v0, s24
	s_cselect_b32 s1, -1, 0
	v_fma_f32 v4, -v2, v9, v7
	s_and_b32 s0, s0, s1
	v_fmac_f32_e32 v9, v4, v5
	v_cvt_f32_f16_e32 v4, v71
	s_delay_alu instid0(VALU_DEP_2) | instskip(NEXT) | instid1(VALU_DEP_1)
	v_fma_f32 v2, -v2, v9, v7
	v_div_fmas_f32 v7, v2, v5, v9
	v_lshl_add_u32 v2, v0, 8, v88
	v_cvt_f32_f16_e32 v5, v11
	v_cvt_f32_f16_e32 v9, v16
	;; [unrolled: 1-line block ×3, first 2 shown]
	v_div_fixup_f32 v1, v7, v1, 1.0
	v_lshl_add_u64 v[12:13], v[2:3], 2, s[16:17]
	v_add_nc_u32_e32 v2, 0x80, v2
	v_cvt_f32_f16_e32 v7, v15
	s_delay_alu instid0(VALU_DEP_4) | instskip(NEXT) | instid1(VALU_DEP_3)
	v_cndmask_b32_e64 v14, v1, 1.0, s1
	v_lshl_add_u64 v[16:17], v[2:3], 2, s[16:17]
	s_delay_alu instid0(VALU_DEP_2) | instskip(NEXT) | instid1(VALU_DEP_4)
	v_pk_mul_f32 v[2:3], v[14:15], v[4:5] op_sel_hi:[0,1]
	v_pk_mul_f32 v[4:5], v[14:15], v[6:7] op_sel_hi:[0,1]
	;; [unrolled: 1-line block ×4, first 2 shown]
	s_clause 0x1
	global_store_b128 v[12:13], v[2:5], off
	global_store_b128 v[16:17], v[6:9], off
	s_wait_xcnt 0x0
	s_and_b32 exec_lo, exec_lo, s0
	s_cbranch_execz .LBB74_34
; %bb.37:
	global_store_b64 v0, v[46:47], s[18:19] scale_offset
	s_sendmsg sendmsg(MSG_DEALLOC_VGPRS)
	s_endpgm
	.section	.rodata,"a",@progbits
	.p2align	6, 0x0
	.amdhsa_kernel _ZL15flash_attn_tileILi256ELi256ELi2ELi1ELb1EEvPKcS1_S1_S1_S1_PKiPfP15HIP_vector_typeIfLj2EEffffjfiS5_IjLj3EEiiiiiiiiiiiliiliiiiil
		.amdhsa_group_segment_fixed_size 5760
		.amdhsa_private_segment_fixed_size 32
		.amdhsa_kernarg_size 464
		.amdhsa_user_sgpr_count 2
		.amdhsa_user_sgpr_dispatch_ptr 0
		.amdhsa_user_sgpr_queue_ptr 0
		.amdhsa_user_sgpr_kernarg_segment_ptr 1
		.amdhsa_user_sgpr_dispatch_id 0
		.amdhsa_user_sgpr_kernarg_preload_length 0
		.amdhsa_user_sgpr_kernarg_preload_offset 0
		.amdhsa_user_sgpr_private_segment_size 0
		.amdhsa_wavefront_size32 1
		.amdhsa_uses_dynamic_stack 0
		.amdhsa_enable_private_segment 1
		.amdhsa_system_sgpr_workgroup_id_x 1
		.amdhsa_system_sgpr_workgroup_id_y 1
		.amdhsa_system_sgpr_workgroup_id_z 1
		.amdhsa_system_sgpr_workgroup_info 0
		.amdhsa_system_vgpr_workitem_id 1
		.amdhsa_next_free_vgpr 116
		.amdhsa_next_free_sgpr 47
		.amdhsa_named_barrier_count 0
		.amdhsa_reserve_vcc 1
		.amdhsa_float_round_mode_32 0
		.amdhsa_float_round_mode_16_64 0
		.amdhsa_float_denorm_mode_32 3
		.amdhsa_float_denorm_mode_16_64 3
		.amdhsa_fp16_overflow 0
		.amdhsa_memory_ordered 1
		.amdhsa_forward_progress 1
		.amdhsa_inst_pref_size 121
		.amdhsa_round_robin_scheduling 0
		.amdhsa_exception_fp_ieee_invalid_op 0
		.amdhsa_exception_fp_denorm_src 0
		.amdhsa_exception_fp_ieee_div_zero 0
		.amdhsa_exception_fp_ieee_overflow 0
		.amdhsa_exception_fp_ieee_underflow 0
		.amdhsa_exception_fp_ieee_inexact 0
		.amdhsa_exception_int_div_zero 0
	.end_amdhsa_kernel
	.section	.text._ZL15flash_attn_tileILi256ELi256ELi2ELi1ELb1EEvPKcS1_S1_S1_S1_PKiPfP15HIP_vector_typeIfLj2EEffffjfiS5_IjLj3EEiiiiiiiiiiiliiliiiiil,"axG",@progbits,_ZL15flash_attn_tileILi256ELi256ELi2ELi1ELb1EEvPKcS1_S1_S1_S1_PKiPfP15HIP_vector_typeIfLj2EEffffjfiS5_IjLj3EEiiiiiiiiiiiliiliiiiil,comdat
.Lfunc_end74:
	.size	_ZL15flash_attn_tileILi256ELi256ELi2ELi1ELb1EEvPKcS1_S1_S1_S1_PKiPfP15HIP_vector_typeIfLj2EEffffjfiS5_IjLj3EEiiiiiiiiiiiliiliiiiil, .Lfunc_end74-_ZL15flash_attn_tileILi256ELi256ELi2ELi1ELb1EEvPKcS1_S1_S1_S1_PKiPfP15HIP_vector_typeIfLj2EEffffjfiS5_IjLj3EEiiiiiiiiiiiliiliiiiil
                                        ; -- End function
	.set _ZL15flash_attn_tileILi256ELi256ELi2ELi1ELb1EEvPKcS1_S1_S1_S1_PKiPfP15HIP_vector_typeIfLj2EEffffjfiS5_IjLj3EEiiiiiiiiiiiliiliiiiil.num_vgpr, 116
	.set _ZL15flash_attn_tileILi256ELi256ELi2ELi1ELb1EEvPKcS1_S1_S1_S1_PKiPfP15HIP_vector_typeIfLj2EEffffjfiS5_IjLj3EEiiiiiiiiiiiliiliiiiil.num_agpr, 0
	.set _ZL15flash_attn_tileILi256ELi256ELi2ELi1ELb1EEvPKcS1_S1_S1_S1_PKiPfP15HIP_vector_typeIfLj2EEffffjfiS5_IjLj3EEiiiiiiiiiiiliiliiiiil.numbered_sgpr, 47
	.set _ZL15flash_attn_tileILi256ELi256ELi2ELi1ELb1EEvPKcS1_S1_S1_S1_PKiPfP15HIP_vector_typeIfLj2EEffffjfiS5_IjLj3EEiiiiiiiiiiiliiliiiiil.num_named_barrier, 0
	.set _ZL15flash_attn_tileILi256ELi256ELi2ELi1ELb1EEvPKcS1_S1_S1_S1_PKiPfP15HIP_vector_typeIfLj2EEffffjfiS5_IjLj3EEiiiiiiiiiiiliiliiiiil.private_seg_size, 32
	.set _ZL15flash_attn_tileILi256ELi256ELi2ELi1ELb1EEvPKcS1_S1_S1_S1_PKiPfP15HIP_vector_typeIfLj2EEffffjfiS5_IjLj3EEiiiiiiiiiiiliiliiiiil.uses_vcc, 1
	.set _ZL15flash_attn_tileILi256ELi256ELi2ELi1ELb1EEvPKcS1_S1_S1_S1_PKiPfP15HIP_vector_typeIfLj2EEffffjfiS5_IjLj3EEiiiiiiiiiiiliiliiiiil.uses_flat_scratch, 1
	.set _ZL15flash_attn_tileILi256ELi256ELi2ELi1ELb1EEvPKcS1_S1_S1_S1_PKiPfP15HIP_vector_typeIfLj2EEffffjfiS5_IjLj3EEiiiiiiiiiiiliiliiiiil.has_dyn_sized_stack, 0
	.set _ZL15flash_attn_tileILi256ELi256ELi2ELi1ELb1EEvPKcS1_S1_S1_S1_PKiPfP15HIP_vector_typeIfLj2EEffffjfiS5_IjLj3EEiiiiiiiiiiiliiliiiiil.has_recursion, 0
	.set _ZL15flash_attn_tileILi256ELi256ELi2ELi1ELb1EEvPKcS1_S1_S1_S1_PKiPfP15HIP_vector_typeIfLj2EEffffjfiS5_IjLj3EEiiiiiiiiiiiliiliiiiil.has_indirect_call, 0
	.section	.AMDGPU.csdata,"",@progbits
; Kernel info:
; codeLenInByte = 15376
; TotalNumSgprs: 49
; NumVgprs: 116
; ScratchSize: 32
; MemoryBound: 0
; FloatMode: 240
; IeeeMode: 1
; LDSByteSize: 5760 bytes/workgroup (compile time only)
; SGPRBlocks: 0
; VGPRBlocks: 7
; NumSGPRsForWavesPerEU: 49
; NumVGPRsForWavesPerEU: 116
; NamedBarCnt: 0
; Occupancy: 8
; WaveLimiterHint : 1
; COMPUTE_PGM_RSRC2:SCRATCH_EN: 1
; COMPUTE_PGM_RSRC2:USER_SGPR: 2
; COMPUTE_PGM_RSRC2:TRAP_HANDLER: 0
; COMPUTE_PGM_RSRC2:TGID_X_EN: 1
; COMPUTE_PGM_RSRC2:TGID_Y_EN: 1
; COMPUTE_PGM_RSRC2:TGID_Z_EN: 1
; COMPUTE_PGM_RSRC2:TIDIG_COMP_CNT: 1
	.section	.AMDGPU.gpr_maximums,"",@progbits
	.set amdgpu.max_num_vgpr, 0
	.set amdgpu.max_num_agpr, 0
	.set amdgpu.max_num_sgpr, 0
	.section	.AMDGPU.csdata,"",@progbits
	.type	__hip_cuid_e6ecc0d5ae3378d3,@object ; @__hip_cuid_e6ecc0d5ae3378d3
	.section	.bss,"aw",@nobits
	.globl	__hip_cuid_e6ecc0d5ae3378d3
__hip_cuid_e6ecc0d5ae3378d3:
	.byte	0                               ; 0x0
	.size	__hip_cuid_e6ecc0d5ae3378d3, 1

	.ident	"AMD clang version 22.0.0git (https://github.com/RadeonOpenCompute/llvm-project roc-7.2.4 26084 f58b06dce1f9c15707c5f808fd002e18c2accf7e)"
	.section	".note.GNU-stack","",@progbits
	.addrsig
	.addrsig_sym __hip_cuid_e6ecc0d5ae3378d3
	.amdgpu_metadata
---
amdhsa.kernels:
  - .args:
      - .address_space:  global
        .offset:         0
        .size:           8
        .value_kind:     global_buffer
      - .address_space:  global
        .offset:         8
        .size:           8
        .value_kind:     global_buffer
      - .address_space:  global
        .offset:         16
        .size:           8
        .value_kind:     global_buffer
      - .address_space:  global
        .offset:         24
        .size:           8
        .value_kind:     global_buffer
      - .address_space:  global
        .offset:         32
        .size:           8
        .value_kind:     global_buffer
      - .address_space:  global
        .offset:         40
        .size:           8
        .value_kind:     global_buffer
      - .address_space:  global
        .offset:         48
        .size:           8
        .value_kind:     global_buffer
      - .address_space:  global
        .offset:         56
        .size:           8
        .value_kind:     global_buffer
      - .offset:         64
        .size:           4
        .value_kind:     by_value
      - .offset:         68
        .size:           4
        .value_kind:     by_value
      - .offset:         72
        .size:           4
        .value_kind:     by_value
      - .offset:         76
        .size:           4
        .value_kind:     by_value
      - .offset:         80
        .size:           4
        .value_kind:     by_value
      - .offset:         84
        .size:           4
        .value_kind:     by_value
      - .offset:         88
        .size:           4
        .value_kind:     by_value
      - .offset:         92
        .size:           12
        .value_kind:     by_value
      - .offset:         104
        .size:           4
        .value_kind:     by_value
      - .offset:         108
        .size:           4
        .value_kind:     by_value
      - .offset:         112
        .size:           4
        .value_kind:     by_value
      - .offset:         116
        .size:           4
        .value_kind:     by_value
      - .offset:         120
        .size:           4
        .value_kind:     by_value
      - .offset:         124
        .size:           4
        .value_kind:     by_value
      - .offset:         128
        .size:           4
        .value_kind:     by_value
      - .offset:         132
        .size:           4
        .value_kind:     by_value
      - .offset:         136
        .size:           4
        .value_kind:     by_value
      - .offset:         140
        .size:           4
        .value_kind:     by_value
      - .offset:         144
        .size:           4
        .value_kind:     by_value
      - .offset:         152
        .size:           8
        .value_kind:     by_value
      - .offset:         160
        .size:           4
        .value_kind:     by_value
      - .offset:         164
        .size:           4
        .value_kind:     by_value
      - .offset:         168
        .size:           8
        .value_kind:     by_value
      - .offset:         176
        .size:           4
        .value_kind:     by_value
      - .offset:         180
        .size:           4
        .value_kind:     by_value
      - .offset:         184
        .size:           4
        .value_kind:     by_value
      - .offset:         188
        .size:           4
        .value_kind:     by_value
      - .offset:         192
        .size:           4
        .value_kind:     by_value
      - .offset:         200
        .size:           8
        .value_kind:     by_value
      - .offset:         208
        .size:           4
        .value_kind:     hidden_block_count_x
      - .offset:         212
        .size:           4
        .value_kind:     hidden_block_count_y
      - .offset:         216
        .size:           4
        .value_kind:     hidden_block_count_z
      - .offset:         220
        .size:           2
        .value_kind:     hidden_group_size_x
      - .offset:         222
        .size:           2
        .value_kind:     hidden_group_size_y
      - .offset:         224
        .size:           2
        .value_kind:     hidden_group_size_z
      - .offset:         226
        .size:           2
        .value_kind:     hidden_remainder_x
      - .offset:         228
        .size:           2
        .value_kind:     hidden_remainder_y
      - .offset:         230
        .size:           2
        .value_kind:     hidden_remainder_z
      - .offset:         248
        .size:           8
        .value_kind:     hidden_global_offset_x
      - .offset:         256
        .size:           8
        .value_kind:     hidden_global_offset_y
      - .offset:         264
        .size:           8
        .value_kind:     hidden_global_offset_z
      - .offset:         272
        .size:           2
        .value_kind:     hidden_grid_dims
    .group_segment_fixed_size: 37888
    .kernarg_segment_align: 8
    .kernarg_segment_size: 464
    .language:       OpenCL C
    .language_version:
      - 2
      - 0
    .max_flat_workgroup_size: 256
    .name:           _ZL15flash_attn_tileILi256ELi256ELi4ELi8ELb0EEvPKcS1_S1_S1_S1_PKiPfP15HIP_vector_typeIfLj2EEffffjfiS5_IjLj3EEiiiiiiiiiiiliiliiiiil
    .private_segment_fixed_size: 0
    .sgpr_count:     44
    .sgpr_spill_count: 0
    .symbol:         _ZL15flash_attn_tileILi256ELi256ELi4ELi8ELb0EEvPKcS1_S1_S1_S1_PKiPfP15HIP_vector_typeIfLj2EEffffjfiS5_IjLj3EEiiiiiiiiiiiliiliiiiil.kd
    .uniform_work_group_size: 1
    .uses_dynamic_stack: false
    .vgpr_count:     137
    .vgpr_spill_count: 0
    .wavefront_size: 32
  - .args:
      - .actual_access:  read_only
        .address_space:  global
        .offset:         0
        .size:           8
        .value_kind:     global_buffer
      - .actual_access:  write_only
        .address_space:  global
        .offset:         8
        .size:           8
        .value_kind:     global_buffer
      - .offset:         16
        .size:           4
        .value_kind:     by_value
      - .offset:         20
        .size:           4
        .value_kind:     by_value
      - .offset:         24
        .size:           4
        .value_kind:     by_value
      - .offset:         32
        .size:           4
        .value_kind:     hidden_block_count_x
      - .offset:         36
        .size:           4
        .value_kind:     hidden_block_count_y
      - .offset:         40
        .size:           4
        .value_kind:     hidden_block_count_z
      - .offset:         44
        .size:           2
        .value_kind:     hidden_group_size_x
      - .offset:         46
        .size:           2
        .value_kind:     hidden_group_size_y
      - .offset:         48
        .size:           2
        .value_kind:     hidden_group_size_z
      - .offset:         50
        .size:           2
        .value_kind:     hidden_remainder_x
      - .offset:         52
        .size:           2
        .value_kind:     hidden_remainder_y
      - .offset:         54
        .size:           2
        .value_kind:     hidden_remainder_z
      - .offset:         72
        .size:           8
        .value_kind:     hidden_global_offset_x
      - .offset:         80
        .size:           8
        .value_kind:     hidden_global_offset_y
      - .offset:         88
        .size:           8
        .value_kind:     hidden_global_offset_z
      - .offset:         96
        .size:           2
        .value_kind:     hidden_grid_dims
    .group_segment_fixed_size: 128
    .kernarg_segment_align: 8
    .kernarg_segment_size: 288
    .language:       OpenCL C
    .language_version:
      - 2
      - 0
    .max_flat_workgroup_size: 128
    .name:           _ZL25flash_attn_mask_to_KV_maxILi4EEvPK7__half2Piiii
    .private_segment_fixed_size: 0
    .sgpr_count:     21
    .sgpr_spill_count: 0
    .symbol:         _ZL25flash_attn_mask_to_KV_maxILi4EEvPK7__half2Piiii.kd
    .uniform_work_group_size: 1
    .uses_dynamic_stack: false
    .vgpr_count:     6
    .vgpr_spill_count: 0
    .wavefront_size: 32
  - .args:
      - .address_space:  global
        .offset:         0
        .size:           8
        .value_kind:     global_buffer
      - .address_space:  global
        .offset:         8
        .size:           8
        .value_kind:     global_buffer
      - .offset:         16
        .size:           4
        .value_kind:     by_value
      - .offset:         20
        .size:           4
        .value_kind:     by_value
      - .offset:         24
        .size:           4
        .value_kind:     by_value
      - .offset:         28
        .size:           4
        .value_kind:     by_value
      - .offset:         32
        .size:           4
        .value_kind:     by_value
      - .offset:         36
        .size:           4
        .value_kind:     by_value
      - .offset:         40
        .size:           12
        .value_kind:     by_value
      - .offset:         52
        .size:           12
        .value_kind:     by_value
      - .offset:         64
        .size:           12
        .value_kind:     by_value
    .group_segment_fixed_size: 0
    .kernarg_segment_align: 8
    .kernarg_segment_size: 76
    .language:       OpenCL C
    .language_version:
      - 2
      - 0
    .max_flat_workgroup_size: 256
    .name:           _ZL33flash_attn_stream_k_fixup_uniformILi256ELi4ELi8EEvPfPK15HIP_vector_typeIfLj2EEiiiiiiS1_IjLj3EES5_S5_
    .private_segment_fixed_size: 0
    .sgpr_count:     23
    .sgpr_spill_count: 0
    .symbol:         _ZL33flash_attn_stream_k_fixup_uniformILi256ELi4ELi8EEvPfPK15HIP_vector_typeIfLj2EEiiiiiiS1_IjLj3EES5_S5_.kd
    .uniform_work_group_size: 1
    .uses_dynamic_stack: false
    .vgpr_count:     12
    .vgpr_spill_count: 0
    .wavefront_size: 32
  - .args:
      - .address_space:  global
        .offset:         0
        .size:           8
        .value_kind:     global_buffer
      - .address_space:  global
        .offset:         8
        .size:           8
        .value_kind:     global_buffer
      - .offset:         16
        .size:           4
        .value_kind:     by_value
      - .offset:         20
        .size:           4
        .value_kind:     by_value
      - .offset:         24
        .size:           4
        .value_kind:     by_value
      - .offset:         28
        .size:           4
        .value_kind:     by_value
      - .offset:         32
        .size:           12
        .value_kind:     by_value
      - .offset:         44
        .size:           12
        .value_kind:     by_value
      - .offset:         56
        .size:           12
        .value_kind:     by_value
      - .offset:         68
        .size:           12
        .value_kind:     by_value
      - .offset:         80
        .size:           4
        .value_kind:     hidden_block_count_x
      - .offset:         84
        .size:           4
        .value_kind:     hidden_block_count_y
      - .offset:         88
        .size:           4
        .value_kind:     hidden_block_count_z
      - .offset:         92
        .size:           2
        .value_kind:     hidden_group_size_x
      - .offset:         94
        .size:           2
        .value_kind:     hidden_group_size_y
      - .offset:         96
        .size:           2
        .value_kind:     hidden_group_size_z
      - .offset:         98
        .size:           2
        .value_kind:     hidden_remainder_x
      - .offset:         100
        .size:           2
        .value_kind:     hidden_remainder_y
      - .offset:         102
        .size:           2
        .value_kind:     hidden_remainder_z
      - .offset:         120
        .size:           8
        .value_kind:     hidden_global_offset_x
      - .offset:         128
        .size:           8
        .value_kind:     hidden_global_offset_y
      - .offset:         136
        .size:           8
        .value_kind:     hidden_global_offset_z
      - .offset:         144
        .size:           2
        .value_kind:     hidden_grid_dims
    .group_segment_fixed_size: 0
    .kernarg_segment_align: 8
    .kernarg_segment_size: 336
    .language:       OpenCL C
    .language_version:
      - 2
      - 0
    .max_flat_workgroup_size: 256
    .name:           _ZL33flash_attn_stream_k_fixup_generalILi256ELi4ELi8EEvPfPK15HIP_vector_typeIfLj2EEiiiiS1_IjLj3EES5_S5_S5_
    .private_segment_fixed_size: 0
    .sgpr_count:     48
    .sgpr_spill_count: 0
    .symbol:         _ZL33flash_attn_stream_k_fixup_generalILi256ELi4ELi8EEvPfPK15HIP_vector_typeIfLj2EEiiiiS1_IjLj3EES5_S5_S5_.kd
    .uniform_work_group_size: 1
    .uses_dynamic_stack: false
    .vgpr_count:     12
    .vgpr_spill_count: 0
    .wavefront_size: 32
  - .args:
      - .address_space:  global
        .offset:         0
        .size:           8
        .value_kind:     global_buffer
      - .address_space:  global
        .offset:         8
        .size:           8
        .value_kind:     global_buffer
      - .address_space:  global
        .offset:         16
        .size:           8
        .value_kind:     global_buffer
      - .offset:         24
        .size:           4
        .value_kind:     by_value
      - .offset:         32
        .size:           4
        .value_kind:     hidden_block_count_x
      - .offset:         36
        .size:           4
        .value_kind:     hidden_block_count_y
      - .offset:         40
        .size:           4
        .value_kind:     hidden_block_count_z
      - .offset:         44
        .size:           2
        .value_kind:     hidden_group_size_x
      - .offset:         46
        .size:           2
        .value_kind:     hidden_group_size_y
      - .offset:         48
        .size:           2
        .value_kind:     hidden_group_size_z
      - .offset:         50
        .size:           2
        .value_kind:     hidden_remainder_x
      - .offset:         52
        .size:           2
        .value_kind:     hidden_remainder_y
      - .offset:         54
        .size:           2
        .value_kind:     hidden_remainder_z
      - .offset:         72
        .size:           8
        .value_kind:     hidden_global_offset_x
      - .offset:         80
        .size:           8
        .value_kind:     hidden_global_offset_y
      - .offset:         88
        .size:           8
        .value_kind:     hidden_global_offset_z
      - .offset:         96
        .size:           2
        .value_kind:     hidden_grid_dims
      - .offset:         152
        .size:           4
        .value_kind:     hidden_dynamic_lds_size
    .group_segment_fixed_size: 0
    .kernarg_segment_align: 8
    .kernarg_segment_size: 288
    .language:       OpenCL C
    .language_version:
      - 2
      - 0
    .max_flat_workgroup_size: 256
    .name:           _ZL26flash_attn_combine_resultsILi256EEvPKfPK15HIP_vector_typeIfLj2EEPfi
    .private_segment_fixed_size: 0
    .sgpr_count:     45
    .sgpr_spill_count: 0
    .symbol:         _ZL26flash_attn_combine_resultsILi256EEvPKfPK15HIP_vector_typeIfLj2EEPfi.kd
    .uniform_work_group_size: 1
    .uses_dynamic_stack: false
    .vgpr_count:     36
    .vgpr_spill_count: 0
    .wavefront_size: 32
  - .args:
      - .address_space:  global
        .offset:         0
        .size:           8
        .value_kind:     global_buffer
      - .address_space:  global
        .offset:         8
        .size:           8
        .value_kind:     global_buffer
      - .address_space:  global
        .offset:         16
        .size:           8
        .value_kind:     global_buffer
      - .address_space:  global
        .offset:         24
        .size:           8
        .value_kind:     global_buffer
      - .address_space:  global
        .offset:         32
        .size:           8
        .value_kind:     global_buffer
      - .address_space:  global
        .offset:         40
        .size:           8
        .value_kind:     global_buffer
      - .address_space:  global
        .offset:         48
        .size:           8
        .value_kind:     global_buffer
      - .address_space:  global
        .offset:         56
        .size:           8
        .value_kind:     global_buffer
      - .offset:         64
        .size:           4
        .value_kind:     by_value
      - .offset:         68
        .size:           4
        .value_kind:     by_value
      - .offset:         72
        .size:           4
        .value_kind:     by_value
      - .offset:         76
        .size:           4
        .value_kind:     by_value
      - .offset:         80
        .size:           4
        .value_kind:     by_value
      - .offset:         84
        .size:           4
        .value_kind:     by_value
      - .offset:         88
        .size:           4
        .value_kind:     by_value
      - .offset:         92
        .size:           12
        .value_kind:     by_value
      - .offset:         104
        .size:           4
        .value_kind:     by_value
      - .offset:         108
        .size:           4
        .value_kind:     by_value
      - .offset:         112
        .size:           4
        .value_kind:     by_value
      - .offset:         116
        .size:           4
        .value_kind:     by_value
      - .offset:         120
        .size:           4
        .value_kind:     by_value
      - .offset:         124
        .size:           4
        .value_kind:     by_value
      - .offset:         128
        .size:           4
        .value_kind:     by_value
      - .offset:         132
        .size:           4
        .value_kind:     by_value
      - .offset:         136
        .size:           4
        .value_kind:     by_value
      - .offset:         140
        .size:           4
        .value_kind:     by_value
      - .offset:         144
        .size:           4
        .value_kind:     by_value
      - .offset:         152
        .size:           8
        .value_kind:     by_value
      - .offset:         160
        .size:           4
        .value_kind:     by_value
      - .offset:         164
        .size:           4
        .value_kind:     by_value
      - .offset:         168
        .size:           8
        .value_kind:     by_value
      - .offset:         176
        .size:           4
        .value_kind:     by_value
      - .offset:         180
        .size:           4
        .value_kind:     by_value
      - .offset:         184
        .size:           4
        .value_kind:     by_value
      - .offset:         188
        .size:           4
        .value_kind:     by_value
      - .offset:         192
        .size:           4
        .value_kind:     by_value
      - .offset:         200
        .size:           8
        .value_kind:     by_value
      - .offset:         208
        .size:           4
        .value_kind:     hidden_block_count_x
      - .offset:         212
        .size:           4
        .value_kind:     hidden_block_count_y
      - .offset:         216
        .size:           4
        .value_kind:     hidden_block_count_z
      - .offset:         220
        .size:           2
        .value_kind:     hidden_group_size_x
      - .offset:         222
        .size:           2
        .value_kind:     hidden_group_size_y
      - .offset:         224
        .size:           2
        .value_kind:     hidden_group_size_z
      - .offset:         226
        .size:           2
        .value_kind:     hidden_remainder_x
      - .offset:         228
        .size:           2
        .value_kind:     hidden_remainder_y
      - .offset:         230
        .size:           2
        .value_kind:     hidden_remainder_z
      - .offset:         248
        .size:           8
        .value_kind:     hidden_global_offset_x
      - .offset:         256
        .size:           8
        .value_kind:     hidden_global_offset_y
      - .offset:         264
        .size:           8
        .value_kind:     hidden_global_offset_z
      - .offset:         272
        .size:           2
        .value_kind:     hidden_grid_dims
    .group_segment_fixed_size: 26112
    .kernarg_segment_align: 8
    .kernarg_segment_size: 464
    .language:       OpenCL C
    .language_version:
      - 2
      - 0
    .max_flat_workgroup_size: 256
    .name:           _ZL15flash_attn_tileILi256ELi256ELi2ELi8ELb0EEvPKcS1_S1_S1_S1_PKiPfP15HIP_vector_typeIfLj2EEffffjfiS5_IjLj3EEiiiiiiiiiiiliiliiiiil
    .private_segment_fixed_size: 0
    .sgpr_count:     43
    .sgpr_spill_count: 0
    .symbol:         _ZL15flash_attn_tileILi256ELi256ELi2ELi8ELb0EEvPKcS1_S1_S1_S1_PKiPfP15HIP_vector_typeIfLj2EEffffjfiS5_IjLj3EEiiiiiiiiiiiliiliiiiil.kd
    .uniform_work_group_size: 1
    .uses_dynamic_stack: false
    .vgpr_count:     86
    .vgpr_spill_count: 0
    .wavefront_size: 32
  - .args:
      - .actual_access:  read_only
        .address_space:  global
        .offset:         0
        .size:           8
        .value_kind:     global_buffer
      - .actual_access:  write_only
        .address_space:  global
        .offset:         8
        .size:           8
        .value_kind:     global_buffer
      - .offset:         16
        .size:           4
        .value_kind:     by_value
      - .offset:         20
        .size:           4
        .value_kind:     by_value
      - .offset:         24
        .size:           4
        .value_kind:     by_value
      - .offset:         32
        .size:           4
        .value_kind:     hidden_block_count_x
      - .offset:         36
        .size:           4
        .value_kind:     hidden_block_count_y
      - .offset:         40
        .size:           4
        .value_kind:     hidden_block_count_z
      - .offset:         44
        .size:           2
        .value_kind:     hidden_group_size_x
      - .offset:         46
        .size:           2
        .value_kind:     hidden_group_size_y
      - .offset:         48
        .size:           2
        .value_kind:     hidden_group_size_z
      - .offset:         50
        .size:           2
        .value_kind:     hidden_remainder_x
      - .offset:         52
        .size:           2
        .value_kind:     hidden_remainder_y
      - .offset:         54
        .size:           2
        .value_kind:     hidden_remainder_z
      - .offset:         72
        .size:           8
        .value_kind:     hidden_global_offset_x
      - .offset:         80
        .size:           8
        .value_kind:     hidden_global_offset_y
      - .offset:         88
        .size:           8
        .value_kind:     hidden_global_offset_z
      - .offset:         96
        .size:           2
        .value_kind:     hidden_grid_dims
    .group_segment_fixed_size: 128
    .kernarg_segment_align: 8
    .kernarg_segment_size: 288
    .language:       OpenCL C
    .language_version:
      - 2
      - 0
    .max_flat_workgroup_size: 128
    .name:           _ZL25flash_attn_mask_to_KV_maxILi2EEvPK7__half2Piiii
    .private_segment_fixed_size: 0
    .sgpr_count:     17
    .sgpr_spill_count: 0
    .symbol:         _ZL25flash_attn_mask_to_KV_maxILi2EEvPK7__half2Piiii.kd
    .uniform_work_group_size: 1
    .uses_dynamic_stack: false
    .vgpr_count:     6
    .vgpr_spill_count: 0
    .wavefront_size: 32
  - .args:
      - .address_space:  global
        .offset:         0
        .size:           8
        .value_kind:     global_buffer
      - .address_space:  global
        .offset:         8
        .size:           8
        .value_kind:     global_buffer
      - .offset:         16
        .size:           4
        .value_kind:     by_value
      - .offset:         20
        .size:           4
        .value_kind:     by_value
      - .offset:         24
        .size:           4
        .value_kind:     by_value
      - .offset:         28
        .size:           4
        .value_kind:     by_value
      - .offset:         32
        .size:           4
        .value_kind:     by_value
      - .offset:         36
        .size:           4
        .value_kind:     by_value
      - .offset:         40
        .size:           12
        .value_kind:     by_value
      - .offset:         52
        .size:           12
        .value_kind:     by_value
      - .offset:         64
        .size:           12
        .value_kind:     by_value
    .group_segment_fixed_size: 0
    .kernarg_segment_align: 8
    .kernarg_segment_size: 76
    .language:       OpenCL C
    .language_version:
      - 2
      - 0
    .max_flat_workgroup_size: 256
    .name:           _ZL33flash_attn_stream_k_fixup_uniformILi256ELi2ELi8EEvPfPK15HIP_vector_typeIfLj2EEiiiiiiS1_IjLj3EES5_S5_
    .private_segment_fixed_size: 0
    .sgpr_count:     23
    .sgpr_spill_count: 0
    .symbol:         _ZL33flash_attn_stream_k_fixup_uniformILi256ELi2ELi8EEvPfPK15HIP_vector_typeIfLj2EEiiiiiiS1_IjLj3EES5_S5_.kd
    .uniform_work_group_size: 1
    .uses_dynamic_stack: false
    .vgpr_count:     12
    .vgpr_spill_count: 0
    .wavefront_size: 32
  - .args:
      - .address_space:  global
        .offset:         0
        .size:           8
        .value_kind:     global_buffer
      - .address_space:  global
        .offset:         8
        .size:           8
        .value_kind:     global_buffer
      - .offset:         16
        .size:           4
        .value_kind:     by_value
      - .offset:         20
        .size:           4
        .value_kind:     by_value
      - .offset:         24
        .size:           4
        .value_kind:     by_value
      - .offset:         28
        .size:           4
        .value_kind:     by_value
      - .offset:         32
        .size:           12
        .value_kind:     by_value
      - .offset:         44
        .size:           12
        .value_kind:     by_value
      - .offset:         56
        .size:           12
        .value_kind:     by_value
      - .offset:         68
        .size:           12
        .value_kind:     by_value
      - .offset:         80
        .size:           4
        .value_kind:     hidden_block_count_x
      - .offset:         84
        .size:           4
        .value_kind:     hidden_block_count_y
      - .offset:         88
        .size:           4
        .value_kind:     hidden_block_count_z
      - .offset:         92
        .size:           2
        .value_kind:     hidden_group_size_x
      - .offset:         94
        .size:           2
        .value_kind:     hidden_group_size_y
      - .offset:         96
        .size:           2
        .value_kind:     hidden_group_size_z
      - .offset:         98
        .size:           2
        .value_kind:     hidden_remainder_x
      - .offset:         100
        .size:           2
        .value_kind:     hidden_remainder_y
      - .offset:         102
        .size:           2
        .value_kind:     hidden_remainder_z
      - .offset:         120
        .size:           8
        .value_kind:     hidden_global_offset_x
      - .offset:         128
        .size:           8
        .value_kind:     hidden_global_offset_y
      - .offset:         136
        .size:           8
        .value_kind:     hidden_global_offset_z
      - .offset:         144
        .size:           2
        .value_kind:     hidden_grid_dims
    .group_segment_fixed_size: 0
    .kernarg_segment_align: 8
    .kernarg_segment_size: 336
    .language:       OpenCL C
    .language_version:
      - 2
      - 0
    .max_flat_workgroup_size: 256
    .name:           _ZL33flash_attn_stream_k_fixup_generalILi256ELi2ELi8EEvPfPK15HIP_vector_typeIfLj2EEiiiiS1_IjLj3EES5_S5_S5_
    .private_segment_fixed_size: 0
    .sgpr_count:     48
    .sgpr_spill_count: 0
    .symbol:         _ZL33flash_attn_stream_k_fixup_generalILi256ELi2ELi8EEvPfPK15HIP_vector_typeIfLj2EEiiiiS1_IjLj3EES5_S5_S5_.kd
    .uniform_work_group_size: 1
    .uses_dynamic_stack: false
    .vgpr_count:     12
    .vgpr_spill_count: 0
    .wavefront_size: 32
  - .args:
      - .address_space:  global
        .offset:         0
        .size:           8
        .value_kind:     global_buffer
      - .address_space:  global
        .offset:         8
        .size:           8
        .value_kind:     global_buffer
      - .address_space:  global
        .offset:         16
        .size:           8
        .value_kind:     global_buffer
      - .address_space:  global
        .offset:         24
        .size:           8
        .value_kind:     global_buffer
      - .address_space:  global
        .offset:         32
        .size:           8
        .value_kind:     global_buffer
      - .address_space:  global
        .offset:         40
        .size:           8
        .value_kind:     global_buffer
      - .address_space:  global
        .offset:         48
        .size:           8
        .value_kind:     global_buffer
      - .address_space:  global
        .offset:         56
        .size:           8
        .value_kind:     global_buffer
      - .offset:         64
        .size:           4
        .value_kind:     by_value
      - .offset:         68
        .size:           4
        .value_kind:     by_value
      - .offset:         72
        .size:           4
        .value_kind:     by_value
      - .offset:         76
        .size:           4
        .value_kind:     by_value
      - .offset:         80
        .size:           4
        .value_kind:     by_value
      - .offset:         84
        .size:           4
        .value_kind:     by_value
      - .offset:         88
        .size:           4
        .value_kind:     by_value
      - .offset:         92
        .size:           12
        .value_kind:     by_value
      - .offset:         104
        .size:           4
        .value_kind:     by_value
      - .offset:         108
        .size:           4
        .value_kind:     by_value
      - .offset:         112
        .size:           4
        .value_kind:     by_value
      - .offset:         116
        .size:           4
        .value_kind:     by_value
      - .offset:         120
        .size:           4
        .value_kind:     by_value
      - .offset:         124
        .size:           4
        .value_kind:     by_value
      - .offset:         128
        .size:           4
        .value_kind:     by_value
      - .offset:         132
        .size:           4
        .value_kind:     by_value
      - .offset:         136
        .size:           4
        .value_kind:     by_value
      - .offset:         140
        .size:           4
        .value_kind:     by_value
      - .offset:         144
        .size:           4
        .value_kind:     by_value
      - .offset:         152
        .size:           8
        .value_kind:     by_value
      - .offset:         160
        .size:           4
        .value_kind:     by_value
      - .offset:         164
        .size:           4
        .value_kind:     by_value
      - .offset:         168
        .size:           8
        .value_kind:     by_value
      - .offset:         176
        .size:           4
        .value_kind:     by_value
      - .offset:         180
        .size:           4
        .value_kind:     by_value
      - .offset:         184
        .size:           4
        .value_kind:     by_value
      - .offset:         188
        .size:           4
        .value_kind:     by_value
      - .offset:         192
        .size:           4
        .value_kind:     by_value
      - .offset:         200
        .size:           8
        .value_kind:     by_value
      - .offset:         208
        .size:           4
        .value_kind:     hidden_block_count_x
      - .offset:         212
        .size:           4
        .value_kind:     hidden_block_count_y
      - .offset:         216
        .size:           4
        .value_kind:     hidden_block_count_z
      - .offset:         220
        .size:           2
        .value_kind:     hidden_group_size_x
      - .offset:         222
        .size:           2
        .value_kind:     hidden_group_size_y
      - .offset:         224
        .size:           2
        .value_kind:     hidden_group_size_z
      - .offset:         226
        .size:           2
        .value_kind:     hidden_remainder_x
      - .offset:         228
        .size:           2
        .value_kind:     hidden_remainder_y
      - .offset:         230
        .size:           2
        .value_kind:     hidden_remainder_z
      - .offset:         248
        .size:           8
        .value_kind:     hidden_global_offset_x
      - .offset:         256
        .size:           8
        .value_kind:     hidden_global_offset_y
      - .offset:         264
        .size:           8
        .value_kind:     hidden_global_offset_z
      - .offset:         272
        .size:           2
        .value_kind:     hidden_grid_dims
    .group_segment_fixed_size: 21504
    .kernarg_segment_align: 8
    .kernarg_segment_size: 464
    .language:       OpenCL C
    .language_version:
      - 2
      - 0
    .max_flat_workgroup_size: 128
    .name:           _ZL15flash_attn_tileILi256ELi256ELi1ELi8ELb0EEvPKcS1_S1_S1_S1_PKiPfP15HIP_vector_typeIfLj2EEffffjfiS5_IjLj3EEiiiiiiiiiiiliiliiiiil
    .private_segment_fixed_size: 0
    .sgpr_count:     43
    .sgpr_spill_count: 0
    .symbol:         _ZL15flash_attn_tileILi256ELi256ELi1ELi8ELb0EEvPKcS1_S1_S1_S1_PKiPfP15HIP_vector_typeIfLj2EEffffjfiS5_IjLj3EEiiiiiiiiiiiliiliiiiil.kd
    .uniform_work_group_size: 1
    .uses_dynamic_stack: false
    .vgpr_count:     118
    .vgpr_spill_count: 0
    .wavefront_size: 32
  - .args:
      - .actual_access:  read_only
        .address_space:  global
        .offset:         0
        .size:           8
        .value_kind:     global_buffer
      - .actual_access:  write_only
        .address_space:  global
        .offset:         8
        .size:           8
        .value_kind:     global_buffer
      - .offset:         16
        .size:           4
        .value_kind:     by_value
      - .offset:         20
        .size:           4
        .value_kind:     by_value
      - .offset:         24
        .size:           4
        .value_kind:     by_value
      - .offset:         32
        .size:           4
        .value_kind:     hidden_block_count_x
      - .offset:         36
        .size:           4
        .value_kind:     hidden_block_count_y
      - .offset:         40
        .size:           4
        .value_kind:     hidden_block_count_z
      - .offset:         44
        .size:           2
        .value_kind:     hidden_group_size_x
      - .offset:         46
        .size:           2
        .value_kind:     hidden_group_size_y
      - .offset:         48
        .size:           2
        .value_kind:     hidden_group_size_z
      - .offset:         50
        .size:           2
        .value_kind:     hidden_remainder_x
      - .offset:         52
        .size:           2
        .value_kind:     hidden_remainder_y
      - .offset:         54
        .size:           2
        .value_kind:     hidden_remainder_z
      - .offset:         72
        .size:           8
        .value_kind:     hidden_global_offset_x
      - .offset:         80
        .size:           8
        .value_kind:     hidden_global_offset_y
      - .offset:         88
        .size:           8
        .value_kind:     hidden_global_offset_z
      - .offset:         96
        .size:           2
        .value_kind:     hidden_grid_dims
    .group_segment_fixed_size: 128
    .kernarg_segment_align: 8
    .kernarg_segment_size: 288
    .language:       OpenCL C
    .language_version:
      - 2
      - 0
    .max_flat_workgroup_size: 128
    .name:           _ZL25flash_attn_mask_to_KV_maxILi1EEvPK7__half2Piiii
    .private_segment_fixed_size: 0
    .sgpr_count:     15
    .sgpr_spill_count: 0
    .symbol:         _ZL25flash_attn_mask_to_KV_maxILi1EEvPK7__half2Piiii.kd
    .uniform_work_group_size: 1
    .uses_dynamic_stack: false
    .vgpr_count:     5
    .vgpr_spill_count: 0
    .wavefront_size: 32
  - .args:
      - .address_space:  global
        .offset:         0
        .size:           8
        .value_kind:     global_buffer
      - .address_space:  global
        .offset:         8
        .size:           8
        .value_kind:     global_buffer
      - .offset:         16
        .size:           4
        .value_kind:     by_value
      - .offset:         20
        .size:           4
        .value_kind:     by_value
      - .offset:         24
        .size:           4
        .value_kind:     by_value
      - .offset:         28
        .size:           4
        .value_kind:     by_value
      - .offset:         32
        .size:           4
        .value_kind:     by_value
      - .offset:         36
        .size:           4
        .value_kind:     by_value
      - .offset:         40
        .size:           12
        .value_kind:     by_value
      - .offset:         52
        .size:           12
        .value_kind:     by_value
      - .offset:         64
        .size:           12
        .value_kind:     by_value
    .group_segment_fixed_size: 0
    .kernarg_segment_align: 8
    .kernarg_segment_size: 76
    .language:       OpenCL C
    .language_version:
      - 2
      - 0
    .max_flat_workgroup_size: 256
    .name:           _ZL33flash_attn_stream_k_fixup_uniformILi256ELi1ELi8EEvPfPK15HIP_vector_typeIfLj2EEiiiiiiS1_IjLj3EES5_S5_
    .private_segment_fixed_size: 0
    .sgpr_count:     23
    .sgpr_spill_count: 0
    .symbol:         _ZL33flash_attn_stream_k_fixup_uniformILi256ELi1ELi8EEvPfPK15HIP_vector_typeIfLj2EEiiiiiiS1_IjLj3EES5_S5_.kd
    .uniform_work_group_size: 1
    .uses_dynamic_stack: false
    .vgpr_count:     12
    .vgpr_spill_count: 0
    .wavefront_size: 32
  - .args:
      - .address_space:  global
        .offset:         0
        .size:           8
        .value_kind:     global_buffer
      - .address_space:  global
        .offset:         8
        .size:           8
        .value_kind:     global_buffer
      - .offset:         16
        .size:           4
        .value_kind:     by_value
      - .offset:         20
        .size:           4
        .value_kind:     by_value
      - .offset:         24
        .size:           4
        .value_kind:     by_value
      - .offset:         28
        .size:           4
        .value_kind:     by_value
      - .offset:         32
        .size:           12
        .value_kind:     by_value
      - .offset:         44
        .size:           12
        .value_kind:     by_value
      - .offset:         56
        .size:           12
        .value_kind:     by_value
      - .offset:         68
        .size:           12
        .value_kind:     by_value
      - .offset:         80
        .size:           4
        .value_kind:     hidden_block_count_x
      - .offset:         84
        .size:           4
        .value_kind:     hidden_block_count_y
      - .offset:         88
        .size:           4
        .value_kind:     hidden_block_count_z
      - .offset:         92
        .size:           2
        .value_kind:     hidden_group_size_x
      - .offset:         94
        .size:           2
        .value_kind:     hidden_group_size_y
      - .offset:         96
        .size:           2
        .value_kind:     hidden_group_size_z
      - .offset:         98
        .size:           2
        .value_kind:     hidden_remainder_x
      - .offset:         100
        .size:           2
        .value_kind:     hidden_remainder_y
      - .offset:         102
        .size:           2
        .value_kind:     hidden_remainder_z
      - .offset:         120
        .size:           8
        .value_kind:     hidden_global_offset_x
      - .offset:         128
        .size:           8
        .value_kind:     hidden_global_offset_y
      - .offset:         136
        .size:           8
        .value_kind:     hidden_global_offset_z
      - .offset:         144
        .size:           2
        .value_kind:     hidden_grid_dims
    .group_segment_fixed_size: 0
    .kernarg_segment_align: 8
    .kernarg_segment_size: 336
    .language:       OpenCL C
    .language_version:
      - 2
      - 0
    .max_flat_workgroup_size: 256
    .name:           _ZL33flash_attn_stream_k_fixup_generalILi256ELi1ELi8EEvPfPK15HIP_vector_typeIfLj2EEiiiiS1_IjLj3EES5_S5_S5_
    .private_segment_fixed_size: 0
    .sgpr_count:     48
    .sgpr_spill_count: 0
    .symbol:         _ZL33flash_attn_stream_k_fixup_generalILi256ELi1ELi8EEvPfPK15HIP_vector_typeIfLj2EEiiiiS1_IjLj3EES5_S5_S5_.kd
    .uniform_work_group_size: 1
    .uses_dynamic_stack: false
    .vgpr_count:     12
    .vgpr_spill_count: 0
    .wavefront_size: 32
  - .args:
      - .address_space:  global
        .offset:         0
        .size:           8
        .value_kind:     global_buffer
      - .address_space:  global
        .offset:         8
        .size:           8
        .value_kind:     global_buffer
      - .address_space:  global
        .offset:         16
        .size:           8
        .value_kind:     global_buffer
      - .address_space:  global
        .offset:         24
        .size:           8
        .value_kind:     global_buffer
      - .address_space:  global
        .offset:         32
        .size:           8
        .value_kind:     global_buffer
      - .address_space:  global
        .offset:         40
        .size:           8
        .value_kind:     global_buffer
      - .address_space:  global
        .offset:         48
        .size:           8
        .value_kind:     global_buffer
      - .address_space:  global
        .offset:         56
        .size:           8
        .value_kind:     global_buffer
      - .offset:         64
        .size:           4
        .value_kind:     by_value
      - .offset:         68
        .size:           4
        .value_kind:     by_value
      - .offset:         72
        .size:           4
        .value_kind:     by_value
      - .offset:         76
        .size:           4
        .value_kind:     by_value
      - .offset:         80
        .size:           4
        .value_kind:     by_value
      - .offset:         84
        .size:           4
        .value_kind:     by_value
      - .offset:         88
        .size:           4
        .value_kind:     by_value
      - .offset:         92
        .size:           12
        .value_kind:     by_value
      - .offset:         104
        .size:           4
        .value_kind:     by_value
      - .offset:         108
        .size:           4
        .value_kind:     by_value
      - .offset:         112
        .size:           4
        .value_kind:     by_value
      - .offset:         116
        .size:           4
        .value_kind:     by_value
      - .offset:         120
        .size:           4
        .value_kind:     by_value
      - .offset:         124
        .size:           4
        .value_kind:     by_value
      - .offset:         128
        .size:           4
        .value_kind:     by_value
      - .offset:         132
        .size:           4
        .value_kind:     by_value
      - .offset:         136
        .size:           4
        .value_kind:     by_value
      - .offset:         140
        .size:           4
        .value_kind:     by_value
      - .offset:         144
        .size:           4
        .value_kind:     by_value
      - .offset:         152
        .size:           8
        .value_kind:     by_value
      - .offset:         160
        .size:           4
        .value_kind:     by_value
      - .offset:         164
        .size:           4
        .value_kind:     by_value
      - .offset:         168
        .size:           8
        .value_kind:     by_value
      - .offset:         176
        .size:           4
        .value_kind:     by_value
      - .offset:         180
        .size:           4
        .value_kind:     by_value
      - .offset:         184
        .size:           4
        .value_kind:     by_value
      - .offset:         188
        .size:           4
        .value_kind:     by_value
      - .offset:         192
        .size:           4
        .value_kind:     by_value
      - .offset:         200
        .size:           8
        .value_kind:     by_value
      - .offset:         208
        .size:           4
        .value_kind:     hidden_block_count_x
      - .offset:         212
        .size:           4
        .value_kind:     hidden_block_count_y
      - .offset:         216
        .size:           4
        .value_kind:     hidden_block_count_z
      - .offset:         220
        .size:           2
        .value_kind:     hidden_group_size_x
      - .offset:         222
        .size:           2
        .value_kind:     hidden_group_size_y
      - .offset:         224
        .size:           2
        .value_kind:     hidden_group_size_z
      - .offset:         226
        .size:           2
        .value_kind:     hidden_remainder_x
      - .offset:         228
        .size:           2
        .value_kind:     hidden_remainder_y
      - .offset:         230
        .size:           2
        .value_kind:     hidden_remainder_z
      - .offset:         248
        .size:           8
        .value_kind:     hidden_global_offset_x
      - .offset:         256
        .size:           8
        .value_kind:     hidden_global_offset_y
      - .offset:         264
        .size:           8
        .value_kind:     hidden_global_offset_z
      - .offset:         272
        .size:           2
        .value_kind:     hidden_grid_dims
    .group_segment_fixed_size: 37888
    .kernarg_segment_align: 8
    .kernarg_segment_size: 464
    .language:       OpenCL C
    .language_version:
      - 2
      - 0
    .max_flat_workgroup_size: 256
    .name:           _ZL15flash_attn_tileILi256ELi256ELi8ELi4ELb0EEvPKcS1_S1_S1_S1_PKiPfP15HIP_vector_typeIfLj2EEffffjfiS5_IjLj3EEiiiiiiiiiiiliiliiiiil
    .private_segment_fixed_size: 0
    .sgpr_count:     46
    .sgpr_spill_count: 0
    .symbol:         _ZL15flash_attn_tileILi256ELi256ELi8ELi4ELb0EEvPKcS1_S1_S1_S1_PKiPfP15HIP_vector_typeIfLj2EEffffjfiS5_IjLj3EEiiiiiiiiiiiliiliiiiil.kd
    .uniform_work_group_size: 1
    .uses_dynamic_stack: false
    .vgpr_count:     136
    .vgpr_spill_count: 0
    .wavefront_size: 32
  - .args:
      - .actual_access:  read_only
        .address_space:  global
        .offset:         0
        .size:           8
        .value_kind:     global_buffer
      - .actual_access:  write_only
        .address_space:  global
        .offset:         8
        .size:           8
        .value_kind:     global_buffer
      - .offset:         16
        .size:           4
        .value_kind:     by_value
      - .offset:         20
        .size:           4
        .value_kind:     by_value
      - .offset:         24
        .size:           4
        .value_kind:     by_value
      - .offset:         32
        .size:           4
        .value_kind:     hidden_block_count_x
      - .offset:         36
        .size:           4
        .value_kind:     hidden_block_count_y
      - .offset:         40
        .size:           4
        .value_kind:     hidden_block_count_z
      - .offset:         44
        .size:           2
        .value_kind:     hidden_group_size_x
      - .offset:         46
        .size:           2
        .value_kind:     hidden_group_size_y
      - .offset:         48
        .size:           2
        .value_kind:     hidden_group_size_z
      - .offset:         50
        .size:           2
        .value_kind:     hidden_remainder_x
      - .offset:         52
        .size:           2
        .value_kind:     hidden_remainder_y
      - .offset:         54
        .size:           2
        .value_kind:     hidden_remainder_z
      - .offset:         72
        .size:           8
        .value_kind:     hidden_global_offset_x
      - .offset:         80
        .size:           8
        .value_kind:     hidden_global_offset_y
      - .offset:         88
        .size:           8
        .value_kind:     hidden_global_offset_z
      - .offset:         96
        .size:           2
        .value_kind:     hidden_grid_dims
    .group_segment_fixed_size: 128
    .kernarg_segment_align: 8
    .kernarg_segment_size: 288
    .language:       OpenCL C
    .language_version:
      - 2
      - 0
    .max_flat_workgroup_size: 128
    .name:           _ZL25flash_attn_mask_to_KV_maxILi8EEvPK7__half2Piiii
    .private_segment_fixed_size: 0
    .sgpr_count:     29
    .sgpr_spill_count: 0
    .symbol:         _ZL25flash_attn_mask_to_KV_maxILi8EEvPK7__half2Piiii.kd
    .uniform_work_group_size: 1
    .uses_dynamic_stack: false
    .vgpr_count:     6
    .vgpr_spill_count: 0
    .wavefront_size: 32
  - .args:
      - .address_space:  global
        .offset:         0
        .size:           8
        .value_kind:     global_buffer
      - .address_space:  global
        .offset:         8
        .size:           8
        .value_kind:     global_buffer
      - .offset:         16
        .size:           4
        .value_kind:     by_value
      - .offset:         20
        .size:           4
        .value_kind:     by_value
      - .offset:         24
        .size:           4
        .value_kind:     by_value
      - .offset:         28
        .size:           4
        .value_kind:     by_value
      - .offset:         32
        .size:           4
        .value_kind:     by_value
      - .offset:         36
        .size:           4
        .value_kind:     by_value
      - .offset:         40
        .size:           12
        .value_kind:     by_value
      - .offset:         52
        .size:           12
        .value_kind:     by_value
      - .offset:         64
        .size:           12
        .value_kind:     by_value
    .group_segment_fixed_size: 0
    .kernarg_segment_align: 8
    .kernarg_segment_size: 76
    .language:       OpenCL C
    .language_version:
      - 2
      - 0
    .max_flat_workgroup_size: 256
    .name:           _ZL33flash_attn_stream_k_fixup_uniformILi256ELi8ELi4EEvPfPK15HIP_vector_typeIfLj2EEiiiiiiS1_IjLj3EES5_S5_
    .private_segment_fixed_size: 0
    .sgpr_count:     23
    .sgpr_spill_count: 0
    .symbol:         _ZL33flash_attn_stream_k_fixup_uniformILi256ELi8ELi4EEvPfPK15HIP_vector_typeIfLj2EEiiiiiiS1_IjLj3EES5_S5_.kd
    .uniform_work_group_size: 1
    .uses_dynamic_stack: false
    .vgpr_count:     12
    .vgpr_spill_count: 0
    .wavefront_size: 32
  - .args:
      - .address_space:  global
        .offset:         0
        .size:           8
        .value_kind:     global_buffer
      - .address_space:  global
        .offset:         8
        .size:           8
        .value_kind:     global_buffer
      - .offset:         16
        .size:           4
        .value_kind:     by_value
      - .offset:         20
        .size:           4
        .value_kind:     by_value
      - .offset:         24
        .size:           4
        .value_kind:     by_value
      - .offset:         28
        .size:           4
        .value_kind:     by_value
      - .offset:         32
        .size:           12
        .value_kind:     by_value
      - .offset:         44
        .size:           12
        .value_kind:     by_value
      - .offset:         56
        .size:           12
        .value_kind:     by_value
      - .offset:         68
        .size:           12
        .value_kind:     by_value
      - .offset:         80
        .size:           4
        .value_kind:     hidden_block_count_x
      - .offset:         84
        .size:           4
        .value_kind:     hidden_block_count_y
      - .offset:         88
        .size:           4
        .value_kind:     hidden_block_count_z
      - .offset:         92
        .size:           2
        .value_kind:     hidden_group_size_x
      - .offset:         94
        .size:           2
        .value_kind:     hidden_group_size_y
      - .offset:         96
        .size:           2
        .value_kind:     hidden_group_size_z
      - .offset:         98
        .size:           2
        .value_kind:     hidden_remainder_x
      - .offset:         100
        .size:           2
        .value_kind:     hidden_remainder_y
      - .offset:         102
        .size:           2
        .value_kind:     hidden_remainder_z
      - .offset:         120
        .size:           8
        .value_kind:     hidden_global_offset_x
      - .offset:         128
        .size:           8
        .value_kind:     hidden_global_offset_y
      - .offset:         136
        .size:           8
        .value_kind:     hidden_global_offset_z
      - .offset:         144
        .size:           2
        .value_kind:     hidden_grid_dims
    .group_segment_fixed_size: 0
    .kernarg_segment_align: 8
    .kernarg_segment_size: 336
    .language:       OpenCL C
    .language_version:
      - 2
      - 0
    .max_flat_workgroup_size: 256
    .name:           _ZL33flash_attn_stream_k_fixup_generalILi256ELi8ELi4EEvPfPK15HIP_vector_typeIfLj2EEiiiiS1_IjLj3EES5_S5_S5_
    .private_segment_fixed_size: 0
    .sgpr_count:     48
    .sgpr_spill_count: 0
    .symbol:         _ZL33flash_attn_stream_k_fixup_generalILi256ELi8ELi4EEvPfPK15HIP_vector_typeIfLj2EEiiiiS1_IjLj3EES5_S5_S5_.kd
    .uniform_work_group_size: 1
    .uses_dynamic_stack: false
    .vgpr_count:     12
    .vgpr_spill_count: 0
    .wavefront_size: 32
  - .args:
      - .address_space:  global
        .offset:         0
        .size:           8
        .value_kind:     global_buffer
      - .address_space:  global
        .offset:         8
        .size:           8
        .value_kind:     global_buffer
      - .address_space:  global
        .offset:         16
        .size:           8
        .value_kind:     global_buffer
      - .address_space:  global
        .offset:         24
        .size:           8
        .value_kind:     global_buffer
      - .address_space:  global
        .offset:         32
        .size:           8
        .value_kind:     global_buffer
      - .address_space:  global
        .offset:         40
        .size:           8
        .value_kind:     global_buffer
      - .address_space:  global
        .offset:         48
        .size:           8
        .value_kind:     global_buffer
      - .address_space:  global
        .offset:         56
        .size:           8
        .value_kind:     global_buffer
      - .offset:         64
        .size:           4
        .value_kind:     by_value
      - .offset:         68
        .size:           4
        .value_kind:     by_value
      - .offset:         72
        .size:           4
        .value_kind:     by_value
      - .offset:         76
        .size:           4
        .value_kind:     by_value
      - .offset:         80
        .size:           4
        .value_kind:     by_value
      - .offset:         84
        .size:           4
        .value_kind:     by_value
      - .offset:         88
        .size:           4
        .value_kind:     by_value
      - .offset:         92
        .size:           12
        .value_kind:     by_value
      - .offset:         104
        .size:           4
        .value_kind:     by_value
      - .offset:         108
        .size:           4
        .value_kind:     by_value
      - .offset:         112
        .size:           4
        .value_kind:     by_value
      - .offset:         116
        .size:           4
        .value_kind:     by_value
      - .offset:         120
        .size:           4
        .value_kind:     by_value
      - .offset:         124
        .size:           4
        .value_kind:     by_value
      - .offset:         128
        .size:           4
        .value_kind:     by_value
      - .offset:         132
        .size:           4
        .value_kind:     by_value
      - .offset:         136
        .size:           4
        .value_kind:     by_value
      - .offset:         140
        .size:           4
        .value_kind:     by_value
      - .offset:         144
        .size:           4
        .value_kind:     by_value
      - .offset:         152
        .size:           8
        .value_kind:     by_value
      - .offset:         160
        .size:           4
        .value_kind:     by_value
      - .offset:         164
        .size:           4
        .value_kind:     by_value
      - .offset:         168
        .size:           8
        .value_kind:     by_value
      - .offset:         176
        .size:           4
        .value_kind:     by_value
      - .offset:         180
        .size:           4
        .value_kind:     by_value
      - .offset:         184
        .size:           4
        .value_kind:     by_value
      - .offset:         188
        .size:           4
        .value_kind:     by_value
      - .offset:         192
        .size:           4
        .value_kind:     by_value
      - .offset:         200
        .size:           8
        .value_kind:     by_value
      - .offset:         208
        .size:           4
        .value_kind:     hidden_block_count_x
      - .offset:         212
        .size:           4
        .value_kind:     hidden_block_count_y
      - .offset:         216
        .size:           4
        .value_kind:     hidden_block_count_z
      - .offset:         220
        .size:           2
        .value_kind:     hidden_group_size_x
      - .offset:         222
        .size:           2
        .value_kind:     hidden_group_size_y
      - .offset:         224
        .size:           2
        .value_kind:     hidden_group_size_z
      - .offset:         226
        .size:           2
        .value_kind:     hidden_remainder_x
      - .offset:         228
        .size:           2
        .value_kind:     hidden_remainder_y
      - .offset:         230
        .size:           2
        .value_kind:     hidden_remainder_z
      - .offset:         248
        .size:           8
        .value_kind:     hidden_global_offset_x
      - .offset:         256
        .size:           8
        .value_kind:     hidden_global_offset_y
      - .offset:         264
        .size:           8
        .value_kind:     hidden_global_offset_z
      - .offset:         272
        .size:           2
        .value_kind:     hidden_grid_dims
    .group_segment_fixed_size: 26112
    .kernarg_segment_align: 8
    .kernarg_segment_size: 464
    .language:       OpenCL C
    .language_version:
      - 2
      - 0
    .max_flat_workgroup_size: 256
    .name:           _ZL15flash_attn_tileILi256ELi256ELi4ELi4ELb0EEvPKcS1_S1_S1_S1_PKiPfP15HIP_vector_typeIfLj2EEffffjfiS5_IjLj3EEiiiiiiiiiiiliiliiiiil
    .private_segment_fixed_size: 0
    .sgpr_count:     43
    .sgpr_spill_count: 0
    .symbol:         _ZL15flash_attn_tileILi256ELi256ELi4ELi4ELb0EEvPKcS1_S1_S1_S1_PKiPfP15HIP_vector_typeIfLj2EEffffjfiS5_IjLj3EEiiiiiiiiiiiliiliiiiil.kd
    .uniform_work_group_size: 1
    .uses_dynamic_stack: false
    .vgpr_count:     86
    .vgpr_spill_count: 0
    .wavefront_size: 32
  - .args:
      - .address_space:  global
        .offset:         0
        .size:           8
        .value_kind:     global_buffer
      - .address_space:  global
        .offset:         8
        .size:           8
        .value_kind:     global_buffer
      - .offset:         16
        .size:           4
        .value_kind:     by_value
      - .offset:         20
        .size:           4
        .value_kind:     by_value
      - .offset:         24
        .size:           4
        .value_kind:     by_value
      - .offset:         28
        .size:           4
        .value_kind:     by_value
      - .offset:         32
        .size:           4
        .value_kind:     by_value
      - .offset:         36
        .size:           4
        .value_kind:     by_value
      - .offset:         40
        .size:           12
        .value_kind:     by_value
      - .offset:         52
        .size:           12
        .value_kind:     by_value
      - .offset:         64
        .size:           12
        .value_kind:     by_value
    .group_segment_fixed_size: 0
    .kernarg_segment_align: 8
    .kernarg_segment_size: 76
    .language:       OpenCL C
    .language_version:
      - 2
      - 0
    .max_flat_workgroup_size: 256
    .name:           _ZL33flash_attn_stream_k_fixup_uniformILi256ELi4ELi4EEvPfPK15HIP_vector_typeIfLj2EEiiiiiiS1_IjLj3EES5_S5_
    .private_segment_fixed_size: 0
    .sgpr_count:     23
    .sgpr_spill_count: 0
    .symbol:         _ZL33flash_attn_stream_k_fixup_uniformILi256ELi4ELi4EEvPfPK15HIP_vector_typeIfLj2EEiiiiiiS1_IjLj3EES5_S5_.kd
    .uniform_work_group_size: 1
    .uses_dynamic_stack: false
    .vgpr_count:     12
    .vgpr_spill_count: 0
    .wavefront_size: 32
  - .args:
      - .address_space:  global
        .offset:         0
        .size:           8
        .value_kind:     global_buffer
      - .address_space:  global
        .offset:         8
        .size:           8
        .value_kind:     global_buffer
      - .offset:         16
        .size:           4
        .value_kind:     by_value
      - .offset:         20
        .size:           4
        .value_kind:     by_value
      - .offset:         24
        .size:           4
        .value_kind:     by_value
      - .offset:         28
        .size:           4
        .value_kind:     by_value
      - .offset:         32
        .size:           12
        .value_kind:     by_value
      - .offset:         44
        .size:           12
        .value_kind:     by_value
      - .offset:         56
        .size:           12
        .value_kind:     by_value
      - .offset:         68
        .size:           12
        .value_kind:     by_value
      - .offset:         80
        .size:           4
        .value_kind:     hidden_block_count_x
      - .offset:         84
        .size:           4
        .value_kind:     hidden_block_count_y
      - .offset:         88
        .size:           4
        .value_kind:     hidden_block_count_z
      - .offset:         92
        .size:           2
        .value_kind:     hidden_group_size_x
      - .offset:         94
        .size:           2
        .value_kind:     hidden_group_size_y
      - .offset:         96
        .size:           2
        .value_kind:     hidden_group_size_z
      - .offset:         98
        .size:           2
        .value_kind:     hidden_remainder_x
      - .offset:         100
        .size:           2
        .value_kind:     hidden_remainder_y
      - .offset:         102
        .size:           2
        .value_kind:     hidden_remainder_z
      - .offset:         120
        .size:           8
        .value_kind:     hidden_global_offset_x
      - .offset:         128
        .size:           8
        .value_kind:     hidden_global_offset_y
      - .offset:         136
        .size:           8
        .value_kind:     hidden_global_offset_z
      - .offset:         144
        .size:           2
        .value_kind:     hidden_grid_dims
    .group_segment_fixed_size: 0
    .kernarg_segment_align: 8
    .kernarg_segment_size: 336
    .language:       OpenCL C
    .language_version:
      - 2
      - 0
    .max_flat_workgroup_size: 256
    .name:           _ZL33flash_attn_stream_k_fixup_generalILi256ELi4ELi4EEvPfPK15HIP_vector_typeIfLj2EEiiiiS1_IjLj3EES5_S5_S5_
    .private_segment_fixed_size: 0
    .sgpr_count:     48
    .sgpr_spill_count: 0
    .symbol:         _ZL33flash_attn_stream_k_fixup_generalILi256ELi4ELi4EEvPfPK15HIP_vector_typeIfLj2EEiiiiS1_IjLj3EES5_S5_S5_.kd
    .uniform_work_group_size: 1
    .uses_dynamic_stack: false
    .vgpr_count:     12
    .vgpr_spill_count: 0
    .wavefront_size: 32
  - .args:
      - .address_space:  global
        .offset:         0
        .size:           8
        .value_kind:     global_buffer
      - .address_space:  global
        .offset:         8
        .size:           8
        .value_kind:     global_buffer
      - .address_space:  global
        .offset:         16
        .size:           8
        .value_kind:     global_buffer
      - .address_space:  global
        .offset:         24
        .size:           8
        .value_kind:     global_buffer
      - .address_space:  global
        .offset:         32
        .size:           8
        .value_kind:     global_buffer
      - .address_space:  global
        .offset:         40
        .size:           8
        .value_kind:     global_buffer
      - .address_space:  global
        .offset:         48
        .size:           8
        .value_kind:     global_buffer
      - .address_space:  global
        .offset:         56
        .size:           8
        .value_kind:     global_buffer
      - .offset:         64
        .size:           4
        .value_kind:     by_value
      - .offset:         68
        .size:           4
        .value_kind:     by_value
      - .offset:         72
        .size:           4
        .value_kind:     by_value
      - .offset:         76
        .size:           4
        .value_kind:     by_value
      - .offset:         80
        .size:           4
        .value_kind:     by_value
      - .offset:         84
        .size:           4
        .value_kind:     by_value
      - .offset:         88
        .size:           4
        .value_kind:     by_value
      - .offset:         92
        .size:           12
        .value_kind:     by_value
      - .offset:         104
        .size:           4
        .value_kind:     by_value
      - .offset:         108
        .size:           4
        .value_kind:     by_value
      - .offset:         112
        .size:           4
        .value_kind:     by_value
      - .offset:         116
        .size:           4
        .value_kind:     by_value
      - .offset:         120
        .size:           4
        .value_kind:     by_value
      - .offset:         124
        .size:           4
        .value_kind:     by_value
      - .offset:         128
        .size:           4
        .value_kind:     by_value
      - .offset:         132
        .size:           4
        .value_kind:     by_value
      - .offset:         136
        .size:           4
        .value_kind:     by_value
      - .offset:         140
        .size:           4
        .value_kind:     by_value
      - .offset:         144
        .size:           4
        .value_kind:     by_value
      - .offset:         152
        .size:           8
        .value_kind:     by_value
      - .offset:         160
        .size:           4
        .value_kind:     by_value
      - .offset:         164
        .size:           4
        .value_kind:     by_value
      - .offset:         168
        .size:           8
        .value_kind:     by_value
      - .offset:         176
        .size:           4
        .value_kind:     by_value
      - .offset:         180
        .size:           4
        .value_kind:     by_value
      - .offset:         184
        .size:           4
        .value_kind:     by_value
      - .offset:         188
        .size:           4
        .value_kind:     by_value
      - .offset:         192
        .size:           4
        .value_kind:     by_value
      - .offset:         200
        .size:           8
        .value_kind:     by_value
      - .offset:         208
        .size:           4
        .value_kind:     hidden_block_count_x
      - .offset:         212
        .size:           4
        .value_kind:     hidden_block_count_y
      - .offset:         216
        .size:           4
        .value_kind:     hidden_block_count_z
      - .offset:         220
        .size:           2
        .value_kind:     hidden_group_size_x
      - .offset:         222
        .size:           2
        .value_kind:     hidden_group_size_y
      - .offset:         224
        .size:           2
        .value_kind:     hidden_group_size_z
      - .offset:         226
        .size:           2
        .value_kind:     hidden_remainder_x
      - .offset:         228
        .size:           2
        .value_kind:     hidden_remainder_y
      - .offset:         230
        .size:           2
        .value_kind:     hidden_remainder_z
      - .offset:         248
        .size:           8
        .value_kind:     hidden_global_offset_x
      - .offset:         256
        .size:           8
        .value_kind:     hidden_global_offset_y
      - .offset:         264
        .size:           8
        .value_kind:     hidden_global_offset_z
      - .offset:         272
        .size:           2
        .value_kind:     hidden_grid_dims
    .group_segment_fixed_size: 21504
    .kernarg_segment_align: 8
    .kernarg_segment_size: 464
    .language:       OpenCL C
    .language_version:
      - 2
      - 0
    .max_flat_workgroup_size: 128
    .name:           _ZL15flash_attn_tileILi256ELi256ELi2ELi4ELb0EEvPKcS1_S1_S1_S1_PKiPfP15HIP_vector_typeIfLj2EEffffjfiS5_IjLj3EEiiiiiiiiiiiliiliiiiil
    .private_segment_fixed_size: 0
    .sgpr_count:     43
    .sgpr_spill_count: 0
    .symbol:         _ZL15flash_attn_tileILi256ELi256ELi2ELi4ELb0EEvPKcS1_S1_S1_S1_PKiPfP15HIP_vector_typeIfLj2EEffffjfiS5_IjLj3EEiiiiiiiiiiiliiliiiiil.kd
    .uniform_work_group_size: 1
    .uses_dynamic_stack: false
    .vgpr_count:     118
    .vgpr_spill_count: 0
    .wavefront_size: 32
  - .args:
      - .address_space:  global
        .offset:         0
        .size:           8
        .value_kind:     global_buffer
      - .address_space:  global
        .offset:         8
        .size:           8
        .value_kind:     global_buffer
      - .offset:         16
        .size:           4
        .value_kind:     by_value
      - .offset:         20
        .size:           4
        .value_kind:     by_value
      - .offset:         24
        .size:           4
        .value_kind:     by_value
      - .offset:         28
        .size:           4
        .value_kind:     by_value
      - .offset:         32
        .size:           4
        .value_kind:     by_value
      - .offset:         36
        .size:           4
        .value_kind:     by_value
      - .offset:         40
        .size:           12
        .value_kind:     by_value
      - .offset:         52
        .size:           12
        .value_kind:     by_value
      - .offset:         64
        .size:           12
        .value_kind:     by_value
    .group_segment_fixed_size: 0
    .kernarg_segment_align: 8
    .kernarg_segment_size: 76
    .language:       OpenCL C
    .language_version:
      - 2
      - 0
    .max_flat_workgroup_size: 256
    .name:           _ZL33flash_attn_stream_k_fixup_uniformILi256ELi2ELi4EEvPfPK15HIP_vector_typeIfLj2EEiiiiiiS1_IjLj3EES5_S5_
    .private_segment_fixed_size: 0
    .sgpr_count:     23
    .sgpr_spill_count: 0
    .symbol:         _ZL33flash_attn_stream_k_fixup_uniformILi256ELi2ELi4EEvPfPK15HIP_vector_typeIfLj2EEiiiiiiS1_IjLj3EES5_S5_.kd
    .uniform_work_group_size: 1
    .uses_dynamic_stack: false
    .vgpr_count:     12
    .vgpr_spill_count: 0
    .wavefront_size: 32
  - .args:
      - .address_space:  global
        .offset:         0
        .size:           8
        .value_kind:     global_buffer
      - .address_space:  global
        .offset:         8
        .size:           8
        .value_kind:     global_buffer
      - .offset:         16
        .size:           4
        .value_kind:     by_value
      - .offset:         20
        .size:           4
        .value_kind:     by_value
      - .offset:         24
        .size:           4
        .value_kind:     by_value
      - .offset:         28
        .size:           4
        .value_kind:     by_value
      - .offset:         32
        .size:           12
        .value_kind:     by_value
      - .offset:         44
        .size:           12
        .value_kind:     by_value
      - .offset:         56
        .size:           12
        .value_kind:     by_value
      - .offset:         68
        .size:           12
        .value_kind:     by_value
      - .offset:         80
        .size:           4
        .value_kind:     hidden_block_count_x
      - .offset:         84
        .size:           4
        .value_kind:     hidden_block_count_y
      - .offset:         88
        .size:           4
        .value_kind:     hidden_block_count_z
      - .offset:         92
        .size:           2
        .value_kind:     hidden_group_size_x
      - .offset:         94
        .size:           2
        .value_kind:     hidden_group_size_y
      - .offset:         96
        .size:           2
        .value_kind:     hidden_group_size_z
      - .offset:         98
        .size:           2
        .value_kind:     hidden_remainder_x
      - .offset:         100
        .size:           2
        .value_kind:     hidden_remainder_y
      - .offset:         102
        .size:           2
        .value_kind:     hidden_remainder_z
      - .offset:         120
        .size:           8
        .value_kind:     hidden_global_offset_x
      - .offset:         128
        .size:           8
        .value_kind:     hidden_global_offset_y
      - .offset:         136
        .size:           8
        .value_kind:     hidden_global_offset_z
      - .offset:         144
        .size:           2
        .value_kind:     hidden_grid_dims
    .group_segment_fixed_size: 0
    .kernarg_segment_align: 8
    .kernarg_segment_size: 336
    .language:       OpenCL C
    .language_version:
      - 2
      - 0
    .max_flat_workgroup_size: 256
    .name:           _ZL33flash_attn_stream_k_fixup_generalILi256ELi2ELi4EEvPfPK15HIP_vector_typeIfLj2EEiiiiS1_IjLj3EES5_S5_S5_
    .private_segment_fixed_size: 0
    .sgpr_count:     48
    .sgpr_spill_count: 0
    .symbol:         _ZL33flash_attn_stream_k_fixup_generalILi256ELi2ELi4EEvPfPK15HIP_vector_typeIfLj2EEiiiiS1_IjLj3EES5_S5_S5_.kd
    .uniform_work_group_size: 1
    .uses_dynamic_stack: false
    .vgpr_count:     12
    .vgpr_spill_count: 0
    .wavefront_size: 32
  - .args:
      - .address_space:  global
        .offset:         0
        .size:           8
        .value_kind:     global_buffer
      - .address_space:  global
        .offset:         8
        .size:           8
        .value_kind:     global_buffer
      - .address_space:  global
        .offset:         16
        .size:           8
        .value_kind:     global_buffer
      - .address_space:  global
        .offset:         24
        .size:           8
        .value_kind:     global_buffer
      - .address_space:  global
        .offset:         32
        .size:           8
        .value_kind:     global_buffer
      - .address_space:  global
        .offset:         40
        .size:           8
        .value_kind:     global_buffer
      - .address_space:  global
        .offset:         48
        .size:           8
        .value_kind:     global_buffer
      - .address_space:  global
        .offset:         56
        .size:           8
        .value_kind:     global_buffer
      - .offset:         64
        .size:           4
        .value_kind:     by_value
      - .offset:         68
        .size:           4
        .value_kind:     by_value
      - .offset:         72
        .size:           4
        .value_kind:     by_value
      - .offset:         76
        .size:           4
        .value_kind:     by_value
      - .offset:         80
        .size:           4
        .value_kind:     by_value
      - .offset:         84
        .size:           4
        .value_kind:     by_value
      - .offset:         88
        .size:           4
        .value_kind:     by_value
      - .offset:         92
        .size:           12
        .value_kind:     by_value
      - .offset:         104
        .size:           4
        .value_kind:     by_value
      - .offset:         108
        .size:           4
        .value_kind:     by_value
      - .offset:         112
        .size:           4
        .value_kind:     by_value
      - .offset:         116
        .size:           4
        .value_kind:     by_value
      - .offset:         120
        .size:           4
        .value_kind:     by_value
      - .offset:         124
        .size:           4
        .value_kind:     by_value
      - .offset:         128
        .size:           4
        .value_kind:     by_value
      - .offset:         132
        .size:           4
        .value_kind:     by_value
      - .offset:         136
        .size:           4
        .value_kind:     by_value
      - .offset:         140
        .size:           4
        .value_kind:     by_value
      - .offset:         144
        .size:           4
        .value_kind:     by_value
      - .offset:         152
        .size:           8
        .value_kind:     by_value
      - .offset:         160
        .size:           4
        .value_kind:     by_value
      - .offset:         164
        .size:           4
        .value_kind:     by_value
      - .offset:         168
        .size:           8
        .value_kind:     by_value
      - .offset:         176
        .size:           4
        .value_kind:     by_value
      - .offset:         180
        .size:           4
        .value_kind:     by_value
      - .offset:         184
        .size:           4
        .value_kind:     by_value
      - .offset:         188
        .size:           4
        .value_kind:     by_value
      - .offset:         192
        .size:           4
        .value_kind:     by_value
      - .offset:         200
        .size:           8
        .value_kind:     by_value
      - .offset:         208
        .size:           4
        .value_kind:     hidden_block_count_x
      - .offset:         212
        .size:           4
        .value_kind:     hidden_block_count_y
      - .offset:         216
        .size:           4
        .value_kind:     hidden_block_count_z
      - .offset:         220
        .size:           2
        .value_kind:     hidden_group_size_x
      - .offset:         222
        .size:           2
        .value_kind:     hidden_group_size_y
      - .offset:         224
        .size:           2
        .value_kind:     hidden_group_size_z
      - .offset:         226
        .size:           2
        .value_kind:     hidden_remainder_x
      - .offset:         228
        .size:           2
        .value_kind:     hidden_remainder_y
      - .offset:         230
        .size:           2
        .value_kind:     hidden_remainder_z
      - .offset:         248
        .size:           8
        .value_kind:     hidden_global_offset_x
      - .offset:         256
        .size:           8
        .value_kind:     hidden_global_offset_y
      - .offset:         264
        .size:           8
        .value_kind:     hidden_global_offset_z
      - .offset:         272
        .size:           2
        .value_kind:     hidden_grid_dims
    .group_segment_fixed_size: 19200
    .kernarg_segment_align: 8
    .kernarg_segment_size: 464
    .language:       OpenCL C
    .language_version:
      - 2
      - 0
    .max_flat_workgroup_size: 128
    .name:           _ZL15flash_attn_tileILi256ELi256ELi1ELi4ELb0EEvPKcS1_S1_S1_S1_PKiPfP15HIP_vector_typeIfLj2EEffffjfiS5_IjLj3EEiiiiiiiiiiiliiliiiiil
    .private_segment_fixed_size: 0
    .sgpr_count:     45
    .sgpr_spill_count: 0
    .symbol:         _ZL15flash_attn_tileILi256ELi256ELi1ELi4ELb0EEvPKcS1_S1_S1_S1_PKiPfP15HIP_vector_typeIfLj2EEffffjfiS5_IjLj3EEiiiiiiiiiiiliiliiiiil.kd
    .uniform_work_group_size: 1
    .uses_dynamic_stack: false
    .vgpr_count:     102
    .vgpr_spill_count: 0
    .wavefront_size: 32
  - .args:
      - .address_space:  global
        .offset:         0
        .size:           8
        .value_kind:     global_buffer
      - .address_space:  global
        .offset:         8
        .size:           8
        .value_kind:     global_buffer
      - .offset:         16
        .size:           4
        .value_kind:     by_value
      - .offset:         20
        .size:           4
        .value_kind:     by_value
      - .offset:         24
        .size:           4
        .value_kind:     by_value
      - .offset:         28
        .size:           4
        .value_kind:     by_value
      - .offset:         32
        .size:           4
        .value_kind:     by_value
      - .offset:         36
        .size:           4
        .value_kind:     by_value
      - .offset:         40
        .size:           12
        .value_kind:     by_value
      - .offset:         52
        .size:           12
        .value_kind:     by_value
      - .offset:         64
        .size:           12
        .value_kind:     by_value
    .group_segment_fixed_size: 0
    .kernarg_segment_align: 8
    .kernarg_segment_size: 76
    .language:       OpenCL C
    .language_version:
      - 2
      - 0
    .max_flat_workgroup_size: 256
    .name:           _ZL33flash_attn_stream_k_fixup_uniformILi256ELi1ELi4EEvPfPK15HIP_vector_typeIfLj2EEiiiiiiS1_IjLj3EES5_S5_
    .private_segment_fixed_size: 0
    .sgpr_count:     23
    .sgpr_spill_count: 0
    .symbol:         _ZL33flash_attn_stream_k_fixup_uniformILi256ELi1ELi4EEvPfPK15HIP_vector_typeIfLj2EEiiiiiiS1_IjLj3EES5_S5_.kd
    .uniform_work_group_size: 1
    .uses_dynamic_stack: false
    .vgpr_count:     12
    .vgpr_spill_count: 0
    .wavefront_size: 32
  - .args:
      - .address_space:  global
        .offset:         0
        .size:           8
        .value_kind:     global_buffer
      - .address_space:  global
        .offset:         8
        .size:           8
        .value_kind:     global_buffer
      - .offset:         16
        .size:           4
        .value_kind:     by_value
      - .offset:         20
        .size:           4
        .value_kind:     by_value
      - .offset:         24
        .size:           4
        .value_kind:     by_value
      - .offset:         28
        .size:           4
        .value_kind:     by_value
      - .offset:         32
        .size:           12
        .value_kind:     by_value
      - .offset:         44
        .size:           12
        .value_kind:     by_value
      - .offset:         56
        .size:           12
        .value_kind:     by_value
      - .offset:         68
        .size:           12
        .value_kind:     by_value
      - .offset:         80
        .size:           4
        .value_kind:     hidden_block_count_x
      - .offset:         84
        .size:           4
        .value_kind:     hidden_block_count_y
      - .offset:         88
        .size:           4
        .value_kind:     hidden_block_count_z
      - .offset:         92
        .size:           2
        .value_kind:     hidden_group_size_x
      - .offset:         94
        .size:           2
        .value_kind:     hidden_group_size_y
      - .offset:         96
        .size:           2
        .value_kind:     hidden_group_size_z
      - .offset:         98
        .size:           2
        .value_kind:     hidden_remainder_x
      - .offset:         100
        .size:           2
        .value_kind:     hidden_remainder_y
      - .offset:         102
        .size:           2
        .value_kind:     hidden_remainder_z
      - .offset:         120
        .size:           8
        .value_kind:     hidden_global_offset_x
      - .offset:         128
        .size:           8
        .value_kind:     hidden_global_offset_y
      - .offset:         136
        .size:           8
        .value_kind:     hidden_global_offset_z
      - .offset:         144
        .size:           2
        .value_kind:     hidden_grid_dims
    .group_segment_fixed_size: 0
    .kernarg_segment_align: 8
    .kernarg_segment_size: 336
    .language:       OpenCL C
    .language_version:
      - 2
      - 0
    .max_flat_workgroup_size: 256
    .name:           _ZL33flash_attn_stream_k_fixup_generalILi256ELi1ELi4EEvPfPK15HIP_vector_typeIfLj2EEiiiiS1_IjLj3EES5_S5_S5_
    .private_segment_fixed_size: 0
    .sgpr_count:     48
    .sgpr_spill_count: 0
    .symbol:         _ZL33flash_attn_stream_k_fixup_generalILi256ELi1ELi4EEvPfPK15HIP_vector_typeIfLj2EEiiiiS1_IjLj3EES5_S5_S5_.kd
    .uniform_work_group_size: 1
    .uses_dynamic_stack: false
    .vgpr_count:     12
    .vgpr_spill_count: 0
    .wavefront_size: 32
  - .args:
      - .address_space:  global
        .offset:         0
        .size:           8
        .value_kind:     global_buffer
      - .address_space:  global
        .offset:         8
        .size:           8
        .value_kind:     global_buffer
      - .address_space:  global
        .offset:         16
        .size:           8
        .value_kind:     global_buffer
      - .address_space:  global
        .offset:         24
        .size:           8
        .value_kind:     global_buffer
      - .address_space:  global
        .offset:         32
        .size:           8
        .value_kind:     global_buffer
      - .address_space:  global
        .offset:         40
        .size:           8
        .value_kind:     global_buffer
      - .address_space:  global
        .offset:         48
        .size:           8
        .value_kind:     global_buffer
      - .address_space:  global
        .offset:         56
        .size:           8
        .value_kind:     global_buffer
      - .offset:         64
        .size:           4
        .value_kind:     by_value
      - .offset:         68
        .size:           4
        .value_kind:     by_value
      - .offset:         72
        .size:           4
        .value_kind:     by_value
      - .offset:         76
        .size:           4
        .value_kind:     by_value
      - .offset:         80
        .size:           4
        .value_kind:     by_value
      - .offset:         84
        .size:           4
        .value_kind:     by_value
      - .offset:         88
        .size:           4
        .value_kind:     by_value
      - .offset:         92
        .size:           12
        .value_kind:     by_value
      - .offset:         104
        .size:           4
        .value_kind:     by_value
      - .offset:         108
        .size:           4
        .value_kind:     by_value
      - .offset:         112
        .size:           4
        .value_kind:     by_value
      - .offset:         116
        .size:           4
        .value_kind:     by_value
      - .offset:         120
        .size:           4
        .value_kind:     by_value
      - .offset:         124
        .size:           4
        .value_kind:     by_value
      - .offset:         128
        .size:           4
        .value_kind:     by_value
      - .offset:         132
        .size:           4
        .value_kind:     by_value
      - .offset:         136
        .size:           4
        .value_kind:     by_value
      - .offset:         140
        .size:           4
        .value_kind:     by_value
      - .offset:         144
        .size:           4
        .value_kind:     by_value
      - .offset:         152
        .size:           8
        .value_kind:     by_value
      - .offset:         160
        .size:           4
        .value_kind:     by_value
      - .offset:         164
        .size:           4
        .value_kind:     by_value
      - .offset:         168
        .size:           8
        .value_kind:     by_value
      - .offset:         176
        .size:           4
        .value_kind:     by_value
      - .offset:         180
        .size:           4
        .value_kind:     by_value
      - .offset:         184
        .size:           4
        .value_kind:     by_value
      - .offset:         188
        .size:           4
        .value_kind:     by_value
      - .offset:         192
        .size:           4
        .value_kind:     by_value
      - .offset:         200
        .size:           8
        .value_kind:     by_value
      - .offset:         208
        .size:           4
        .value_kind:     hidden_block_count_x
      - .offset:         212
        .size:           4
        .value_kind:     hidden_block_count_y
      - .offset:         216
        .size:           4
        .value_kind:     hidden_block_count_z
      - .offset:         220
        .size:           2
        .value_kind:     hidden_group_size_x
      - .offset:         222
        .size:           2
        .value_kind:     hidden_group_size_y
      - .offset:         224
        .size:           2
        .value_kind:     hidden_group_size_z
      - .offset:         226
        .size:           2
        .value_kind:     hidden_remainder_x
      - .offset:         228
        .size:           2
        .value_kind:     hidden_remainder_y
      - .offset:         230
        .size:           2
        .value_kind:     hidden_remainder_z
      - .offset:         248
        .size:           8
        .value_kind:     hidden_global_offset_x
      - .offset:         256
        .size:           8
        .value_kind:     hidden_global_offset_y
      - .offset:         264
        .size:           8
        .value_kind:     hidden_global_offset_z
      - .offset:         272
        .size:           2
        .value_kind:     hidden_grid_dims
    .group_segment_fixed_size: 37888
    .kernarg_segment_align: 8
    .kernarg_segment_size: 464
    .language:       OpenCL C
    .language_version:
      - 2
      - 0
    .max_flat_workgroup_size: 256
    .name:           _ZL15flash_attn_tileILi256ELi256ELi16ELi2ELb0EEvPKcS1_S1_S1_S1_PKiPfP15HIP_vector_typeIfLj2EEffffjfiS5_IjLj3EEiiiiiiiiiiiliiliiiiil
    .private_segment_fixed_size: 0
    .sgpr_count:     47
    .sgpr_spill_count: 0
    .symbol:         _ZL15flash_attn_tileILi256ELi256ELi16ELi2ELb0EEvPKcS1_S1_S1_S1_PKiPfP15HIP_vector_typeIfLj2EEffffjfiS5_IjLj3EEiiiiiiiiiiiliiliiiiil.kd
    .uniform_work_group_size: 1
    .uses_dynamic_stack: false
    .vgpr_count:     138
    .vgpr_spill_count: 0
    .wavefront_size: 32
  - .args:
      - .actual_access:  read_only
        .address_space:  global
        .offset:         0
        .size:           8
        .value_kind:     global_buffer
      - .actual_access:  write_only
        .address_space:  global
        .offset:         8
        .size:           8
        .value_kind:     global_buffer
      - .offset:         16
        .size:           4
        .value_kind:     by_value
      - .offset:         20
        .size:           4
        .value_kind:     by_value
      - .offset:         24
        .size:           4
        .value_kind:     by_value
      - .offset:         32
        .size:           4
        .value_kind:     hidden_block_count_x
      - .offset:         36
        .size:           4
        .value_kind:     hidden_block_count_y
      - .offset:         40
        .size:           4
        .value_kind:     hidden_block_count_z
      - .offset:         44
        .size:           2
        .value_kind:     hidden_group_size_x
      - .offset:         46
        .size:           2
        .value_kind:     hidden_group_size_y
      - .offset:         48
        .size:           2
        .value_kind:     hidden_group_size_z
      - .offset:         50
        .size:           2
        .value_kind:     hidden_remainder_x
      - .offset:         52
        .size:           2
        .value_kind:     hidden_remainder_y
      - .offset:         54
        .size:           2
        .value_kind:     hidden_remainder_z
      - .offset:         72
        .size:           8
        .value_kind:     hidden_global_offset_x
      - .offset:         80
        .size:           8
        .value_kind:     hidden_global_offset_y
      - .offset:         88
        .size:           8
        .value_kind:     hidden_global_offset_z
      - .offset:         96
        .size:           2
        .value_kind:     hidden_grid_dims
    .group_segment_fixed_size: 128
    .kernarg_segment_align: 8
    .kernarg_segment_size: 288
    .language:       OpenCL C
    .language_version:
      - 2
      - 0
    .max_flat_workgroup_size: 128
    .name:           _ZL25flash_attn_mask_to_KV_maxILi16EEvPK7__half2Piiii
    .private_segment_fixed_size: 0
    .sgpr_count:     46
    .sgpr_spill_count: 0
    .symbol:         _ZL25flash_attn_mask_to_KV_maxILi16EEvPK7__half2Piiii.kd
    .uniform_work_group_size: 1
    .uses_dynamic_stack: false
    .vgpr_count:     6
    .vgpr_spill_count: 0
    .wavefront_size: 32
  - .args:
      - .address_space:  global
        .offset:         0
        .size:           8
        .value_kind:     global_buffer
      - .address_space:  global
        .offset:         8
        .size:           8
        .value_kind:     global_buffer
      - .offset:         16
        .size:           4
        .value_kind:     by_value
      - .offset:         20
        .size:           4
        .value_kind:     by_value
      - .offset:         24
        .size:           4
        .value_kind:     by_value
      - .offset:         28
        .size:           4
        .value_kind:     by_value
      - .offset:         32
        .size:           4
        .value_kind:     by_value
      - .offset:         36
        .size:           4
        .value_kind:     by_value
      - .offset:         40
        .size:           12
        .value_kind:     by_value
      - .offset:         52
        .size:           12
        .value_kind:     by_value
      - .offset:         64
        .size:           12
        .value_kind:     by_value
    .group_segment_fixed_size: 0
    .kernarg_segment_align: 8
    .kernarg_segment_size: 76
    .language:       OpenCL C
    .language_version:
      - 2
      - 0
    .max_flat_workgroup_size: 256
    .name:           _ZL33flash_attn_stream_k_fixup_uniformILi256ELi16ELi2EEvPfPK15HIP_vector_typeIfLj2EEiiiiiiS1_IjLj3EES5_S5_
    .private_segment_fixed_size: 0
    .sgpr_count:     23
    .sgpr_spill_count: 0
    .symbol:         _ZL33flash_attn_stream_k_fixup_uniformILi256ELi16ELi2EEvPfPK15HIP_vector_typeIfLj2EEiiiiiiS1_IjLj3EES5_S5_.kd
    .uniform_work_group_size: 1
    .uses_dynamic_stack: false
    .vgpr_count:     12
    .vgpr_spill_count: 0
    .wavefront_size: 32
  - .args:
      - .address_space:  global
        .offset:         0
        .size:           8
        .value_kind:     global_buffer
      - .address_space:  global
        .offset:         8
        .size:           8
        .value_kind:     global_buffer
      - .offset:         16
        .size:           4
        .value_kind:     by_value
      - .offset:         20
        .size:           4
        .value_kind:     by_value
      - .offset:         24
        .size:           4
        .value_kind:     by_value
      - .offset:         28
        .size:           4
        .value_kind:     by_value
      - .offset:         32
        .size:           12
        .value_kind:     by_value
      - .offset:         44
        .size:           12
        .value_kind:     by_value
      - .offset:         56
        .size:           12
        .value_kind:     by_value
      - .offset:         68
        .size:           12
        .value_kind:     by_value
      - .offset:         80
        .size:           4
        .value_kind:     hidden_block_count_x
      - .offset:         84
        .size:           4
        .value_kind:     hidden_block_count_y
      - .offset:         88
        .size:           4
        .value_kind:     hidden_block_count_z
      - .offset:         92
        .size:           2
        .value_kind:     hidden_group_size_x
      - .offset:         94
        .size:           2
        .value_kind:     hidden_group_size_y
      - .offset:         96
        .size:           2
        .value_kind:     hidden_group_size_z
      - .offset:         98
        .size:           2
        .value_kind:     hidden_remainder_x
      - .offset:         100
        .size:           2
        .value_kind:     hidden_remainder_y
      - .offset:         102
        .size:           2
        .value_kind:     hidden_remainder_z
      - .offset:         120
        .size:           8
        .value_kind:     hidden_global_offset_x
      - .offset:         128
        .size:           8
        .value_kind:     hidden_global_offset_y
      - .offset:         136
        .size:           8
        .value_kind:     hidden_global_offset_z
      - .offset:         144
        .size:           2
        .value_kind:     hidden_grid_dims
    .group_segment_fixed_size: 0
    .kernarg_segment_align: 8
    .kernarg_segment_size: 336
    .language:       OpenCL C
    .language_version:
      - 2
      - 0
    .max_flat_workgroup_size: 256
    .name:           _ZL33flash_attn_stream_k_fixup_generalILi256ELi16ELi2EEvPfPK15HIP_vector_typeIfLj2EEiiiiS1_IjLj3EES5_S5_S5_
    .private_segment_fixed_size: 0
    .sgpr_count:     48
    .sgpr_spill_count: 0
    .symbol:         _ZL33flash_attn_stream_k_fixup_generalILi256ELi16ELi2EEvPfPK15HIP_vector_typeIfLj2EEiiiiS1_IjLj3EES5_S5_S5_.kd
    .uniform_work_group_size: 1
    .uses_dynamic_stack: false
    .vgpr_count:     12
    .vgpr_spill_count: 0
    .wavefront_size: 32
  - .args:
      - .address_space:  global
        .offset:         0
        .size:           8
        .value_kind:     global_buffer
      - .address_space:  global
        .offset:         8
        .size:           8
        .value_kind:     global_buffer
      - .address_space:  global
        .offset:         16
        .size:           8
        .value_kind:     global_buffer
      - .address_space:  global
        .offset:         24
        .size:           8
        .value_kind:     global_buffer
      - .address_space:  global
        .offset:         32
        .size:           8
        .value_kind:     global_buffer
      - .address_space:  global
        .offset:         40
        .size:           8
        .value_kind:     global_buffer
      - .address_space:  global
        .offset:         48
        .size:           8
        .value_kind:     global_buffer
      - .address_space:  global
        .offset:         56
        .size:           8
        .value_kind:     global_buffer
      - .offset:         64
        .size:           4
        .value_kind:     by_value
      - .offset:         68
        .size:           4
        .value_kind:     by_value
      - .offset:         72
        .size:           4
        .value_kind:     by_value
      - .offset:         76
        .size:           4
        .value_kind:     by_value
      - .offset:         80
        .size:           4
        .value_kind:     by_value
      - .offset:         84
        .size:           4
        .value_kind:     by_value
      - .offset:         88
        .size:           4
        .value_kind:     by_value
      - .offset:         92
        .size:           12
        .value_kind:     by_value
      - .offset:         104
        .size:           4
        .value_kind:     by_value
      - .offset:         108
        .size:           4
        .value_kind:     by_value
      - .offset:         112
        .size:           4
        .value_kind:     by_value
      - .offset:         116
        .size:           4
        .value_kind:     by_value
      - .offset:         120
        .size:           4
        .value_kind:     by_value
      - .offset:         124
        .size:           4
        .value_kind:     by_value
      - .offset:         128
        .size:           4
        .value_kind:     by_value
      - .offset:         132
        .size:           4
        .value_kind:     by_value
      - .offset:         136
        .size:           4
        .value_kind:     by_value
      - .offset:         140
        .size:           4
        .value_kind:     by_value
      - .offset:         144
        .size:           4
        .value_kind:     by_value
      - .offset:         152
        .size:           8
        .value_kind:     by_value
      - .offset:         160
        .size:           4
        .value_kind:     by_value
      - .offset:         164
        .size:           4
        .value_kind:     by_value
      - .offset:         168
        .size:           8
        .value_kind:     by_value
      - .offset:         176
        .size:           4
        .value_kind:     by_value
      - .offset:         180
        .size:           4
        .value_kind:     by_value
      - .offset:         184
        .size:           4
        .value_kind:     by_value
      - .offset:         188
        .size:           4
        .value_kind:     by_value
      - .offset:         192
        .size:           4
        .value_kind:     by_value
      - .offset:         200
        .size:           8
        .value_kind:     by_value
      - .offset:         208
        .size:           4
        .value_kind:     hidden_block_count_x
      - .offset:         212
        .size:           4
        .value_kind:     hidden_block_count_y
      - .offset:         216
        .size:           4
        .value_kind:     hidden_block_count_z
      - .offset:         220
        .size:           2
        .value_kind:     hidden_group_size_x
      - .offset:         222
        .size:           2
        .value_kind:     hidden_group_size_y
      - .offset:         224
        .size:           2
        .value_kind:     hidden_group_size_z
      - .offset:         226
        .size:           2
        .value_kind:     hidden_remainder_x
      - .offset:         228
        .size:           2
        .value_kind:     hidden_remainder_y
      - .offset:         230
        .size:           2
        .value_kind:     hidden_remainder_z
      - .offset:         248
        .size:           8
        .value_kind:     hidden_global_offset_x
      - .offset:         256
        .size:           8
        .value_kind:     hidden_global_offset_y
      - .offset:         264
        .size:           8
        .value_kind:     hidden_global_offset_z
      - .offset:         272
        .size:           2
        .value_kind:     hidden_grid_dims
    .group_segment_fixed_size: 26112
    .kernarg_segment_align: 8
    .kernarg_segment_size: 464
    .language:       OpenCL C
    .language_version:
      - 2
      - 0
    .max_flat_workgroup_size: 256
    .name:           _ZL15flash_attn_tileILi256ELi256ELi8ELi2ELb0EEvPKcS1_S1_S1_S1_PKiPfP15HIP_vector_typeIfLj2EEffffjfiS5_IjLj3EEiiiiiiiiiiiliiliiiiil
    .private_segment_fixed_size: 0
    .sgpr_count:     45
    .sgpr_spill_count: 0
    .symbol:         _ZL15flash_attn_tileILi256ELi256ELi8ELi2ELb0EEvPKcS1_S1_S1_S1_PKiPfP15HIP_vector_typeIfLj2EEffffjfiS5_IjLj3EEiiiiiiiiiiiliiliiiiil.kd
    .uniform_work_group_size: 1
    .uses_dynamic_stack: false
    .vgpr_count:     84
    .vgpr_spill_count: 0
    .wavefront_size: 32
  - .args:
      - .address_space:  global
        .offset:         0
        .size:           8
        .value_kind:     global_buffer
      - .address_space:  global
        .offset:         8
        .size:           8
        .value_kind:     global_buffer
      - .offset:         16
        .size:           4
        .value_kind:     by_value
      - .offset:         20
        .size:           4
        .value_kind:     by_value
      - .offset:         24
        .size:           4
        .value_kind:     by_value
      - .offset:         28
        .size:           4
        .value_kind:     by_value
      - .offset:         32
        .size:           4
        .value_kind:     by_value
      - .offset:         36
        .size:           4
        .value_kind:     by_value
      - .offset:         40
        .size:           12
        .value_kind:     by_value
      - .offset:         52
        .size:           12
        .value_kind:     by_value
      - .offset:         64
        .size:           12
        .value_kind:     by_value
    .group_segment_fixed_size: 0
    .kernarg_segment_align: 8
    .kernarg_segment_size: 76
    .language:       OpenCL C
    .language_version:
      - 2
      - 0
    .max_flat_workgroup_size: 256
    .name:           _ZL33flash_attn_stream_k_fixup_uniformILi256ELi8ELi2EEvPfPK15HIP_vector_typeIfLj2EEiiiiiiS1_IjLj3EES5_S5_
    .private_segment_fixed_size: 0
    .sgpr_count:     23
    .sgpr_spill_count: 0
    .symbol:         _ZL33flash_attn_stream_k_fixup_uniformILi256ELi8ELi2EEvPfPK15HIP_vector_typeIfLj2EEiiiiiiS1_IjLj3EES5_S5_.kd
    .uniform_work_group_size: 1
    .uses_dynamic_stack: false
    .vgpr_count:     12
    .vgpr_spill_count: 0
    .wavefront_size: 32
  - .args:
      - .address_space:  global
        .offset:         0
        .size:           8
        .value_kind:     global_buffer
      - .address_space:  global
        .offset:         8
        .size:           8
        .value_kind:     global_buffer
      - .offset:         16
        .size:           4
        .value_kind:     by_value
      - .offset:         20
        .size:           4
        .value_kind:     by_value
      - .offset:         24
        .size:           4
        .value_kind:     by_value
      - .offset:         28
        .size:           4
        .value_kind:     by_value
      - .offset:         32
        .size:           12
        .value_kind:     by_value
      - .offset:         44
        .size:           12
        .value_kind:     by_value
      - .offset:         56
        .size:           12
        .value_kind:     by_value
      - .offset:         68
        .size:           12
        .value_kind:     by_value
      - .offset:         80
        .size:           4
        .value_kind:     hidden_block_count_x
      - .offset:         84
        .size:           4
        .value_kind:     hidden_block_count_y
      - .offset:         88
        .size:           4
        .value_kind:     hidden_block_count_z
      - .offset:         92
        .size:           2
        .value_kind:     hidden_group_size_x
      - .offset:         94
        .size:           2
        .value_kind:     hidden_group_size_y
      - .offset:         96
        .size:           2
        .value_kind:     hidden_group_size_z
      - .offset:         98
        .size:           2
        .value_kind:     hidden_remainder_x
      - .offset:         100
        .size:           2
        .value_kind:     hidden_remainder_y
      - .offset:         102
        .size:           2
        .value_kind:     hidden_remainder_z
      - .offset:         120
        .size:           8
        .value_kind:     hidden_global_offset_x
      - .offset:         128
        .size:           8
        .value_kind:     hidden_global_offset_y
      - .offset:         136
        .size:           8
        .value_kind:     hidden_global_offset_z
      - .offset:         144
        .size:           2
        .value_kind:     hidden_grid_dims
    .group_segment_fixed_size: 0
    .kernarg_segment_align: 8
    .kernarg_segment_size: 336
    .language:       OpenCL C
    .language_version:
      - 2
      - 0
    .max_flat_workgroup_size: 256
    .name:           _ZL33flash_attn_stream_k_fixup_generalILi256ELi8ELi2EEvPfPK15HIP_vector_typeIfLj2EEiiiiS1_IjLj3EES5_S5_S5_
    .private_segment_fixed_size: 0
    .sgpr_count:     48
    .sgpr_spill_count: 0
    .symbol:         _ZL33flash_attn_stream_k_fixup_generalILi256ELi8ELi2EEvPfPK15HIP_vector_typeIfLj2EEiiiiS1_IjLj3EES5_S5_S5_.kd
    .uniform_work_group_size: 1
    .uses_dynamic_stack: false
    .vgpr_count:     12
    .vgpr_spill_count: 0
    .wavefront_size: 32
  - .args:
      - .address_space:  global
        .offset:         0
        .size:           8
        .value_kind:     global_buffer
      - .address_space:  global
        .offset:         8
        .size:           8
        .value_kind:     global_buffer
      - .address_space:  global
        .offset:         16
        .size:           8
        .value_kind:     global_buffer
      - .address_space:  global
        .offset:         24
        .size:           8
        .value_kind:     global_buffer
      - .address_space:  global
        .offset:         32
        .size:           8
        .value_kind:     global_buffer
      - .address_space:  global
        .offset:         40
        .size:           8
        .value_kind:     global_buffer
      - .address_space:  global
        .offset:         48
        .size:           8
        .value_kind:     global_buffer
      - .address_space:  global
        .offset:         56
        .size:           8
        .value_kind:     global_buffer
      - .offset:         64
        .size:           4
        .value_kind:     by_value
      - .offset:         68
        .size:           4
        .value_kind:     by_value
      - .offset:         72
        .size:           4
        .value_kind:     by_value
      - .offset:         76
        .size:           4
        .value_kind:     by_value
      - .offset:         80
        .size:           4
        .value_kind:     by_value
      - .offset:         84
        .size:           4
        .value_kind:     by_value
      - .offset:         88
        .size:           4
        .value_kind:     by_value
      - .offset:         92
        .size:           12
        .value_kind:     by_value
      - .offset:         104
        .size:           4
        .value_kind:     by_value
      - .offset:         108
        .size:           4
        .value_kind:     by_value
      - .offset:         112
        .size:           4
        .value_kind:     by_value
      - .offset:         116
        .size:           4
        .value_kind:     by_value
      - .offset:         120
        .size:           4
        .value_kind:     by_value
      - .offset:         124
        .size:           4
        .value_kind:     by_value
      - .offset:         128
        .size:           4
        .value_kind:     by_value
      - .offset:         132
        .size:           4
        .value_kind:     by_value
      - .offset:         136
        .size:           4
        .value_kind:     by_value
      - .offset:         140
        .size:           4
        .value_kind:     by_value
      - .offset:         144
        .size:           4
        .value_kind:     by_value
      - .offset:         152
        .size:           8
        .value_kind:     by_value
      - .offset:         160
        .size:           4
        .value_kind:     by_value
      - .offset:         164
        .size:           4
        .value_kind:     by_value
      - .offset:         168
        .size:           8
        .value_kind:     by_value
      - .offset:         176
        .size:           4
        .value_kind:     by_value
      - .offset:         180
        .size:           4
        .value_kind:     by_value
      - .offset:         184
        .size:           4
        .value_kind:     by_value
      - .offset:         188
        .size:           4
        .value_kind:     by_value
      - .offset:         192
        .size:           4
        .value_kind:     by_value
      - .offset:         200
        .size:           8
        .value_kind:     by_value
      - .offset:         208
        .size:           4
        .value_kind:     hidden_block_count_x
      - .offset:         212
        .size:           4
        .value_kind:     hidden_block_count_y
      - .offset:         216
        .size:           4
        .value_kind:     hidden_block_count_z
      - .offset:         220
        .size:           2
        .value_kind:     hidden_group_size_x
      - .offset:         222
        .size:           2
        .value_kind:     hidden_group_size_y
      - .offset:         224
        .size:           2
        .value_kind:     hidden_group_size_z
      - .offset:         226
        .size:           2
        .value_kind:     hidden_remainder_x
      - .offset:         228
        .size:           2
        .value_kind:     hidden_remainder_y
      - .offset:         230
        .size:           2
        .value_kind:     hidden_remainder_z
      - .offset:         248
        .size:           8
        .value_kind:     hidden_global_offset_x
      - .offset:         256
        .size:           8
        .value_kind:     hidden_global_offset_y
      - .offset:         264
        .size:           8
        .value_kind:     hidden_global_offset_z
      - .offset:         272
        .size:           2
        .value_kind:     hidden_grid_dims
    .group_segment_fixed_size: 21504
    .kernarg_segment_align: 8
    .kernarg_segment_size: 464
    .language:       OpenCL C
    .language_version:
      - 2
      - 0
    .max_flat_workgroup_size: 128
    .name:           _ZL15flash_attn_tileILi256ELi256ELi4ELi2ELb0EEvPKcS1_S1_S1_S1_PKiPfP15HIP_vector_typeIfLj2EEffffjfiS5_IjLj3EEiiiiiiiiiiiliiliiiiil
    .private_segment_fixed_size: 0
    .sgpr_count:     45
    .sgpr_spill_count: 0
    .symbol:         _ZL15flash_attn_tileILi256ELi256ELi4ELi2ELb0EEvPKcS1_S1_S1_S1_PKiPfP15HIP_vector_typeIfLj2EEffffjfiS5_IjLj3EEiiiiiiiiiiiliiliiiiil.kd
    .uniform_work_group_size: 1
    .uses_dynamic_stack: false
    .vgpr_count:     116
    .vgpr_spill_count: 0
    .wavefront_size: 32
  - .args:
      - .address_space:  global
        .offset:         0
        .size:           8
        .value_kind:     global_buffer
      - .address_space:  global
        .offset:         8
        .size:           8
        .value_kind:     global_buffer
      - .offset:         16
        .size:           4
        .value_kind:     by_value
      - .offset:         20
        .size:           4
        .value_kind:     by_value
      - .offset:         24
        .size:           4
        .value_kind:     by_value
      - .offset:         28
        .size:           4
        .value_kind:     by_value
      - .offset:         32
        .size:           4
        .value_kind:     by_value
      - .offset:         36
        .size:           4
        .value_kind:     by_value
      - .offset:         40
        .size:           12
        .value_kind:     by_value
      - .offset:         52
        .size:           12
        .value_kind:     by_value
      - .offset:         64
        .size:           12
        .value_kind:     by_value
    .group_segment_fixed_size: 0
    .kernarg_segment_align: 8
    .kernarg_segment_size: 76
    .language:       OpenCL C
    .language_version:
      - 2
      - 0
    .max_flat_workgroup_size: 256
    .name:           _ZL33flash_attn_stream_k_fixup_uniformILi256ELi4ELi2EEvPfPK15HIP_vector_typeIfLj2EEiiiiiiS1_IjLj3EES5_S5_
    .private_segment_fixed_size: 0
    .sgpr_count:     23
    .sgpr_spill_count: 0
    .symbol:         _ZL33flash_attn_stream_k_fixup_uniformILi256ELi4ELi2EEvPfPK15HIP_vector_typeIfLj2EEiiiiiiS1_IjLj3EES5_S5_.kd
    .uniform_work_group_size: 1
    .uses_dynamic_stack: false
    .vgpr_count:     12
    .vgpr_spill_count: 0
    .wavefront_size: 32
  - .args:
      - .address_space:  global
        .offset:         0
        .size:           8
        .value_kind:     global_buffer
      - .address_space:  global
        .offset:         8
        .size:           8
        .value_kind:     global_buffer
      - .offset:         16
        .size:           4
        .value_kind:     by_value
      - .offset:         20
        .size:           4
        .value_kind:     by_value
      - .offset:         24
        .size:           4
        .value_kind:     by_value
      - .offset:         28
        .size:           4
        .value_kind:     by_value
      - .offset:         32
        .size:           12
        .value_kind:     by_value
      - .offset:         44
        .size:           12
        .value_kind:     by_value
      - .offset:         56
        .size:           12
        .value_kind:     by_value
      - .offset:         68
        .size:           12
        .value_kind:     by_value
      - .offset:         80
        .size:           4
        .value_kind:     hidden_block_count_x
      - .offset:         84
        .size:           4
        .value_kind:     hidden_block_count_y
      - .offset:         88
        .size:           4
        .value_kind:     hidden_block_count_z
      - .offset:         92
        .size:           2
        .value_kind:     hidden_group_size_x
      - .offset:         94
        .size:           2
        .value_kind:     hidden_group_size_y
      - .offset:         96
        .size:           2
        .value_kind:     hidden_group_size_z
      - .offset:         98
        .size:           2
        .value_kind:     hidden_remainder_x
      - .offset:         100
        .size:           2
        .value_kind:     hidden_remainder_y
      - .offset:         102
        .size:           2
        .value_kind:     hidden_remainder_z
      - .offset:         120
        .size:           8
        .value_kind:     hidden_global_offset_x
      - .offset:         128
        .size:           8
        .value_kind:     hidden_global_offset_y
      - .offset:         136
        .size:           8
        .value_kind:     hidden_global_offset_z
      - .offset:         144
        .size:           2
        .value_kind:     hidden_grid_dims
    .group_segment_fixed_size: 0
    .kernarg_segment_align: 8
    .kernarg_segment_size: 336
    .language:       OpenCL C
    .language_version:
      - 2
      - 0
    .max_flat_workgroup_size: 256
    .name:           _ZL33flash_attn_stream_k_fixup_generalILi256ELi4ELi2EEvPfPK15HIP_vector_typeIfLj2EEiiiiS1_IjLj3EES5_S5_S5_
    .private_segment_fixed_size: 0
    .sgpr_count:     48
    .sgpr_spill_count: 0
    .symbol:         _ZL33flash_attn_stream_k_fixup_generalILi256ELi4ELi2EEvPfPK15HIP_vector_typeIfLj2EEiiiiS1_IjLj3EES5_S5_S5_.kd
    .uniform_work_group_size: 1
    .uses_dynamic_stack: false
    .vgpr_count:     12
    .vgpr_spill_count: 0
    .wavefront_size: 32
  - .args:
      - .address_space:  global
        .offset:         0
        .size:           8
        .value_kind:     global_buffer
      - .address_space:  global
        .offset:         8
        .size:           8
        .value_kind:     global_buffer
      - .address_space:  global
        .offset:         16
        .size:           8
        .value_kind:     global_buffer
      - .address_space:  global
        .offset:         24
        .size:           8
        .value_kind:     global_buffer
      - .address_space:  global
        .offset:         32
        .size:           8
        .value_kind:     global_buffer
      - .address_space:  global
        .offset:         40
        .size:           8
        .value_kind:     global_buffer
      - .address_space:  global
        .offset:         48
        .size:           8
        .value_kind:     global_buffer
      - .address_space:  global
        .offset:         56
        .size:           8
        .value_kind:     global_buffer
      - .offset:         64
        .size:           4
        .value_kind:     by_value
      - .offset:         68
        .size:           4
        .value_kind:     by_value
      - .offset:         72
        .size:           4
        .value_kind:     by_value
      - .offset:         76
        .size:           4
        .value_kind:     by_value
      - .offset:         80
        .size:           4
        .value_kind:     by_value
      - .offset:         84
        .size:           4
        .value_kind:     by_value
      - .offset:         88
        .size:           4
        .value_kind:     by_value
      - .offset:         92
        .size:           12
        .value_kind:     by_value
      - .offset:         104
        .size:           4
        .value_kind:     by_value
      - .offset:         108
        .size:           4
        .value_kind:     by_value
      - .offset:         112
        .size:           4
        .value_kind:     by_value
      - .offset:         116
        .size:           4
        .value_kind:     by_value
      - .offset:         120
        .size:           4
        .value_kind:     by_value
      - .offset:         124
        .size:           4
        .value_kind:     by_value
      - .offset:         128
        .size:           4
        .value_kind:     by_value
      - .offset:         132
        .size:           4
        .value_kind:     by_value
      - .offset:         136
        .size:           4
        .value_kind:     by_value
      - .offset:         140
        .size:           4
        .value_kind:     by_value
      - .offset:         144
        .size:           4
        .value_kind:     by_value
      - .offset:         152
        .size:           8
        .value_kind:     by_value
      - .offset:         160
        .size:           4
        .value_kind:     by_value
      - .offset:         164
        .size:           4
        .value_kind:     by_value
      - .offset:         168
        .size:           8
        .value_kind:     by_value
      - .offset:         176
        .size:           4
        .value_kind:     by_value
      - .offset:         180
        .size:           4
        .value_kind:     by_value
      - .offset:         184
        .size:           4
        .value_kind:     by_value
      - .offset:         188
        .size:           4
        .value_kind:     by_value
      - .offset:         192
        .size:           4
        .value_kind:     by_value
      - .offset:         200
        .size:           8
        .value_kind:     by_value
      - .offset:         208
        .size:           4
        .value_kind:     hidden_block_count_x
      - .offset:         212
        .size:           4
        .value_kind:     hidden_block_count_y
      - .offset:         216
        .size:           4
        .value_kind:     hidden_block_count_z
      - .offset:         220
        .size:           2
        .value_kind:     hidden_group_size_x
      - .offset:         222
        .size:           2
        .value_kind:     hidden_group_size_y
      - .offset:         224
        .size:           2
        .value_kind:     hidden_group_size_z
      - .offset:         226
        .size:           2
        .value_kind:     hidden_remainder_x
      - .offset:         228
        .size:           2
        .value_kind:     hidden_remainder_y
      - .offset:         230
        .size:           2
        .value_kind:     hidden_remainder_z
      - .offset:         248
        .size:           8
        .value_kind:     hidden_global_offset_x
      - .offset:         256
        .size:           8
        .value_kind:     hidden_global_offset_y
      - .offset:         264
        .size:           8
        .value_kind:     hidden_global_offset_z
      - .offset:         272
        .size:           2
        .value_kind:     hidden_grid_dims
    .group_segment_fixed_size: 19200
    .kernarg_segment_align: 8
    .kernarg_segment_size: 464
    .language:       OpenCL C
    .language_version:
      - 2
      - 0
    .max_flat_workgroup_size: 128
    .name:           _ZL15flash_attn_tileILi256ELi256ELi2ELi2ELb0EEvPKcS1_S1_S1_S1_PKiPfP15HIP_vector_typeIfLj2EEffffjfiS5_IjLj3EEiiiiiiiiiiiliiliiiiil
    .private_segment_fixed_size: 0
    .sgpr_count:     45
    .sgpr_spill_count: 0
    .symbol:         _ZL15flash_attn_tileILi256ELi256ELi2ELi2ELb0EEvPKcS1_S1_S1_S1_PKiPfP15HIP_vector_typeIfLj2EEffffjfiS5_IjLj3EEiiiiiiiiiiiliiliiiiil.kd
    .uniform_work_group_size: 1
    .uses_dynamic_stack: false
    .vgpr_count:     102
    .vgpr_spill_count: 0
    .wavefront_size: 32
  - .args:
      - .address_space:  global
        .offset:         0
        .size:           8
        .value_kind:     global_buffer
      - .address_space:  global
        .offset:         8
        .size:           8
        .value_kind:     global_buffer
      - .offset:         16
        .size:           4
        .value_kind:     by_value
      - .offset:         20
        .size:           4
        .value_kind:     by_value
      - .offset:         24
        .size:           4
        .value_kind:     by_value
      - .offset:         28
        .size:           4
        .value_kind:     by_value
      - .offset:         32
        .size:           4
        .value_kind:     by_value
      - .offset:         36
        .size:           4
        .value_kind:     by_value
      - .offset:         40
        .size:           12
        .value_kind:     by_value
      - .offset:         52
        .size:           12
        .value_kind:     by_value
      - .offset:         64
        .size:           12
        .value_kind:     by_value
    .group_segment_fixed_size: 0
    .kernarg_segment_align: 8
    .kernarg_segment_size: 76
    .language:       OpenCL C
    .language_version:
      - 2
      - 0
    .max_flat_workgroup_size: 256
    .name:           _ZL33flash_attn_stream_k_fixup_uniformILi256ELi2ELi2EEvPfPK15HIP_vector_typeIfLj2EEiiiiiiS1_IjLj3EES5_S5_
    .private_segment_fixed_size: 0
    .sgpr_count:     23
    .sgpr_spill_count: 0
    .symbol:         _ZL33flash_attn_stream_k_fixup_uniformILi256ELi2ELi2EEvPfPK15HIP_vector_typeIfLj2EEiiiiiiS1_IjLj3EES5_S5_.kd
    .uniform_work_group_size: 1
    .uses_dynamic_stack: false
    .vgpr_count:     12
    .vgpr_spill_count: 0
    .wavefront_size: 32
  - .args:
      - .address_space:  global
        .offset:         0
        .size:           8
        .value_kind:     global_buffer
      - .address_space:  global
        .offset:         8
        .size:           8
        .value_kind:     global_buffer
      - .offset:         16
        .size:           4
        .value_kind:     by_value
      - .offset:         20
        .size:           4
        .value_kind:     by_value
      - .offset:         24
        .size:           4
        .value_kind:     by_value
      - .offset:         28
        .size:           4
        .value_kind:     by_value
      - .offset:         32
        .size:           12
        .value_kind:     by_value
      - .offset:         44
        .size:           12
        .value_kind:     by_value
      - .offset:         56
        .size:           12
        .value_kind:     by_value
      - .offset:         68
        .size:           12
        .value_kind:     by_value
      - .offset:         80
        .size:           4
        .value_kind:     hidden_block_count_x
      - .offset:         84
        .size:           4
        .value_kind:     hidden_block_count_y
      - .offset:         88
        .size:           4
        .value_kind:     hidden_block_count_z
      - .offset:         92
        .size:           2
        .value_kind:     hidden_group_size_x
      - .offset:         94
        .size:           2
        .value_kind:     hidden_group_size_y
      - .offset:         96
        .size:           2
        .value_kind:     hidden_group_size_z
      - .offset:         98
        .size:           2
        .value_kind:     hidden_remainder_x
      - .offset:         100
        .size:           2
        .value_kind:     hidden_remainder_y
      - .offset:         102
        .size:           2
        .value_kind:     hidden_remainder_z
      - .offset:         120
        .size:           8
        .value_kind:     hidden_global_offset_x
      - .offset:         128
        .size:           8
        .value_kind:     hidden_global_offset_y
      - .offset:         136
        .size:           8
        .value_kind:     hidden_global_offset_z
      - .offset:         144
        .size:           2
        .value_kind:     hidden_grid_dims
    .group_segment_fixed_size: 0
    .kernarg_segment_align: 8
    .kernarg_segment_size: 336
    .language:       OpenCL C
    .language_version:
      - 2
      - 0
    .max_flat_workgroup_size: 256
    .name:           _ZL33flash_attn_stream_k_fixup_generalILi256ELi2ELi2EEvPfPK15HIP_vector_typeIfLj2EEiiiiS1_IjLj3EES5_S5_S5_
    .private_segment_fixed_size: 0
    .sgpr_count:     48
    .sgpr_spill_count: 0
    .symbol:         _ZL33flash_attn_stream_k_fixup_generalILi256ELi2ELi2EEvPfPK15HIP_vector_typeIfLj2EEiiiiS1_IjLj3EES5_S5_S5_.kd
    .uniform_work_group_size: 1
    .uses_dynamic_stack: false
    .vgpr_count:     12
    .vgpr_spill_count: 0
    .wavefront_size: 32
  - .args:
      - .address_space:  global
        .offset:         0
        .size:           8
        .value_kind:     global_buffer
      - .address_space:  global
        .offset:         8
        .size:           8
        .value_kind:     global_buffer
      - .address_space:  global
        .offset:         16
        .size:           8
        .value_kind:     global_buffer
      - .address_space:  global
        .offset:         24
        .size:           8
        .value_kind:     global_buffer
      - .address_space:  global
        .offset:         32
        .size:           8
        .value_kind:     global_buffer
      - .address_space:  global
        .offset:         40
        .size:           8
        .value_kind:     global_buffer
      - .address_space:  global
        .offset:         48
        .size:           8
        .value_kind:     global_buffer
      - .address_space:  global
        .offset:         56
        .size:           8
        .value_kind:     global_buffer
      - .offset:         64
        .size:           4
        .value_kind:     by_value
      - .offset:         68
        .size:           4
        .value_kind:     by_value
      - .offset:         72
        .size:           4
        .value_kind:     by_value
      - .offset:         76
        .size:           4
        .value_kind:     by_value
      - .offset:         80
        .size:           4
        .value_kind:     by_value
      - .offset:         84
        .size:           4
        .value_kind:     by_value
      - .offset:         88
        .size:           4
        .value_kind:     by_value
      - .offset:         92
        .size:           12
        .value_kind:     by_value
      - .offset:         104
        .size:           4
        .value_kind:     by_value
      - .offset:         108
        .size:           4
        .value_kind:     by_value
      - .offset:         112
        .size:           4
        .value_kind:     by_value
      - .offset:         116
        .size:           4
        .value_kind:     by_value
      - .offset:         120
        .size:           4
        .value_kind:     by_value
      - .offset:         124
        .size:           4
        .value_kind:     by_value
      - .offset:         128
        .size:           4
        .value_kind:     by_value
      - .offset:         132
        .size:           4
        .value_kind:     by_value
      - .offset:         136
        .size:           4
        .value_kind:     by_value
      - .offset:         140
        .size:           4
        .value_kind:     by_value
      - .offset:         144
        .size:           4
        .value_kind:     by_value
      - .offset:         152
        .size:           8
        .value_kind:     by_value
      - .offset:         160
        .size:           4
        .value_kind:     by_value
      - .offset:         164
        .size:           4
        .value_kind:     by_value
      - .offset:         168
        .size:           8
        .value_kind:     by_value
      - .offset:         176
        .size:           4
        .value_kind:     by_value
      - .offset:         180
        .size:           4
        .value_kind:     by_value
      - .offset:         184
        .size:           4
        .value_kind:     by_value
      - .offset:         188
        .size:           4
        .value_kind:     by_value
      - .offset:         192
        .size:           4
        .value_kind:     by_value
      - .offset:         200
        .size:           8
        .value_kind:     by_value
      - .offset:         208
        .size:           4
        .value_kind:     hidden_block_count_x
      - .offset:         212
        .size:           4
        .value_kind:     hidden_block_count_y
      - .offset:         216
        .size:           4
        .value_kind:     hidden_block_count_z
      - .offset:         220
        .size:           2
        .value_kind:     hidden_group_size_x
      - .offset:         222
        .size:           2
        .value_kind:     hidden_group_size_y
      - .offset:         224
        .size:           2
        .value_kind:     hidden_group_size_z
      - .offset:         226
        .size:           2
        .value_kind:     hidden_remainder_x
      - .offset:         228
        .size:           2
        .value_kind:     hidden_remainder_y
      - .offset:         230
        .size:           2
        .value_kind:     hidden_remainder_z
      - .offset:         248
        .size:           8
        .value_kind:     hidden_global_offset_x
      - .offset:         256
        .size:           8
        .value_kind:     hidden_global_offset_y
      - .offset:         264
        .size:           8
        .value_kind:     hidden_global_offset_z
      - .offset:         272
        .size:           2
        .value_kind:     hidden_grid_dims
    .group_segment_fixed_size: 5760
    .kernarg_segment_align: 8
    .kernarg_segment_size: 464
    .language:       OpenCL C
    .language_version:
      - 2
      - 0
    .max_flat_workgroup_size: 64
    .name:           _ZL15flash_attn_tileILi256ELi256ELi1ELi2ELb0EEvPKcS1_S1_S1_S1_PKiPfP15HIP_vector_typeIfLj2EEffffjfiS5_IjLj3EEiiiiiiiiiiiliiliiiiil
    .private_segment_fixed_size: 0
    .sgpr_count:     46
    .sgpr_spill_count: 0
    .symbol:         _ZL15flash_attn_tileILi256ELi256ELi1ELi2ELb0EEvPKcS1_S1_S1_S1_PKiPfP15HIP_vector_typeIfLj2EEffffjfiS5_IjLj3EEiiiiiiiiiiiliiliiiiil.kd
    .uniform_work_group_size: 1
    .uses_dynamic_stack: false
    .vgpr_count:     84
    .vgpr_spill_count: 0
    .wavefront_size: 32
  - .args:
      - .address_space:  global
        .offset:         0
        .size:           8
        .value_kind:     global_buffer
      - .address_space:  global
        .offset:         8
        .size:           8
        .value_kind:     global_buffer
      - .offset:         16
        .size:           4
        .value_kind:     by_value
      - .offset:         20
        .size:           4
        .value_kind:     by_value
      - .offset:         24
        .size:           4
        .value_kind:     by_value
      - .offset:         28
        .size:           4
        .value_kind:     by_value
      - .offset:         32
        .size:           4
        .value_kind:     by_value
      - .offset:         36
        .size:           4
        .value_kind:     by_value
      - .offset:         40
        .size:           12
        .value_kind:     by_value
      - .offset:         52
        .size:           12
        .value_kind:     by_value
      - .offset:         64
        .size:           12
        .value_kind:     by_value
    .group_segment_fixed_size: 0
    .kernarg_segment_align: 8
    .kernarg_segment_size: 76
    .language:       OpenCL C
    .language_version:
      - 2
      - 0
    .max_flat_workgroup_size: 256
    .name:           _ZL33flash_attn_stream_k_fixup_uniformILi256ELi1ELi2EEvPfPK15HIP_vector_typeIfLj2EEiiiiiiS1_IjLj3EES5_S5_
    .private_segment_fixed_size: 0
    .sgpr_count:     23
    .sgpr_spill_count: 0
    .symbol:         _ZL33flash_attn_stream_k_fixup_uniformILi256ELi1ELi2EEvPfPK15HIP_vector_typeIfLj2EEiiiiiiS1_IjLj3EES5_S5_.kd
    .uniform_work_group_size: 1
    .uses_dynamic_stack: false
    .vgpr_count:     12
    .vgpr_spill_count: 0
    .wavefront_size: 32
  - .args:
      - .address_space:  global
        .offset:         0
        .size:           8
        .value_kind:     global_buffer
      - .address_space:  global
        .offset:         8
        .size:           8
        .value_kind:     global_buffer
      - .offset:         16
        .size:           4
        .value_kind:     by_value
      - .offset:         20
        .size:           4
        .value_kind:     by_value
      - .offset:         24
        .size:           4
        .value_kind:     by_value
      - .offset:         28
        .size:           4
        .value_kind:     by_value
      - .offset:         32
        .size:           12
        .value_kind:     by_value
      - .offset:         44
        .size:           12
        .value_kind:     by_value
      - .offset:         56
        .size:           12
        .value_kind:     by_value
      - .offset:         68
        .size:           12
        .value_kind:     by_value
      - .offset:         80
        .size:           4
        .value_kind:     hidden_block_count_x
      - .offset:         84
        .size:           4
        .value_kind:     hidden_block_count_y
      - .offset:         88
        .size:           4
        .value_kind:     hidden_block_count_z
      - .offset:         92
        .size:           2
        .value_kind:     hidden_group_size_x
      - .offset:         94
        .size:           2
        .value_kind:     hidden_group_size_y
      - .offset:         96
        .size:           2
        .value_kind:     hidden_group_size_z
      - .offset:         98
        .size:           2
        .value_kind:     hidden_remainder_x
      - .offset:         100
        .size:           2
        .value_kind:     hidden_remainder_y
      - .offset:         102
        .size:           2
        .value_kind:     hidden_remainder_z
      - .offset:         120
        .size:           8
        .value_kind:     hidden_global_offset_x
      - .offset:         128
        .size:           8
        .value_kind:     hidden_global_offset_y
      - .offset:         136
        .size:           8
        .value_kind:     hidden_global_offset_z
      - .offset:         144
        .size:           2
        .value_kind:     hidden_grid_dims
    .group_segment_fixed_size: 0
    .kernarg_segment_align: 8
    .kernarg_segment_size: 336
    .language:       OpenCL C
    .language_version:
      - 2
      - 0
    .max_flat_workgroup_size: 256
    .name:           _ZL33flash_attn_stream_k_fixup_generalILi256ELi1ELi2EEvPfPK15HIP_vector_typeIfLj2EEiiiiS1_IjLj3EES5_S5_S5_
    .private_segment_fixed_size: 0
    .sgpr_count:     48
    .sgpr_spill_count: 0
    .symbol:         _ZL33flash_attn_stream_k_fixup_generalILi256ELi1ELi2EEvPfPK15HIP_vector_typeIfLj2EEiiiiS1_IjLj3EES5_S5_S5_.kd
    .uniform_work_group_size: 1
    .uses_dynamic_stack: false
    .vgpr_count:     12
    .vgpr_spill_count: 0
    .wavefront_size: 32
  - .args:
      - .address_space:  global
        .offset:         0
        .size:           8
        .value_kind:     global_buffer
      - .address_space:  global
        .offset:         8
        .size:           8
        .value_kind:     global_buffer
      - .address_space:  global
        .offset:         16
        .size:           8
        .value_kind:     global_buffer
      - .address_space:  global
        .offset:         24
        .size:           8
        .value_kind:     global_buffer
      - .address_space:  global
        .offset:         32
        .size:           8
        .value_kind:     global_buffer
      - .address_space:  global
        .offset:         40
        .size:           8
        .value_kind:     global_buffer
      - .address_space:  global
        .offset:         48
        .size:           8
        .value_kind:     global_buffer
      - .address_space:  global
        .offset:         56
        .size:           8
        .value_kind:     global_buffer
      - .offset:         64
        .size:           4
        .value_kind:     by_value
      - .offset:         68
        .size:           4
        .value_kind:     by_value
      - .offset:         72
        .size:           4
        .value_kind:     by_value
      - .offset:         76
        .size:           4
        .value_kind:     by_value
      - .offset:         80
        .size:           4
        .value_kind:     by_value
      - .offset:         84
        .size:           4
        .value_kind:     by_value
      - .offset:         88
        .size:           4
        .value_kind:     by_value
      - .offset:         92
        .size:           12
        .value_kind:     by_value
      - .offset:         104
        .size:           4
        .value_kind:     by_value
      - .offset:         108
        .size:           4
        .value_kind:     by_value
      - .offset:         112
        .size:           4
        .value_kind:     by_value
      - .offset:         116
        .size:           4
        .value_kind:     by_value
      - .offset:         120
        .size:           4
        .value_kind:     by_value
      - .offset:         124
        .size:           4
        .value_kind:     by_value
      - .offset:         128
        .size:           4
        .value_kind:     by_value
      - .offset:         132
        .size:           4
        .value_kind:     by_value
      - .offset:         136
        .size:           4
        .value_kind:     by_value
      - .offset:         140
        .size:           4
        .value_kind:     by_value
      - .offset:         144
        .size:           4
        .value_kind:     by_value
      - .offset:         152
        .size:           8
        .value_kind:     by_value
      - .offset:         160
        .size:           4
        .value_kind:     by_value
      - .offset:         164
        .size:           4
        .value_kind:     by_value
      - .offset:         168
        .size:           8
        .value_kind:     by_value
      - .offset:         176
        .size:           4
        .value_kind:     by_value
      - .offset:         180
        .size:           4
        .value_kind:     by_value
      - .offset:         184
        .size:           4
        .value_kind:     by_value
      - .offset:         188
        .size:           4
        .value_kind:     by_value
      - .offset:         192
        .size:           4
        .value_kind:     by_value
      - .offset:         200
        .size:           8
        .value_kind:     by_value
      - .offset:         208
        .size:           4
        .value_kind:     hidden_block_count_x
      - .offset:         212
        .size:           4
        .value_kind:     hidden_block_count_y
      - .offset:         216
        .size:           4
        .value_kind:     hidden_block_count_z
      - .offset:         220
        .size:           2
        .value_kind:     hidden_group_size_x
      - .offset:         222
        .size:           2
        .value_kind:     hidden_group_size_y
      - .offset:         224
        .size:           2
        .value_kind:     hidden_group_size_z
      - .offset:         226
        .size:           2
        .value_kind:     hidden_remainder_x
      - .offset:         228
        .size:           2
        .value_kind:     hidden_remainder_y
      - .offset:         230
        .size:           2
        .value_kind:     hidden_remainder_z
      - .offset:         248
        .size:           8
        .value_kind:     hidden_global_offset_x
      - .offset:         256
        .size:           8
        .value_kind:     hidden_global_offset_y
      - .offset:         264
        .size:           8
        .value_kind:     hidden_global_offset_z
      - .offset:         272
        .size:           2
        .value_kind:     hidden_grid_dims
    .group_segment_fixed_size: 37888
    .kernarg_segment_align: 8
    .kernarg_segment_size: 464
    .language:       OpenCL C
    .language_version:
      - 2
      - 0
    .max_flat_workgroup_size: 256
    .name:           _ZL15flash_attn_tileILi256ELi256ELi32ELi1ELb0EEvPKcS1_S1_S1_S1_PKiPfP15HIP_vector_typeIfLj2EEffffjfiS5_IjLj3EEiiiiiiiiiiiliiliiiiil
    .private_segment_fixed_size: 32
    .sgpr_count:     49
    .sgpr_spill_count: 0
    .symbol:         _ZL15flash_attn_tileILi256ELi256ELi32ELi1ELb0EEvPKcS1_S1_S1_S1_PKiPfP15HIP_vector_typeIfLj2EEffffjfiS5_IjLj3EEiiiiiiiiiiiliiliiiiil.kd
    .uniform_work_group_size: 1
    .uses_dynamic_stack: false
    .vgpr_count:     209
    .vgpr_spill_count: 0
    .wavefront_size: 32
  - .args:
      - .actual_access:  read_only
        .address_space:  global
        .offset:         0
        .size:           8
        .value_kind:     global_buffer
      - .actual_access:  write_only
        .address_space:  global
        .offset:         8
        .size:           8
        .value_kind:     global_buffer
      - .offset:         16
        .size:           4
        .value_kind:     by_value
      - .offset:         20
        .size:           4
        .value_kind:     by_value
      - .offset:         24
        .size:           4
        .value_kind:     by_value
      - .offset:         32
        .size:           4
        .value_kind:     hidden_block_count_x
      - .offset:         36
        .size:           4
        .value_kind:     hidden_block_count_y
      - .offset:         40
        .size:           4
        .value_kind:     hidden_block_count_z
      - .offset:         44
        .size:           2
        .value_kind:     hidden_group_size_x
      - .offset:         46
        .size:           2
        .value_kind:     hidden_group_size_y
      - .offset:         48
        .size:           2
        .value_kind:     hidden_group_size_z
      - .offset:         50
        .size:           2
        .value_kind:     hidden_remainder_x
      - .offset:         52
        .size:           2
        .value_kind:     hidden_remainder_y
      - .offset:         54
        .size:           2
        .value_kind:     hidden_remainder_z
      - .offset:         72
        .size:           8
        .value_kind:     hidden_global_offset_x
      - .offset:         80
        .size:           8
        .value_kind:     hidden_global_offset_y
      - .offset:         88
        .size:           8
        .value_kind:     hidden_global_offset_z
      - .offset:         96
        .size:           2
        .value_kind:     hidden_grid_dims
    .group_segment_fixed_size: 128
    .kernarg_segment_align: 8
    .kernarg_segment_size: 288
    .language:       OpenCL C
    .language_version:
      - 2
      - 0
    .max_flat_workgroup_size: 128
    .name:           _ZL25flash_attn_mask_to_KV_maxILi32EEvPK7__half2Piiii
    .private_segment_fixed_size: 0
    .sgpr_count:     78
    .sgpr_spill_count: 0
    .symbol:         _ZL25flash_attn_mask_to_KV_maxILi32EEvPK7__half2Piiii.kd
    .uniform_work_group_size: 1
    .uses_dynamic_stack: false
    .vgpr_count:     6
    .vgpr_spill_count: 0
    .wavefront_size: 32
  - .args:
      - .address_space:  global
        .offset:         0
        .size:           8
        .value_kind:     global_buffer
      - .address_space:  global
        .offset:         8
        .size:           8
        .value_kind:     global_buffer
      - .offset:         16
        .size:           4
        .value_kind:     by_value
      - .offset:         20
        .size:           4
        .value_kind:     by_value
      - .offset:         24
        .size:           4
        .value_kind:     by_value
      - .offset:         28
        .size:           4
        .value_kind:     by_value
      - .offset:         32
        .size:           4
        .value_kind:     by_value
      - .offset:         36
        .size:           4
        .value_kind:     by_value
      - .offset:         40
        .size:           12
        .value_kind:     by_value
      - .offset:         52
        .size:           12
        .value_kind:     by_value
      - .offset:         64
        .size:           12
        .value_kind:     by_value
    .group_segment_fixed_size: 0
    .kernarg_segment_align: 8
    .kernarg_segment_size: 76
    .language:       OpenCL C
    .language_version:
      - 2
      - 0
    .max_flat_workgroup_size: 256
    .name:           _ZL33flash_attn_stream_k_fixup_uniformILi256ELi32ELi1EEvPfPK15HIP_vector_typeIfLj2EEiiiiiiS1_IjLj3EES5_S5_
    .private_segment_fixed_size: 0
    .sgpr_count:     23
    .sgpr_spill_count: 0
    .symbol:         _ZL33flash_attn_stream_k_fixup_uniformILi256ELi32ELi1EEvPfPK15HIP_vector_typeIfLj2EEiiiiiiS1_IjLj3EES5_S5_.kd
    .uniform_work_group_size: 1
    .uses_dynamic_stack: false
    .vgpr_count:     12
    .vgpr_spill_count: 0
    .wavefront_size: 32
  - .args:
      - .address_space:  global
        .offset:         0
        .size:           8
        .value_kind:     global_buffer
      - .address_space:  global
        .offset:         8
        .size:           8
        .value_kind:     global_buffer
      - .offset:         16
        .size:           4
        .value_kind:     by_value
      - .offset:         20
        .size:           4
        .value_kind:     by_value
      - .offset:         24
        .size:           4
        .value_kind:     by_value
      - .offset:         28
        .size:           4
        .value_kind:     by_value
      - .offset:         32
        .size:           12
        .value_kind:     by_value
      - .offset:         44
        .size:           12
        .value_kind:     by_value
      - .offset:         56
        .size:           12
        .value_kind:     by_value
      - .offset:         68
        .size:           12
        .value_kind:     by_value
      - .offset:         80
        .size:           4
        .value_kind:     hidden_block_count_x
      - .offset:         84
        .size:           4
        .value_kind:     hidden_block_count_y
      - .offset:         88
        .size:           4
        .value_kind:     hidden_block_count_z
      - .offset:         92
        .size:           2
        .value_kind:     hidden_group_size_x
      - .offset:         94
        .size:           2
        .value_kind:     hidden_group_size_y
      - .offset:         96
        .size:           2
        .value_kind:     hidden_group_size_z
      - .offset:         98
        .size:           2
        .value_kind:     hidden_remainder_x
      - .offset:         100
        .size:           2
        .value_kind:     hidden_remainder_y
      - .offset:         102
        .size:           2
        .value_kind:     hidden_remainder_z
      - .offset:         120
        .size:           8
        .value_kind:     hidden_global_offset_x
      - .offset:         128
        .size:           8
        .value_kind:     hidden_global_offset_y
      - .offset:         136
        .size:           8
        .value_kind:     hidden_global_offset_z
      - .offset:         144
        .size:           2
        .value_kind:     hidden_grid_dims
    .group_segment_fixed_size: 0
    .kernarg_segment_align: 8
    .kernarg_segment_size: 336
    .language:       OpenCL C
    .language_version:
      - 2
      - 0
    .max_flat_workgroup_size: 256
    .name:           _ZL33flash_attn_stream_k_fixup_generalILi256ELi32ELi1EEvPfPK15HIP_vector_typeIfLj2EEiiiiS1_IjLj3EES5_S5_S5_
    .private_segment_fixed_size: 0
    .sgpr_count:     48
    .sgpr_spill_count: 0
    .symbol:         _ZL33flash_attn_stream_k_fixup_generalILi256ELi32ELi1EEvPfPK15HIP_vector_typeIfLj2EEiiiiS1_IjLj3EES5_S5_S5_.kd
    .uniform_work_group_size: 1
    .uses_dynamic_stack: false
    .vgpr_count:     12
    .vgpr_spill_count: 0
    .wavefront_size: 32
  - .args:
      - .address_space:  global
        .offset:         0
        .size:           8
        .value_kind:     global_buffer
      - .address_space:  global
        .offset:         8
        .size:           8
        .value_kind:     global_buffer
      - .address_space:  global
        .offset:         16
        .size:           8
        .value_kind:     global_buffer
      - .address_space:  global
        .offset:         24
        .size:           8
        .value_kind:     global_buffer
      - .address_space:  global
        .offset:         32
        .size:           8
        .value_kind:     global_buffer
      - .address_space:  global
        .offset:         40
        .size:           8
        .value_kind:     global_buffer
      - .address_space:  global
        .offset:         48
        .size:           8
        .value_kind:     global_buffer
      - .address_space:  global
        .offset:         56
        .size:           8
        .value_kind:     global_buffer
      - .offset:         64
        .size:           4
        .value_kind:     by_value
      - .offset:         68
        .size:           4
        .value_kind:     by_value
      - .offset:         72
        .size:           4
        .value_kind:     by_value
      - .offset:         76
        .size:           4
        .value_kind:     by_value
      - .offset:         80
        .size:           4
        .value_kind:     by_value
      - .offset:         84
        .size:           4
        .value_kind:     by_value
      - .offset:         88
        .size:           4
        .value_kind:     by_value
      - .offset:         92
        .size:           12
        .value_kind:     by_value
      - .offset:         104
        .size:           4
        .value_kind:     by_value
      - .offset:         108
        .size:           4
        .value_kind:     by_value
      - .offset:         112
        .size:           4
        .value_kind:     by_value
      - .offset:         116
        .size:           4
        .value_kind:     by_value
      - .offset:         120
        .size:           4
        .value_kind:     by_value
      - .offset:         124
        .size:           4
        .value_kind:     by_value
      - .offset:         128
        .size:           4
        .value_kind:     by_value
      - .offset:         132
        .size:           4
        .value_kind:     by_value
      - .offset:         136
        .size:           4
        .value_kind:     by_value
      - .offset:         140
        .size:           4
        .value_kind:     by_value
      - .offset:         144
        .size:           4
        .value_kind:     by_value
      - .offset:         152
        .size:           8
        .value_kind:     by_value
      - .offset:         160
        .size:           4
        .value_kind:     by_value
      - .offset:         164
        .size:           4
        .value_kind:     by_value
      - .offset:         168
        .size:           8
        .value_kind:     by_value
      - .offset:         176
        .size:           4
        .value_kind:     by_value
      - .offset:         180
        .size:           4
        .value_kind:     by_value
      - .offset:         184
        .size:           4
        .value_kind:     by_value
      - .offset:         188
        .size:           4
        .value_kind:     by_value
      - .offset:         192
        .size:           4
        .value_kind:     by_value
      - .offset:         200
        .size:           8
        .value_kind:     by_value
      - .offset:         208
        .size:           4
        .value_kind:     hidden_block_count_x
      - .offset:         212
        .size:           4
        .value_kind:     hidden_block_count_y
      - .offset:         216
        .size:           4
        .value_kind:     hidden_block_count_z
      - .offset:         220
        .size:           2
        .value_kind:     hidden_group_size_x
      - .offset:         222
        .size:           2
        .value_kind:     hidden_group_size_y
      - .offset:         224
        .size:           2
        .value_kind:     hidden_group_size_z
      - .offset:         226
        .size:           2
        .value_kind:     hidden_remainder_x
      - .offset:         228
        .size:           2
        .value_kind:     hidden_remainder_y
      - .offset:         230
        .size:           2
        .value_kind:     hidden_remainder_z
      - .offset:         248
        .size:           8
        .value_kind:     hidden_global_offset_x
      - .offset:         256
        .size:           8
        .value_kind:     hidden_global_offset_y
      - .offset:         264
        .size:           8
        .value_kind:     hidden_global_offset_z
      - .offset:         272
        .size:           2
        .value_kind:     hidden_grid_dims
    .group_segment_fixed_size: 26112
    .kernarg_segment_align: 8
    .kernarg_segment_size: 464
    .language:       OpenCL C
    .language_version:
      - 2
      - 0
    .max_flat_workgroup_size: 256
    .name:           _ZL15flash_attn_tileILi256ELi256ELi16ELi1ELb0EEvPKcS1_S1_S1_S1_PKiPfP15HIP_vector_typeIfLj2EEffffjfiS5_IjLj3EEiiiiiiiiiiiliiliiiiil
    .private_segment_fixed_size: 32
    .sgpr_count:     49
    .sgpr_spill_count: 0
    .symbol:         _ZL15flash_attn_tileILi256ELi256ELi16ELi1ELb0EEvPKcS1_S1_S1_S1_PKiPfP15HIP_vector_typeIfLj2EEffffjfiS5_IjLj3EEiiiiiiiiiiiliiliiiiil.kd
    .uniform_work_group_size: 1
    .uses_dynamic_stack: false
    .vgpr_count:     170
    .vgpr_spill_count: 0
    .wavefront_size: 32
  - .args:
      - .address_space:  global
        .offset:         0
        .size:           8
        .value_kind:     global_buffer
      - .address_space:  global
        .offset:         8
        .size:           8
        .value_kind:     global_buffer
      - .offset:         16
        .size:           4
        .value_kind:     by_value
      - .offset:         20
        .size:           4
        .value_kind:     by_value
      - .offset:         24
        .size:           4
        .value_kind:     by_value
      - .offset:         28
        .size:           4
        .value_kind:     by_value
      - .offset:         32
        .size:           4
        .value_kind:     by_value
      - .offset:         36
        .size:           4
        .value_kind:     by_value
      - .offset:         40
        .size:           12
        .value_kind:     by_value
      - .offset:         52
        .size:           12
        .value_kind:     by_value
      - .offset:         64
        .size:           12
        .value_kind:     by_value
    .group_segment_fixed_size: 0
    .kernarg_segment_align: 8
    .kernarg_segment_size: 76
    .language:       OpenCL C
    .language_version:
      - 2
      - 0
    .max_flat_workgroup_size: 256
    .name:           _ZL33flash_attn_stream_k_fixup_uniformILi256ELi16ELi1EEvPfPK15HIP_vector_typeIfLj2EEiiiiiiS1_IjLj3EES5_S5_
    .private_segment_fixed_size: 0
    .sgpr_count:     23
    .sgpr_spill_count: 0
    .symbol:         _ZL33flash_attn_stream_k_fixup_uniformILi256ELi16ELi1EEvPfPK15HIP_vector_typeIfLj2EEiiiiiiS1_IjLj3EES5_S5_.kd
    .uniform_work_group_size: 1
    .uses_dynamic_stack: false
    .vgpr_count:     12
    .vgpr_spill_count: 0
    .wavefront_size: 32
  - .args:
      - .address_space:  global
        .offset:         0
        .size:           8
        .value_kind:     global_buffer
      - .address_space:  global
        .offset:         8
        .size:           8
        .value_kind:     global_buffer
      - .offset:         16
        .size:           4
        .value_kind:     by_value
      - .offset:         20
        .size:           4
        .value_kind:     by_value
      - .offset:         24
        .size:           4
        .value_kind:     by_value
      - .offset:         28
        .size:           4
        .value_kind:     by_value
      - .offset:         32
        .size:           12
        .value_kind:     by_value
      - .offset:         44
        .size:           12
        .value_kind:     by_value
      - .offset:         56
        .size:           12
        .value_kind:     by_value
      - .offset:         68
        .size:           12
        .value_kind:     by_value
      - .offset:         80
        .size:           4
        .value_kind:     hidden_block_count_x
      - .offset:         84
        .size:           4
        .value_kind:     hidden_block_count_y
      - .offset:         88
        .size:           4
        .value_kind:     hidden_block_count_z
      - .offset:         92
        .size:           2
        .value_kind:     hidden_group_size_x
      - .offset:         94
        .size:           2
        .value_kind:     hidden_group_size_y
      - .offset:         96
        .size:           2
        .value_kind:     hidden_group_size_z
      - .offset:         98
        .size:           2
        .value_kind:     hidden_remainder_x
      - .offset:         100
        .size:           2
        .value_kind:     hidden_remainder_y
      - .offset:         102
        .size:           2
        .value_kind:     hidden_remainder_z
      - .offset:         120
        .size:           8
        .value_kind:     hidden_global_offset_x
      - .offset:         128
        .size:           8
        .value_kind:     hidden_global_offset_y
      - .offset:         136
        .size:           8
        .value_kind:     hidden_global_offset_z
      - .offset:         144
        .size:           2
        .value_kind:     hidden_grid_dims
    .group_segment_fixed_size: 0
    .kernarg_segment_align: 8
    .kernarg_segment_size: 336
    .language:       OpenCL C
    .language_version:
      - 2
      - 0
    .max_flat_workgroup_size: 256
    .name:           _ZL33flash_attn_stream_k_fixup_generalILi256ELi16ELi1EEvPfPK15HIP_vector_typeIfLj2EEiiiiS1_IjLj3EES5_S5_S5_
    .private_segment_fixed_size: 0
    .sgpr_count:     48
    .sgpr_spill_count: 0
    .symbol:         _ZL33flash_attn_stream_k_fixup_generalILi256ELi16ELi1EEvPfPK15HIP_vector_typeIfLj2EEiiiiS1_IjLj3EES5_S5_S5_.kd
    .uniform_work_group_size: 1
    .uses_dynamic_stack: false
    .vgpr_count:     12
    .vgpr_spill_count: 0
    .wavefront_size: 32
  - .args:
      - .address_space:  global
        .offset:         0
        .size:           8
        .value_kind:     global_buffer
      - .address_space:  global
        .offset:         8
        .size:           8
        .value_kind:     global_buffer
      - .address_space:  global
        .offset:         16
        .size:           8
        .value_kind:     global_buffer
      - .address_space:  global
        .offset:         24
        .size:           8
        .value_kind:     global_buffer
      - .address_space:  global
        .offset:         32
        .size:           8
        .value_kind:     global_buffer
      - .address_space:  global
        .offset:         40
        .size:           8
        .value_kind:     global_buffer
      - .address_space:  global
        .offset:         48
        .size:           8
        .value_kind:     global_buffer
      - .address_space:  global
        .offset:         56
        .size:           8
        .value_kind:     global_buffer
      - .offset:         64
        .size:           4
        .value_kind:     by_value
      - .offset:         68
        .size:           4
        .value_kind:     by_value
      - .offset:         72
        .size:           4
        .value_kind:     by_value
      - .offset:         76
        .size:           4
        .value_kind:     by_value
      - .offset:         80
        .size:           4
        .value_kind:     by_value
      - .offset:         84
        .size:           4
        .value_kind:     by_value
      - .offset:         88
        .size:           4
        .value_kind:     by_value
      - .offset:         92
        .size:           12
        .value_kind:     by_value
      - .offset:         104
        .size:           4
        .value_kind:     by_value
      - .offset:         108
        .size:           4
        .value_kind:     by_value
      - .offset:         112
        .size:           4
        .value_kind:     by_value
      - .offset:         116
        .size:           4
        .value_kind:     by_value
      - .offset:         120
        .size:           4
        .value_kind:     by_value
      - .offset:         124
        .size:           4
        .value_kind:     by_value
      - .offset:         128
        .size:           4
        .value_kind:     by_value
      - .offset:         132
        .size:           4
        .value_kind:     by_value
      - .offset:         136
        .size:           4
        .value_kind:     by_value
      - .offset:         140
        .size:           4
        .value_kind:     by_value
      - .offset:         144
        .size:           4
        .value_kind:     by_value
      - .offset:         152
        .size:           8
        .value_kind:     by_value
      - .offset:         160
        .size:           4
        .value_kind:     by_value
      - .offset:         164
        .size:           4
        .value_kind:     by_value
      - .offset:         168
        .size:           8
        .value_kind:     by_value
      - .offset:         176
        .size:           4
        .value_kind:     by_value
      - .offset:         180
        .size:           4
        .value_kind:     by_value
      - .offset:         184
        .size:           4
        .value_kind:     by_value
      - .offset:         188
        .size:           4
        .value_kind:     by_value
      - .offset:         192
        .size:           4
        .value_kind:     by_value
      - .offset:         200
        .size:           8
        .value_kind:     by_value
      - .offset:         208
        .size:           4
        .value_kind:     hidden_block_count_x
      - .offset:         212
        .size:           4
        .value_kind:     hidden_block_count_y
      - .offset:         216
        .size:           4
        .value_kind:     hidden_block_count_z
      - .offset:         220
        .size:           2
        .value_kind:     hidden_group_size_x
      - .offset:         222
        .size:           2
        .value_kind:     hidden_group_size_y
      - .offset:         224
        .size:           2
        .value_kind:     hidden_group_size_z
      - .offset:         226
        .size:           2
        .value_kind:     hidden_remainder_x
      - .offset:         228
        .size:           2
        .value_kind:     hidden_remainder_y
      - .offset:         230
        .size:           2
        .value_kind:     hidden_remainder_z
      - .offset:         248
        .size:           8
        .value_kind:     hidden_global_offset_x
      - .offset:         256
        .size:           8
        .value_kind:     hidden_global_offset_y
      - .offset:         264
        .size:           8
        .value_kind:     hidden_global_offset_z
      - .offset:         272
        .size:           2
        .value_kind:     hidden_grid_dims
    .group_segment_fixed_size: 21504
    .kernarg_segment_align: 8
    .kernarg_segment_size: 464
    .language:       OpenCL C
    .language_version:
      - 2
      - 0
    .max_flat_workgroup_size: 128
    .name:           _ZL15flash_attn_tileILi256ELi256ELi8ELi1ELb0EEvPKcS1_S1_S1_S1_PKiPfP15HIP_vector_typeIfLj2EEffffjfiS5_IjLj3EEiiiiiiiiiiiliiliiiiil
    .private_segment_fixed_size: 32
    .sgpr_count:     49
    .sgpr_spill_count: 0
    .symbol:         _ZL15flash_attn_tileILi256ELi256ELi8ELi1ELb0EEvPKcS1_S1_S1_S1_PKiPfP15HIP_vector_typeIfLj2EEffffjfiS5_IjLj3EEiiiiiiiiiiiliiliiiiil.kd
    .uniform_work_group_size: 1
    .uses_dynamic_stack: false
    .vgpr_count:     118
    .vgpr_spill_count: 0
    .wavefront_size: 32
  - .args:
      - .address_space:  global
        .offset:         0
        .size:           8
        .value_kind:     global_buffer
      - .address_space:  global
        .offset:         8
        .size:           8
        .value_kind:     global_buffer
      - .offset:         16
        .size:           4
        .value_kind:     by_value
      - .offset:         20
        .size:           4
        .value_kind:     by_value
      - .offset:         24
        .size:           4
        .value_kind:     by_value
      - .offset:         28
        .size:           4
        .value_kind:     by_value
      - .offset:         32
        .size:           4
        .value_kind:     by_value
      - .offset:         36
        .size:           4
        .value_kind:     by_value
      - .offset:         40
        .size:           12
        .value_kind:     by_value
      - .offset:         52
        .size:           12
        .value_kind:     by_value
      - .offset:         64
        .size:           12
        .value_kind:     by_value
    .group_segment_fixed_size: 0
    .kernarg_segment_align: 8
    .kernarg_segment_size: 76
    .language:       OpenCL C
    .language_version:
      - 2
      - 0
    .max_flat_workgroup_size: 256
    .name:           _ZL33flash_attn_stream_k_fixup_uniformILi256ELi8ELi1EEvPfPK15HIP_vector_typeIfLj2EEiiiiiiS1_IjLj3EES5_S5_
    .private_segment_fixed_size: 0
    .sgpr_count:     23
    .sgpr_spill_count: 0
    .symbol:         _ZL33flash_attn_stream_k_fixup_uniformILi256ELi8ELi1EEvPfPK15HIP_vector_typeIfLj2EEiiiiiiS1_IjLj3EES5_S5_.kd
    .uniform_work_group_size: 1
    .uses_dynamic_stack: false
    .vgpr_count:     12
    .vgpr_spill_count: 0
    .wavefront_size: 32
  - .args:
      - .address_space:  global
        .offset:         0
        .size:           8
        .value_kind:     global_buffer
      - .address_space:  global
        .offset:         8
        .size:           8
        .value_kind:     global_buffer
      - .offset:         16
        .size:           4
        .value_kind:     by_value
      - .offset:         20
        .size:           4
        .value_kind:     by_value
      - .offset:         24
        .size:           4
        .value_kind:     by_value
      - .offset:         28
        .size:           4
        .value_kind:     by_value
      - .offset:         32
        .size:           12
        .value_kind:     by_value
      - .offset:         44
        .size:           12
        .value_kind:     by_value
      - .offset:         56
        .size:           12
        .value_kind:     by_value
      - .offset:         68
        .size:           12
        .value_kind:     by_value
      - .offset:         80
        .size:           4
        .value_kind:     hidden_block_count_x
      - .offset:         84
        .size:           4
        .value_kind:     hidden_block_count_y
      - .offset:         88
        .size:           4
        .value_kind:     hidden_block_count_z
      - .offset:         92
        .size:           2
        .value_kind:     hidden_group_size_x
      - .offset:         94
        .size:           2
        .value_kind:     hidden_group_size_y
      - .offset:         96
        .size:           2
        .value_kind:     hidden_group_size_z
      - .offset:         98
        .size:           2
        .value_kind:     hidden_remainder_x
      - .offset:         100
        .size:           2
        .value_kind:     hidden_remainder_y
      - .offset:         102
        .size:           2
        .value_kind:     hidden_remainder_z
      - .offset:         120
        .size:           8
        .value_kind:     hidden_global_offset_x
      - .offset:         128
        .size:           8
        .value_kind:     hidden_global_offset_y
      - .offset:         136
        .size:           8
        .value_kind:     hidden_global_offset_z
      - .offset:         144
        .size:           2
        .value_kind:     hidden_grid_dims
    .group_segment_fixed_size: 0
    .kernarg_segment_align: 8
    .kernarg_segment_size: 336
    .language:       OpenCL C
    .language_version:
      - 2
      - 0
    .max_flat_workgroup_size: 256
    .name:           _ZL33flash_attn_stream_k_fixup_generalILi256ELi8ELi1EEvPfPK15HIP_vector_typeIfLj2EEiiiiS1_IjLj3EES5_S5_S5_
    .private_segment_fixed_size: 0
    .sgpr_count:     48
    .sgpr_spill_count: 0
    .symbol:         _ZL33flash_attn_stream_k_fixup_generalILi256ELi8ELi1EEvPfPK15HIP_vector_typeIfLj2EEiiiiS1_IjLj3EES5_S5_S5_.kd
    .uniform_work_group_size: 1
    .uses_dynamic_stack: false
    .vgpr_count:     12
    .vgpr_spill_count: 0
    .wavefront_size: 32
  - .args:
      - .address_space:  global
        .offset:         0
        .size:           8
        .value_kind:     global_buffer
      - .address_space:  global
        .offset:         8
        .size:           8
        .value_kind:     global_buffer
      - .address_space:  global
        .offset:         16
        .size:           8
        .value_kind:     global_buffer
      - .address_space:  global
        .offset:         24
        .size:           8
        .value_kind:     global_buffer
      - .address_space:  global
        .offset:         32
        .size:           8
        .value_kind:     global_buffer
      - .address_space:  global
        .offset:         40
        .size:           8
        .value_kind:     global_buffer
      - .address_space:  global
        .offset:         48
        .size:           8
        .value_kind:     global_buffer
      - .address_space:  global
        .offset:         56
        .size:           8
        .value_kind:     global_buffer
      - .offset:         64
        .size:           4
        .value_kind:     by_value
      - .offset:         68
        .size:           4
        .value_kind:     by_value
      - .offset:         72
        .size:           4
        .value_kind:     by_value
      - .offset:         76
        .size:           4
        .value_kind:     by_value
      - .offset:         80
        .size:           4
        .value_kind:     by_value
      - .offset:         84
        .size:           4
        .value_kind:     by_value
      - .offset:         88
        .size:           4
        .value_kind:     by_value
      - .offset:         92
        .size:           12
        .value_kind:     by_value
      - .offset:         104
        .size:           4
        .value_kind:     by_value
      - .offset:         108
        .size:           4
        .value_kind:     by_value
      - .offset:         112
        .size:           4
        .value_kind:     by_value
      - .offset:         116
        .size:           4
        .value_kind:     by_value
      - .offset:         120
        .size:           4
        .value_kind:     by_value
      - .offset:         124
        .size:           4
        .value_kind:     by_value
      - .offset:         128
        .size:           4
        .value_kind:     by_value
      - .offset:         132
        .size:           4
        .value_kind:     by_value
      - .offset:         136
        .size:           4
        .value_kind:     by_value
      - .offset:         140
        .size:           4
        .value_kind:     by_value
      - .offset:         144
        .size:           4
        .value_kind:     by_value
      - .offset:         152
        .size:           8
        .value_kind:     by_value
      - .offset:         160
        .size:           4
        .value_kind:     by_value
      - .offset:         164
        .size:           4
        .value_kind:     by_value
      - .offset:         168
        .size:           8
        .value_kind:     by_value
      - .offset:         176
        .size:           4
        .value_kind:     by_value
      - .offset:         180
        .size:           4
        .value_kind:     by_value
      - .offset:         184
        .size:           4
        .value_kind:     by_value
      - .offset:         188
        .size:           4
        .value_kind:     by_value
      - .offset:         192
        .size:           4
        .value_kind:     by_value
      - .offset:         200
        .size:           8
        .value_kind:     by_value
      - .offset:         208
        .size:           4
        .value_kind:     hidden_block_count_x
      - .offset:         212
        .size:           4
        .value_kind:     hidden_block_count_y
      - .offset:         216
        .size:           4
        .value_kind:     hidden_block_count_z
      - .offset:         220
        .size:           2
        .value_kind:     hidden_group_size_x
      - .offset:         222
        .size:           2
        .value_kind:     hidden_group_size_y
      - .offset:         224
        .size:           2
        .value_kind:     hidden_group_size_z
      - .offset:         226
        .size:           2
        .value_kind:     hidden_remainder_x
      - .offset:         228
        .size:           2
        .value_kind:     hidden_remainder_y
      - .offset:         230
        .size:           2
        .value_kind:     hidden_remainder_z
      - .offset:         248
        .size:           8
        .value_kind:     hidden_global_offset_x
      - .offset:         256
        .size:           8
        .value_kind:     hidden_global_offset_y
      - .offset:         264
        .size:           8
        .value_kind:     hidden_global_offset_z
      - .offset:         272
        .size:           2
        .value_kind:     hidden_grid_dims
    .group_segment_fixed_size: 19200
    .kernarg_segment_align: 8
    .kernarg_segment_size: 464
    .language:       OpenCL C
    .language_version:
      - 2
      - 0
    .max_flat_workgroup_size: 128
    .name:           _ZL15flash_attn_tileILi256ELi256ELi4ELi1ELb0EEvPKcS1_S1_S1_S1_PKiPfP15HIP_vector_typeIfLj2EEffffjfiS5_IjLj3EEiiiiiiiiiiiliiliiiiil
    .private_segment_fixed_size: 32
    .sgpr_count:     49
    .sgpr_spill_count: 0
    .symbol:         _ZL15flash_attn_tileILi256ELi256ELi4ELi1ELb0EEvPKcS1_S1_S1_S1_PKiPfP15HIP_vector_typeIfLj2EEffffjfiS5_IjLj3EEiiiiiiiiiiiliiliiiiil.kd
    .uniform_work_group_size: 1
    .uses_dynamic_stack: false
    .vgpr_count:     159
    .vgpr_spill_count: 0
    .wavefront_size: 32
  - .args:
      - .address_space:  global
        .offset:         0
        .size:           8
        .value_kind:     global_buffer
      - .address_space:  global
        .offset:         8
        .size:           8
        .value_kind:     global_buffer
      - .offset:         16
        .size:           4
        .value_kind:     by_value
      - .offset:         20
        .size:           4
        .value_kind:     by_value
      - .offset:         24
        .size:           4
        .value_kind:     by_value
      - .offset:         28
        .size:           4
        .value_kind:     by_value
      - .offset:         32
        .size:           4
        .value_kind:     by_value
      - .offset:         36
        .size:           4
        .value_kind:     by_value
      - .offset:         40
        .size:           12
        .value_kind:     by_value
      - .offset:         52
        .size:           12
        .value_kind:     by_value
      - .offset:         64
        .size:           12
        .value_kind:     by_value
    .group_segment_fixed_size: 0
    .kernarg_segment_align: 8
    .kernarg_segment_size: 76
    .language:       OpenCL C
    .language_version:
      - 2
      - 0
    .max_flat_workgroup_size: 256
    .name:           _ZL33flash_attn_stream_k_fixup_uniformILi256ELi4ELi1EEvPfPK15HIP_vector_typeIfLj2EEiiiiiiS1_IjLj3EES5_S5_
    .private_segment_fixed_size: 0
    .sgpr_count:     23
    .sgpr_spill_count: 0
    .symbol:         _ZL33flash_attn_stream_k_fixup_uniformILi256ELi4ELi1EEvPfPK15HIP_vector_typeIfLj2EEiiiiiiS1_IjLj3EES5_S5_.kd
    .uniform_work_group_size: 1
    .uses_dynamic_stack: false
    .vgpr_count:     12
    .vgpr_spill_count: 0
    .wavefront_size: 32
  - .args:
      - .address_space:  global
        .offset:         0
        .size:           8
        .value_kind:     global_buffer
      - .address_space:  global
        .offset:         8
        .size:           8
        .value_kind:     global_buffer
      - .offset:         16
        .size:           4
        .value_kind:     by_value
      - .offset:         20
        .size:           4
        .value_kind:     by_value
      - .offset:         24
        .size:           4
        .value_kind:     by_value
      - .offset:         28
        .size:           4
        .value_kind:     by_value
      - .offset:         32
        .size:           12
        .value_kind:     by_value
      - .offset:         44
        .size:           12
        .value_kind:     by_value
      - .offset:         56
        .size:           12
        .value_kind:     by_value
      - .offset:         68
        .size:           12
        .value_kind:     by_value
      - .offset:         80
        .size:           4
        .value_kind:     hidden_block_count_x
      - .offset:         84
        .size:           4
        .value_kind:     hidden_block_count_y
      - .offset:         88
        .size:           4
        .value_kind:     hidden_block_count_z
      - .offset:         92
        .size:           2
        .value_kind:     hidden_group_size_x
      - .offset:         94
        .size:           2
        .value_kind:     hidden_group_size_y
      - .offset:         96
        .size:           2
        .value_kind:     hidden_group_size_z
      - .offset:         98
        .size:           2
        .value_kind:     hidden_remainder_x
      - .offset:         100
        .size:           2
        .value_kind:     hidden_remainder_y
      - .offset:         102
        .size:           2
        .value_kind:     hidden_remainder_z
      - .offset:         120
        .size:           8
        .value_kind:     hidden_global_offset_x
      - .offset:         128
        .size:           8
        .value_kind:     hidden_global_offset_y
      - .offset:         136
        .size:           8
        .value_kind:     hidden_global_offset_z
      - .offset:         144
        .size:           2
        .value_kind:     hidden_grid_dims
    .group_segment_fixed_size: 0
    .kernarg_segment_align: 8
    .kernarg_segment_size: 336
    .language:       OpenCL C
    .language_version:
      - 2
      - 0
    .max_flat_workgroup_size: 256
    .name:           _ZL33flash_attn_stream_k_fixup_generalILi256ELi4ELi1EEvPfPK15HIP_vector_typeIfLj2EEiiiiS1_IjLj3EES5_S5_S5_
    .private_segment_fixed_size: 0
    .sgpr_count:     48
    .sgpr_spill_count: 0
    .symbol:         _ZL33flash_attn_stream_k_fixup_generalILi256ELi4ELi1EEvPfPK15HIP_vector_typeIfLj2EEiiiiS1_IjLj3EES5_S5_S5_.kd
    .uniform_work_group_size: 1
    .uses_dynamic_stack: false
    .vgpr_count:     12
    .vgpr_spill_count: 0
    .wavefront_size: 32
  - .args:
      - .address_space:  global
        .offset:         0
        .size:           8
        .value_kind:     global_buffer
      - .address_space:  global
        .offset:         8
        .size:           8
        .value_kind:     global_buffer
      - .address_space:  global
        .offset:         16
        .size:           8
        .value_kind:     global_buffer
      - .address_space:  global
        .offset:         24
        .size:           8
        .value_kind:     global_buffer
      - .address_space:  global
        .offset:         32
        .size:           8
        .value_kind:     global_buffer
      - .address_space:  global
        .offset:         40
        .size:           8
        .value_kind:     global_buffer
      - .address_space:  global
        .offset:         48
        .size:           8
        .value_kind:     global_buffer
      - .address_space:  global
        .offset:         56
        .size:           8
        .value_kind:     global_buffer
      - .offset:         64
        .size:           4
        .value_kind:     by_value
      - .offset:         68
        .size:           4
        .value_kind:     by_value
      - .offset:         72
        .size:           4
        .value_kind:     by_value
      - .offset:         76
        .size:           4
        .value_kind:     by_value
      - .offset:         80
        .size:           4
        .value_kind:     by_value
      - .offset:         84
        .size:           4
        .value_kind:     by_value
      - .offset:         88
        .size:           4
        .value_kind:     by_value
      - .offset:         92
        .size:           12
        .value_kind:     by_value
      - .offset:         104
        .size:           4
        .value_kind:     by_value
      - .offset:         108
        .size:           4
        .value_kind:     by_value
      - .offset:         112
        .size:           4
        .value_kind:     by_value
      - .offset:         116
        .size:           4
        .value_kind:     by_value
      - .offset:         120
        .size:           4
        .value_kind:     by_value
      - .offset:         124
        .size:           4
        .value_kind:     by_value
      - .offset:         128
        .size:           4
        .value_kind:     by_value
      - .offset:         132
        .size:           4
        .value_kind:     by_value
      - .offset:         136
        .size:           4
        .value_kind:     by_value
      - .offset:         140
        .size:           4
        .value_kind:     by_value
      - .offset:         144
        .size:           4
        .value_kind:     by_value
      - .offset:         152
        .size:           8
        .value_kind:     by_value
      - .offset:         160
        .size:           4
        .value_kind:     by_value
      - .offset:         164
        .size:           4
        .value_kind:     by_value
      - .offset:         168
        .size:           8
        .value_kind:     by_value
      - .offset:         176
        .size:           4
        .value_kind:     by_value
      - .offset:         180
        .size:           4
        .value_kind:     by_value
      - .offset:         184
        .size:           4
        .value_kind:     by_value
      - .offset:         188
        .size:           4
        .value_kind:     by_value
      - .offset:         192
        .size:           4
        .value_kind:     by_value
      - .offset:         200
        .size:           8
        .value_kind:     by_value
      - .offset:         208
        .size:           4
        .value_kind:     hidden_block_count_x
      - .offset:         212
        .size:           4
        .value_kind:     hidden_block_count_y
      - .offset:         216
        .size:           4
        .value_kind:     hidden_block_count_z
      - .offset:         220
        .size:           2
        .value_kind:     hidden_group_size_x
      - .offset:         222
        .size:           2
        .value_kind:     hidden_group_size_y
      - .offset:         224
        .size:           2
        .value_kind:     hidden_group_size_z
      - .offset:         226
        .size:           2
        .value_kind:     hidden_remainder_x
      - .offset:         228
        .size:           2
        .value_kind:     hidden_remainder_y
      - .offset:         230
        .size:           2
        .value_kind:     hidden_remainder_z
      - .offset:         248
        .size:           8
        .value_kind:     hidden_global_offset_x
      - .offset:         256
        .size:           8
        .value_kind:     hidden_global_offset_y
      - .offset:         264
        .size:           8
        .value_kind:     hidden_global_offset_z
      - .offset:         272
        .size:           2
        .value_kind:     hidden_grid_dims
    .group_segment_fixed_size: 5760
    .kernarg_segment_align: 8
    .kernarg_segment_size: 464
    .language:       OpenCL C
    .language_version:
      - 2
      - 0
    .max_flat_workgroup_size: 64
    .name:           _ZL15flash_attn_tileILi256ELi256ELi2ELi1ELb0EEvPKcS1_S1_S1_S1_PKiPfP15HIP_vector_typeIfLj2EEffffjfiS5_IjLj3EEiiiiiiiiiiiliiliiiiil
    .private_segment_fixed_size: 32
    .sgpr_count:     49
    .sgpr_spill_count: 0
    .symbol:         _ZL15flash_attn_tileILi256ELi256ELi2ELi1ELb0EEvPKcS1_S1_S1_S1_PKiPfP15HIP_vector_typeIfLj2EEffffjfiS5_IjLj3EEiiiiiiiiiiiliiliiiiil.kd
    .uniform_work_group_size: 1
    .uses_dynamic_stack: false
    .vgpr_count:     116
    .vgpr_spill_count: 0
    .wavefront_size: 32
  - .args:
      - .address_space:  global
        .offset:         0
        .size:           8
        .value_kind:     global_buffer
      - .address_space:  global
        .offset:         8
        .size:           8
        .value_kind:     global_buffer
      - .offset:         16
        .size:           4
        .value_kind:     by_value
      - .offset:         20
        .size:           4
        .value_kind:     by_value
      - .offset:         24
        .size:           4
        .value_kind:     by_value
      - .offset:         28
        .size:           4
        .value_kind:     by_value
      - .offset:         32
        .size:           4
        .value_kind:     by_value
      - .offset:         36
        .size:           4
        .value_kind:     by_value
      - .offset:         40
        .size:           12
        .value_kind:     by_value
      - .offset:         52
        .size:           12
        .value_kind:     by_value
      - .offset:         64
        .size:           12
        .value_kind:     by_value
    .group_segment_fixed_size: 0
    .kernarg_segment_align: 8
    .kernarg_segment_size: 76
    .language:       OpenCL C
    .language_version:
      - 2
      - 0
    .max_flat_workgroup_size: 256
    .name:           _ZL33flash_attn_stream_k_fixup_uniformILi256ELi2ELi1EEvPfPK15HIP_vector_typeIfLj2EEiiiiiiS1_IjLj3EES5_S5_
    .private_segment_fixed_size: 0
    .sgpr_count:     23
    .sgpr_spill_count: 0
    .symbol:         _ZL33flash_attn_stream_k_fixup_uniformILi256ELi2ELi1EEvPfPK15HIP_vector_typeIfLj2EEiiiiiiS1_IjLj3EES5_S5_.kd
    .uniform_work_group_size: 1
    .uses_dynamic_stack: false
    .vgpr_count:     12
    .vgpr_spill_count: 0
    .wavefront_size: 32
  - .args:
      - .address_space:  global
        .offset:         0
        .size:           8
        .value_kind:     global_buffer
      - .address_space:  global
        .offset:         8
        .size:           8
        .value_kind:     global_buffer
      - .offset:         16
        .size:           4
        .value_kind:     by_value
      - .offset:         20
        .size:           4
        .value_kind:     by_value
      - .offset:         24
        .size:           4
        .value_kind:     by_value
      - .offset:         28
        .size:           4
        .value_kind:     by_value
      - .offset:         32
        .size:           12
        .value_kind:     by_value
      - .offset:         44
        .size:           12
        .value_kind:     by_value
      - .offset:         56
        .size:           12
        .value_kind:     by_value
      - .offset:         68
        .size:           12
        .value_kind:     by_value
      - .offset:         80
        .size:           4
        .value_kind:     hidden_block_count_x
      - .offset:         84
        .size:           4
        .value_kind:     hidden_block_count_y
      - .offset:         88
        .size:           4
        .value_kind:     hidden_block_count_z
      - .offset:         92
        .size:           2
        .value_kind:     hidden_group_size_x
      - .offset:         94
        .size:           2
        .value_kind:     hidden_group_size_y
      - .offset:         96
        .size:           2
        .value_kind:     hidden_group_size_z
      - .offset:         98
        .size:           2
        .value_kind:     hidden_remainder_x
      - .offset:         100
        .size:           2
        .value_kind:     hidden_remainder_y
      - .offset:         102
        .size:           2
        .value_kind:     hidden_remainder_z
      - .offset:         120
        .size:           8
        .value_kind:     hidden_global_offset_x
      - .offset:         128
        .size:           8
        .value_kind:     hidden_global_offset_y
      - .offset:         136
        .size:           8
        .value_kind:     hidden_global_offset_z
      - .offset:         144
        .size:           2
        .value_kind:     hidden_grid_dims
    .group_segment_fixed_size: 0
    .kernarg_segment_align: 8
    .kernarg_segment_size: 336
    .language:       OpenCL C
    .language_version:
      - 2
      - 0
    .max_flat_workgroup_size: 256
    .name:           _ZL33flash_attn_stream_k_fixup_generalILi256ELi2ELi1EEvPfPK15HIP_vector_typeIfLj2EEiiiiS1_IjLj3EES5_S5_S5_
    .private_segment_fixed_size: 0
    .sgpr_count:     48
    .sgpr_spill_count: 0
    .symbol:         _ZL33flash_attn_stream_k_fixup_generalILi256ELi2ELi1EEvPfPK15HIP_vector_typeIfLj2EEiiiiS1_IjLj3EES5_S5_S5_.kd
    .uniform_work_group_size: 1
    .uses_dynamic_stack: false
    .vgpr_count:     12
    .vgpr_spill_count: 0
    .wavefront_size: 32
  - .args:
      - .address_space:  global
        .offset:         0
        .size:           8
        .value_kind:     global_buffer
      - .address_space:  global
        .offset:         8
        .size:           8
        .value_kind:     global_buffer
      - .address_space:  global
        .offset:         16
        .size:           8
        .value_kind:     global_buffer
      - .address_space:  global
        .offset:         24
        .size:           8
        .value_kind:     global_buffer
      - .address_space:  global
        .offset:         32
        .size:           8
        .value_kind:     global_buffer
      - .address_space:  global
        .offset:         40
        .size:           8
        .value_kind:     global_buffer
      - .address_space:  global
        .offset:         48
        .size:           8
        .value_kind:     global_buffer
      - .address_space:  global
        .offset:         56
        .size:           8
        .value_kind:     global_buffer
      - .offset:         64
        .size:           4
        .value_kind:     by_value
      - .offset:         68
        .size:           4
        .value_kind:     by_value
      - .offset:         72
        .size:           4
        .value_kind:     by_value
      - .offset:         76
        .size:           4
        .value_kind:     by_value
      - .offset:         80
        .size:           4
        .value_kind:     by_value
      - .offset:         84
        .size:           4
        .value_kind:     by_value
      - .offset:         88
        .size:           4
        .value_kind:     by_value
      - .offset:         92
        .size:           12
        .value_kind:     by_value
      - .offset:         104
        .size:           4
        .value_kind:     by_value
      - .offset:         108
        .size:           4
        .value_kind:     by_value
      - .offset:         112
        .size:           4
        .value_kind:     by_value
      - .offset:         116
        .size:           4
        .value_kind:     by_value
      - .offset:         120
        .size:           4
        .value_kind:     by_value
      - .offset:         124
        .size:           4
        .value_kind:     by_value
      - .offset:         128
        .size:           4
        .value_kind:     by_value
      - .offset:         132
        .size:           4
        .value_kind:     by_value
      - .offset:         136
        .size:           4
        .value_kind:     by_value
      - .offset:         140
        .size:           4
        .value_kind:     by_value
      - .offset:         144
        .size:           4
        .value_kind:     by_value
      - .offset:         152
        .size:           8
        .value_kind:     by_value
      - .offset:         160
        .size:           4
        .value_kind:     by_value
      - .offset:         164
        .size:           4
        .value_kind:     by_value
      - .offset:         168
        .size:           8
        .value_kind:     by_value
      - .offset:         176
        .size:           4
        .value_kind:     by_value
      - .offset:         180
        .size:           4
        .value_kind:     by_value
      - .offset:         184
        .size:           4
        .value_kind:     by_value
      - .offset:         188
        .size:           4
        .value_kind:     by_value
      - .offset:         192
        .size:           4
        .value_kind:     by_value
      - .offset:         200
        .size:           8
        .value_kind:     by_value
      - .offset:         208
        .size:           4
        .value_kind:     hidden_block_count_x
      - .offset:         212
        .size:           4
        .value_kind:     hidden_block_count_y
      - .offset:         216
        .size:           4
        .value_kind:     hidden_block_count_z
      - .offset:         220
        .size:           2
        .value_kind:     hidden_group_size_x
      - .offset:         222
        .size:           2
        .value_kind:     hidden_group_size_y
      - .offset:         224
        .size:           2
        .value_kind:     hidden_group_size_z
      - .offset:         226
        .size:           2
        .value_kind:     hidden_remainder_x
      - .offset:         228
        .size:           2
        .value_kind:     hidden_remainder_y
      - .offset:         230
        .size:           2
        .value_kind:     hidden_remainder_z
      - .offset:         248
        .size:           8
        .value_kind:     hidden_global_offset_x
      - .offset:         256
        .size:           8
        .value_kind:     hidden_global_offset_y
      - .offset:         264
        .size:           8
        .value_kind:     hidden_global_offset_z
      - .offset:         272
        .size:           2
        .value_kind:     hidden_grid_dims
    .group_segment_fixed_size: 37888
    .kernarg_segment_align: 8
    .kernarg_segment_size: 464
    .language:       OpenCL C
    .language_version:
      - 2
      - 0
    .max_flat_workgroup_size: 256
    .name:           _ZL15flash_attn_tileILi256ELi256ELi4ELi8ELb1EEvPKcS1_S1_S1_S1_PKiPfP15HIP_vector_typeIfLj2EEffffjfiS5_IjLj3EEiiiiiiiiiiiliiliiiiil
    .private_segment_fixed_size: 0
    .sgpr_count:     43
    .sgpr_spill_count: 0
    .symbol:         _ZL15flash_attn_tileILi256ELi256ELi4ELi8ELb1EEvPKcS1_S1_S1_S1_PKiPfP15HIP_vector_typeIfLj2EEffffjfiS5_IjLj3EEiiiiiiiiiiiliiliiiiil.kd
    .uniform_work_group_size: 1
    .uses_dynamic_stack: false
    .vgpr_count:     167
    .vgpr_spill_count: 0
    .wavefront_size: 32
  - .args:
      - .address_space:  global
        .offset:         0
        .size:           8
        .value_kind:     global_buffer
      - .address_space:  global
        .offset:         8
        .size:           8
        .value_kind:     global_buffer
      - .address_space:  global
        .offset:         16
        .size:           8
        .value_kind:     global_buffer
      - .address_space:  global
        .offset:         24
        .size:           8
        .value_kind:     global_buffer
      - .address_space:  global
        .offset:         32
        .size:           8
        .value_kind:     global_buffer
      - .address_space:  global
        .offset:         40
        .size:           8
        .value_kind:     global_buffer
      - .address_space:  global
        .offset:         48
        .size:           8
        .value_kind:     global_buffer
      - .address_space:  global
        .offset:         56
        .size:           8
        .value_kind:     global_buffer
      - .offset:         64
        .size:           4
        .value_kind:     by_value
      - .offset:         68
        .size:           4
        .value_kind:     by_value
      - .offset:         72
        .size:           4
        .value_kind:     by_value
      - .offset:         76
        .size:           4
        .value_kind:     by_value
      - .offset:         80
        .size:           4
        .value_kind:     by_value
      - .offset:         84
        .size:           4
        .value_kind:     by_value
      - .offset:         88
        .size:           4
        .value_kind:     by_value
      - .offset:         92
        .size:           12
        .value_kind:     by_value
      - .offset:         104
        .size:           4
        .value_kind:     by_value
      - .offset:         108
        .size:           4
        .value_kind:     by_value
      - .offset:         112
        .size:           4
        .value_kind:     by_value
      - .offset:         116
        .size:           4
        .value_kind:     by_value
      - .offset:         120
        .size:           4
        .value_kind:     by_value
      - .offset:         124
        .size:           4
        .value_kind:     by_value
      - .offset:         128
        .size:           4
        .value_kind:     by_value
      - .offset:         132
        .size:           4
        .value_kind:     by_value
      - .offset:         136
        .size:           4
        .value_kind:     by_value
      - .offset:         140
        .size:           4
        .value_kind:     by_value
      - .offset:         144
        .size:           4
        .value_kind:     by_value
      - .offset:         152
        .size:           8
        .value_kind:     by_value
      - .offset:         160
        .size:           4
        .value_kind:     by_value
      - .offset:         164
        .size:           4
        .value_kind:     by_value
      - .offset:         168
        .size:           8
        .value_kind:     by_value
      - .offset:         176
        .size:           4
        .value_kind:     by_value
      - .offset:         180
        .size:           4
        .value_kind:     by_value
      - .offset:         184
        .size:           4
        .value_kind:     by_value
      - .offset:         188
        .size:           4
        .value_kind:     by_value
      - .offset:         192
        .size:           4
        .value_kind:     by_value
      - .offset:         200
        .size:           8
        .value_kind:     by_value
      - .offset:         208
        .size:           4
        .value_kind:     hidden_block_count_x
      - .offset:         212
        .size:           4
        .value_kind:     hidden_block_count_y
      - .offset:         216
        .size:           4
        .value_kind:     hidden_block_count_z
      - .offset:         220
        .size:           2
        .value_kind:     hidden_group_size_x
      - .offset:         222
        .size:           2
        .value_kind:     hidden_group_size_y
      - .offset:         224
        .size:           2
        .value_kind:     hidden_group_size_z
      - .offset:         226
        .size:           2
        .value_kind:     hidden_remainder_x
      - .offset:         228
        .size:           2
        .value_kind:     hidden_remainder_y
      - .offset:         230
        .size:           2
        .value_kind:     hidden_remainder_z
      - .offset:         248
        .size:           8
        .value_kind:     hidden_global_offset_x
      - .offset:         256
        .size:           8
        .value_kind:     hidden_global_offset_y
      - .offset:         264
        .size:           8
        .value_kind:     hidden_global_offset_z
      - .offset:         272
        .size:           2
        .value_kind:     hidden_grid_dims
    .group_segment_fixed_size: 26112
    .kernarg_segment_align: 8
    .kernarg_segment_size: 464
    .language:       OpenCL C
    .language_version:
      - 2
      - 0
    .max_flat_workgroup_size: 256
    .name:           _ZL15flash_attn_tileILi256ELi256ELi2ELi8ELb1EEvPKcS1_S1_S1_S1_PKiPfP15HIP_vector_typeIfLj2EEffffjfiS5_IjLj3EEiiiiiiiiiiiliiliiiiil
    .private_segment_fixed_size: 0
    .sgpr_count:     44
    .sgpr_spill_count: 0
    .symbol:         _ZL15flash_attn_tileILi256ELi256ELi2ELi8ELb1EEvPKcS1_S1_S1_S1_PKiPfP15HIP_vector_typeIfLj2EEffffjfiS5_IjLj3EEiiiiiiiiiiiliiliiiiil.kd
    .uniform_work_group_size: 1
    .uses_dynamic_stack: false
    .vgpr_count:     130
    .vgpr_spill_count: 0
    .wavefront_size: 32
  - .args:
      - .address_space:  global
        .offset:         0
        .size:           8
        .value_kind:     global_buffer
      - .address_space:  global
        .offset:         8
        .size:           8
        .value_kind:     global_buffer
      - .address_space:  global
        .offset:         16
        .size:           8
        .value_kind:     global_buffer
      - .address_space:  global
        .offset:         24
        .size:           8
        .value_kind:     global_buffer
      - .address_space:  global
        .offset:         32
        .size:           8
        .value_kind:     global_buffer
      - .address_space:  global
        .offset:         40
        .size:           8
        .value_kind:     global_buffer
      - .address_space:  global
        .offset:         48
        .size:           8
        .value_kind:     global_buffer
      - .address_space:  global
        .offset:         56
        .size:           8
        .value_kind:     global_buffer
      - .offset:         64
        .size:           4
        .value_kind:     by_value
      - .offset:         68
        .size:           4
        .value_kind:     by_value
      - .offset:         72
        .size:           4
        .value_kind:     by_value
      - .offset:         76
        .size:           4
        .value_kind:     by_value
      - .offset:         80
        .size:           4
        .value_kind:     by_value
      - .offset:         84
        .size:           4
        .value_kind:     by_value
      - .offset:         88
        .size:           4
        .value_kind:     by_value
      - .offset:         92
        .size:           12
        .value_kind:     by_value
      - .offset:         104
        .size:           4
        .value_kind:     by_value
      - .offset:         108
        .size:           4
        .value_kind:     by_value
      - .offset:         112
        .size:           4
        .value_kind:     by_value
      - .offset:         116
        .size:           4
        .value_kind:     by_value
      - .offset:         120
        .size:           4
        .value_kind:     by_value
      - .offset:         124
        .size:           4
        .value_kind:     by_value
      - .offset:         128
        .size:           4
        .value_kind:     by_value
      - .offset:         132
        .size:           4
        .value_kind:     by_value
      - .offset:         136
        .size:           4
        .value_kind:     by_value
      - .offset:         140
        .size:           4
        .value_kind:     by_value
      - .offset:         144
        .size:           4
        .value_kind:     by_value
      - .offset:         152
        .size:           8
        .value_kind:     by_value
      - .offset:         160
        .size:           4
        .value_kind:     by_value
      - .offset:         164
        .size:           4
        .value_kind:     by_value
      - .offset:         168
        .size:           8
        .value_kind:     by_value
      - .offset:         176
        .size:           4
        .value_kind:     by_value
      - .offset:         180
        .size:           4
        .value_kind:     by_value
      - .offset:         184
        .size:           4
        .value_kind:     by_value
      - .offset:         188
        .size:           4
        .value_kind:     by_value
      - .offset:         192
        .size:           4
        .value_kind:     by_value
      - .offset:         200
        .size:           8
        .value_kind:     by_value
      - .offset:         208
        .size:           4
        .value_kind:     hidden_block_count_x
      - .offset:         212
        .size:           4
        .value_kind:     hidden_block_count_y
      - .offset:         216
        .size:           4
        .value_kind:     hidden_block_count_z
      - .offset:         220
        .size:           2
        .value_kind:     hidden_group_size_x
      - .offset:         222
        .size:           2
        .value_kind:     hidden_group_size_y
      - .offset:         224
        .size:           2
        .value_kind:     hidden_group_size_z
      - .offset:         226
        .size:           2
        .value_kind:     hidden_remainder_x
      - .offset:         228
        .size:           2
        .value_kind:     hidden_remainder_y
      - .offset:         230
        .size:           2
        .value_kind:     hidden_remainder_z
      - .offset:         248
        .size:           8
        .value_kind:     hidden_global_offset_x
      - .offset:         256
        .size:           8
        .value_kind:     hidden_global_offset_y
      - .offset:         264
        .size:           8
        .value_kind:     hidden_global_offset_z
      - .offset:         272
        .size:           2
        .value_kind:     hidden_grid_dims
    .group_segment_fixed_size: 21504
    .kernarg_segment_align: 8
    .kernarg_segment_size: 464
    .language:       OpenCL C
    .language_version:
      - 2
      - 0
    .max_flat_workgroup_size: 128
    .name:           _ZL15flash_attn_tileILi256ELi256ELi1ELi8ELb1EEvPKcS1_S1_S1_S1_PKiPfP15HIP_vector_typeIfLj2EEffffjfiS5_IjLj3EEiiiiiiiiiiiliiliiiiil
    .private_segment_fixed_size: 0
    .sgpr_count:     44
    .sgpr_spill_count: 0
    .symbol:         _ZL15flash_attn_tileILi256ELi256ELi1ELi8ELb1EEvPKcS1_S1_S1_S1_PKiPfP15HIP_vector_typeIfLj2EEffffjfiS5_IjLj3EEiiiiiiiiiiiliiliiiiil.kd
    .uniform_work_group_size: 1
    .uses_dynamic_stack: false
    .vgpr_count:     148
    .vgpr_spill_count: 0
    .wavefront_size: 32
  - .args:
      - .address_space:  global
        .offset:         0
        .size:           8
        .value_kind:     global_buffer
      - .address_space:  global
        .offset:         8
        .size:           8
        .value_kind:     global_buffer
      - .address_space:  global
        .offset:         16
        .size:           8
        .value_kind:     global_buffer
      - .address_space:  global
        .offset:         24
        .size:           8
        .value_kind:     global_buffer
      - .address_space:  global
        .offset:         32
        .size:           8
        .value_kind:     global_buffer
      - .address_space:  global
        .offset:         40
        .size:           8
        .value_kind:     global_buffer
      - .address_space:  global
        .offset:         48
        .size:           8
        .value_kind:     global_buffer
      - .address_space:  global
        .offset:         56
        .size:           8
        .value_kind:     global_buffer
      - .offset:         64
        .size:           4
        .value_kind:     by_value
      - .offset:         68
        .size:           4
        .value_kind:     by_value
      - .offset:         72
        .size:           4
        .value_kind:     by_value
      - .offset:         76
        .size:           4
        .value_kind:     by_value
      - .offset:         80
        .size:           4
        .value_kind:     by_value
      - .offset:         84
        .size:           4
        .value_kind:     by_value
      - .offset:         88
        .size:           4
        .value_kind:     by_value
      - .offset:         92
        .size:           12
        .value_kind:     by_value
      - .offset:         104
        .size:           4
        .value_kind:     by_value
      - .offset:         108
        .size:           4
        .value_kind:     by_value
      - .offset:         112
        .size:           4
        .value_kind:     by_value
      - .offset:         116
        .size:           4
        .value_kind:     by_value
      - .offset:         120
        .size:           4
        .value_kind:     by_value
      - .offset:         124
        .size:           4
        .value_kind:     by_value
      - .offset:         128
        .size:           4
        .value_kind:     by_value
      - .offset:         132
        .size:           4
        .value_kind:     by_value
      - .offset:         136
        .size:           4
        .value_kind:     by_value
      - .offset:         140
        .size:           4
        .value_kind:     by_value
      - .offset:         144
        .size:           4
        .value_kind:     by_value
      - .offset:         152
        .size:           8
        .value_kind:     by_value
      - .offset:         160
        .size:           4
        .value_kind:     by_value
      - .offset:         164
        .size:           4
        .value_kind:     by_value
      - .offset:         168
        .size:           8
        .value_kind:     by_value
      - .offset:         176
        .size:           4
        .value_kind:     by_value
      - .offset:         180
        .size:           4
        .value_kind:     by_value
      - .offset:         184
        .size:           4
        .value_kind:     by_value
      - .offset:         188
        .size:           4
        .value_kind:     by_value
      - .offset:         192
        .size:           4
        .value_kind:     by_value
      - .offset:         200
        .size:           8
        .value_kind:     by_value
      - .offset:         208
        .size:           4
        .value_kind:     hidden_block_count_x
      - .offset:         212
        .size:           4
        .value_kind:     hidden_block_count_y
      - .offset:         216
        .size:           4
        .value_kind:     hidden_block_count_z
      - .offset:         220
        .size:           2
        .value_kind:     hidden_group_size_x
      - .offset:         222
        .size:           2
        .value_kind:     hidden_group_size_y
      - .offset:         224
        .size:           2
        .value_kind:     hidden_group_size_z
      - .offset:         226
        .size:           2
        .value_kind:     hidden_remainder_x
      - .offset:         228
        .size:           2
        .value_kind:     hidden_remainder_y
      - .offset:         230
        .size:           2
        .value_kind:     hidden_remainder_z
      - .offset:         248
        .size:           8
        .value_kind:     hidden_global_offset_x
      - .offset:         256
        .size:           8
        .value_kind:     hidden_global_offset_y
      - .offset:         264
        .size:           8
        .value_kind:     hidden_global_offset_z
      - .offset:         272
        .size:           2
        .value_kind:     hidden_grid_dims
    .group_segment_fixed_size: 37888
    .kernarg_segment_align: 8
    .kernarg_segment_size: 464
    .language:       OpenCL C
    .language_version:
      - 2
      - 0
    .max_flat_workgroup_size: 256
    .name:           _ZL15flash_attn_tileILi256ELi256ELi8ELi4ELb1EEvPKcS1_S1_S1_S1_PKiPfP15HIP_vector_typeIfLj2EEffffjfiS5_IjLj3EEiiiiiiiiiiiliiliiiiil
    .private_segment_fixed_size: 0
    .sgpr_count:     45
    .sgpr_spill_count: 0
    .symbol:         _ZL15flash_attn_tileILi256ELi256ELi8ELi4ELb1EEvPKcS1_S1_S1_S1_PKiPfP15HIP_vector_typeIfLj2EEffffjfiS5_IjLj3EEiiiiiiiiiiiliiliiiiil.kd
    .uniform_work_group_size: 1
    .uses_dynamic_stack: false
    .vgpr_count:     166
    .vgpr_spill_count: 0
    .wavefront_size: 32
  - .args:
      - .address_space:  global
        .offset:         0
        .size:           8
        .value_kind:     global_buffer
      - .address_space:  global
        .offset:         8
        .size:           8
        .value_kind:     global_buffer
      - .address_space:  global
        .offset:         16
        .size:           8
        .value_kind:     global_buffer
      - .address_space:  global
        .offset:         24
        .size:           8
        .value_kind:     global_buffer
      - .address_space:  global
        .offset:         32
        .size:           8
        .value_kind:     global_buffer
      - .address_space:  global
        .offset:         40
        .size:           8
        .value_kind:     global_buffer
      - .address_space:  global
        .offset:         48
        .size:           8
        .value_kind:     global_buffer
      - .address_space:  global
        .offset:         56
        .size:           8
        .value_kind:     global_buffer
      - .offset:         64
        .size:           4
        .value_kind:     by_value
      - .offset:         68
        .size:           4
        .value_kind:     by_value
      - .offset:         72
        .size:           4
        .value_kind:     by_value
      - .offset:         76
        .size:           4
        .value_kind:     by_value
      - .offset:         80
        .size:           4
        .value_kind:     by_value
      - .offset:         84
        .size:           4
        .value_kind:     by_value
      - .offset:         88
        .size:           4
        .value_kind:     by_value
      - .offset:         92
        .size:           12
        .value_kind:     by_value
      - .offset:         104
        .size:           4
        .value_kind:     by_value
      - .offset:         108
        .size:           4
        .value_kind:     by_value
      - .offset:         112
        .size:           4
        .value_kind:     by_value
      - .offset:         116
        .size:           4
        .value_kind:     by_value
      - .offset:         120
        .size:           4
        .value_kind:     by_value
      - .offset:         124
        .size:           4
        .value_kind:     by_value
      - .offset:         128
        .size:           4
        .value_kind:     by_value
      - .offset:         132
        .size:           4
        .value_kind:     by_value
      - .offset:         136
        .size:           4
        .value_kind:     by_value
      - .offset:         140
        .size:           4
        .value_kind:     by_value
      - .offset:         144
        .size:           4
        .value_kind:     by_value
      - .offset:         152
        .size:           8
        .value_kind:     by_value
      - .offset:         160
        .size:           4
        .value_kind:     by_value
      - .offset:         164
        .size:           4
        .value_kind:     by_value
      - .offset:         168
        .size:           8
        .value_kind:     by_value
      - .offset:         176
        .size:           4
        .value_kind:     by_value
      - .offset:         180
        .size:           4
        .value_kind:     by_value
      - .offset:         184
        .size:           4
        .value_kind:     by_value
      - .offset:         188
        .size:           4
        .value_kind:     by_value
      - .offset:         192
        .size:           4
        .value_kind:     by_value
      - .offset:         200
        .size:           8
        .value_kind:     by_value
      - .offset:         208
        .size:           4
        .value_kind:     hidden_block_count_x
      - .offset:         212
        .size:           4
        .value_kind:     hidden_block_count_y
      - .offset:         216
        .size:           4
        .value_kind:     hidden_block_count_z
      - .offset:         220
        .size:           2
        .value_kind:     hidden_group_size_x
      - .offset:         222
        .size:           2
        .value_kind:     hidden_group_size_y
      - .offset:         224
        .size:           2
        .value_kind:     hidden_group_size_z
      - .offset:         226
        .size:           2
        .value_kind:     hidden_remainder_x
      - .offset:         228
        .size:           2
        .value_kind:     hidden_remainder_y
      - .offset:         230
        .size:           2
        .value_kind:     hidden_remainder_z
      - .offset:         248
        .size:           8
        .value_kind:     hidden_global_offset_x
      - .offset:         256
        .size:           8
        .value_kind:     hidden_global_offset_y
      - .offset:         264
        .size:           8
        .value_kind:     hidden_global_offset_z
      - .offset:         272
        .size:           2
        .value_kind:     hidden_grid_dims
    .group_segment_fixed_size: 26112
    .kernarg_segment_align: 8
    .kernarg_segment_size: 464
    .language:       OpenCL C
    .language_version:
      - 2
      - 0
    .max_flat_workgroup_size: 256
    .name:           _ZL15flash_attn_tileILi256ELi256ELi4ELi4ELb1EEvPKcS1_S1_S1_S1_PKiPfP15HIP_vector_typeIfLj2EEffffjfiS5_IjLj3EEiiiiiiiiiiiliiliiiiil
    .private_segment_fixed_size: 0
    .sgpr_count:     44
    .sgpr_spill_count: 0
    .symbol:         _ZL15flash_attn_tileILi256ELi256ELi4ELi4ELb1EEvPKcS1_S1_S1_S1_PKiPfP15HIP_vector_typeIfLj2EEffffjfiS5_IjLj3EEiiiiiiiiiiiliiliiiiil.kd
    .uniform_work_group_size: 1
    .uses_dynamic_stack: false
    .vgpr_count:     130
    .vgpr_spill_count: 0
    .wavefront_size: 32
  - .args:
      - .address_space:  global
        .offset:         0
        .size:           8
        .value_kind:     global_buffer
      - .address_space:  global
        .offset:         8
        .size:           8
        .value_kind:     global_buffer
      - .address_space:  global
        .offset:         16
        .size:           8
        .value_kind:     global_buffer
      - .address_space:  global
        .offset:         24
        .size:           8
        .value_kind:     global_buffer
      - .address_space:  global
        .offset:         32
        .size:           8
        .value_kind:     global_buffer
      - .address_space:  global
        .offset:         40
        .size:           8
        .value_kind:     global_buffer
      - .address_space:  global
        .offset:         48
        .size:           8
        .value_kind:     global_buffer
      - .address_space:  global
        .offset:         56
        .size:           8
        .value_kind:     global_buffer
      - .offset:         64
        .size:           4
        .value_kind:     by_value
      - .offset:         68
        .size:           4
        .value_kind:     by_value
      - .offset:         72
        .size:           4
        .value_kind:     by_value
      - .offset:         76
        .size:           4
        .value_kind:     by_value
      - .offset:         80
        .size:           4
        .value_kind:     by_value
      - .offset:         84
        .size:           4
        .value_kind:     by_value
      - .offset:         88
        .size:           4
        .value_kind:     by_value
      - .offset:         92
        .size:           12
        .value_kind:     by_value
      - .offset:         104
        .size:           4
        .value_kind:     by_value
      - .offset:         108
        .size:           4
        .value_kind:     by_value
      - .offset:         112
        .size:           4
        .value_kind:     by_value
      - .offset:         116
        .size:           4
        .value_kind:     by_value
      - .offset:         120
        .size:           4
        .value_kind:     by_value
      - .offset:         124
        .size:           4
        .value_kind:     by_value
      - .offset:         128
        .size:           4
        .value_kind:     by_value
      - .offset:         132
        .size:           4
        .value_kind:     by_value
      - .offset:         136
        .size:           4
        .value_kind:     by_value
      - .offset:         140
        .size:           4
        .value_kind:     by_value
      - .offset:         144
        .size:           4
        .value_kind:     by_value
      - .offset:         152
        .size:           8
        .value_kind:     by_value
      - .offset:         160
        .size:           4
        .value_kind:     by_value
      - .offset:         164
        .size:           4
        .value_kind:     by_value
      - .offset:         168
        .size:           8
        .value_kind:     by_value
      - .offset:         176
        .size:           4
        .value_kind:     by_value
      - .offset:         180
        .size:           4
        .value_kind:     by_value
      - .offset:         184
        .size:           4
        .value_kind:     by_value
      - .offset:         188
        .size:           4
        .value_kind:     by_value
      - .offset:         192
        .size:           4
        .value_kind:     by_value
      - .offset:         200
        .size:           8
        .value_kind:     by_value
      - .offset:         208
        .size:           4
        .value_kind:     hidden_block_count_x
      - .offset:         212
        .size:           4
        .value_kind:     hidden_block_count_y
      - .offset:         216
        .size:           4
        .value_kind:     hidden_block_count_z
      - .offset:         220
        .size:           2
        .value_kind:     hidden_group_size_x
      - .offset:         222
        .size:           2
        .value_kind:     hidden_group_size_y
      - .offset:         224
        .size:           2
        .value_kind:     hidden_group_size_z
      - .offset:         226
        .size:           2
        .value_kind:     hidden_remainder_x
      - .offset:         228
        .size:           2
        .value_kind:     hidden_remainder_y
      - .offset:         230
        .size:           2
        .value_kind:     hidden_remainder_z
      - .offset:         248
        .size:           8
        .value_kind:     hidden_global_offset_x
      - .offset:         256
        .size:           8
        .value_kind:     hidden_global_offset_y
      - .offset:         264
        .size:           8
        .value_kind:     hidden_global_offset_z
      - .offset:         272
        .size:           2
        .value_kind:     hidden_grid_dims
    .group_segment_fixed_size: 21504
    .kernarg_segment_align: 8
    .kernarg_segment_size: 464
    .language:       OpenCL C
    .language_version:
      - 2
      - 0
    .max_flat_workgroup_size: 128
    .name:           _ZL15flash_attn_tileILi256ELi256ELi2ELi4ELb1EEvPKcS1_S1_S1_S1_PKiPfP15HIP_vector_typeIfLj2EEffffjfiS5_IjLj3EEiiiiiiiiiiiliiliiiiil
    .private_segment_fixed_size: 0
    .sgpr_count:     44
    .sgpr_spill_count: 0
    .symbol:         _ZL15flash_attn_tileILi256ELi256ELi2ELi4ELb1EEvPKcS1_S1_S1_S1_PKiPfP15HIP_vector_typeIfLj2EEffffjfiS5_IjLj3EEiiiiiiiiiiiliiliiiiil.kd
    .uniform_work_group_size: 1
    .uses_dynamic_stack: false
    .vgpr_count:     148
    .vgpr_spill_count: 0
    .wavefront_size: 32
  - .args:
      - .address_space:  global
        .offset:         0
        .size:           8
        .value_kind:     global_buffer
      - .address_space:  global
        .offset:         8
        .size:           8
        .value_kind:     global_buffer
      - .address_space:  global
        .offset:         16
        .size:           8
        .value_kind:     global_buffer
      - .address_space:  global
        .offset:         24
        .size:           8
        .value_kind:     global_buffer
      - .address_space:  global
        .offset:         32
        .size:           8
        .value_kind:     global_buffer
      - .address_space:  global
        .offset:         40
        .size:           8
        .value_kind:     global_buffer
      - .address_space:  global
        .offset:         48
        .size:           8
        .value_kind:     global_buffer
      - .address_space:  global
        .offset:         56
        .size:           8
        .value_kind:     global_buffer
      - .offset:         64
        .size:           4
        .value_kind:     by_value
      - .offset:         68
        .size:           4
        .value_kind:     by_value
      - .offset:         72
        .size:           4
        .value_kind:     by_value
      - .offset:         76
        .size:           4
        .value_kind:     by_value
      - .offset:         80
        .size:           4
        .value_kind:     by_value
      - .offset:         84
        .size:           4
        .value_kind:     by_value
      - .offset:         88
        .size:           4
        .value_kind:     by_value
      - .offset:         92
        .size:           12
        .value_kind:     by_value
      - .offset:         104
        .size:           4
        .value_kind:     by_value
      - .offset:         108
        .size:           4
        .value_kind:     by_value
      - .offset:         112
        .size:           4
        .value_kind:     by_value
      - .offset:         116
        .size:           4
        .value_kind:     by_value
      - .offset:         120
        .size:           4
        .value_kind:     by_value
      - .offset:         124
        .size:           4
        .value_kind:     by_value
      - .offset:         128
        .size:           4
        .value_kind:     by_value
      - .offset:         132
        .size:           4
        .value_kind:     by_value
      - .offset:         136
        .size:           4
        .value_kind:     by_value
      - .offset:         140
        .size:           4
        .value_kind:     by_value
      - .offset:         144
        .size:           4
        .value_kind:     by_value
      - .offset:         152
        .size:           8
        .value_kind:     by_value
      - .offset:         160
        .size:           4
        .value_kind:     by_value
      - .offset:         164
        .size:           4
        .value_kind:     by_value
      - .offset:         168
        .size:           8
        .value_kind:     by_value
      - .offset:         176
        .size:           4
        .value_kind:     by_value
      - .offset:         180
        .size:           4
        .value_kind:     by_value
      - .offset:         184
        .size:           4
        .value_kind:     by_value
      - .offset:         188
        .size:           4
        .value_kind:     by_value
      - .offset:         192
        .size:           4
        .value_kind:     by_value
      - .offset:         200
        .size:           8
        .value_kind:     by_value
      - .offset:         208
        .size:           4
        .value_kind:     hidden_block_count_x
      - .offset:         212
        .size:           4
        .value_kind:     hidden_block_count_y
      - .offset:         216
        .size:           4
        .value_kind:     hidden_block_count_z
      - .offset:         220
        .size:           2
        .value_kind:     hidden_group_size_x
      - .offset:         222
        .size:           2
        .value_kind:     hidden_group_size_y
      - .offset:         224
        .size:           2
        .value_kind:     hidden_group_size_z
      - .offset:         226
        .size:           2
        .value_kind:     hidden_remainder_x
      - .offset:         228
        .size:           2
        .value_kind:     hidden_remainder_y
      - .offset:         230
        .size:           2
        .value_kind:     hidden_remainder_z
      - .offset:         248
        .size:           8
        .value_kind:     hidden_global_offset_x
      - .offset:         256
        .size:           8
        .value_kind:     hidden_global_offset_y
      - .offset:         264
        .size:           8
        .value_kind:     hidden_global_offset_z
      - .offset:         272
        .size:           2
        .value_kind:     hidden_grid_dims
    .group_segment_fixed_size: 19200
    .kernarg_segment_align: 8
    .kernarg_segment_size: 464
    .language:       OpenCL C
    .language_version:
      - 2
      - 0
    .max_flat_workgroup_size: 128
    .name:           _ZL15flash_attn_tileILi256ELi256ELi1ELi4ELb1EEvPKcS1_S1_S1_S1_PKiPfP15HIP_vector_typeIfLj2EEffffjfiS5_IjLj3EEiiiiiiiiiiiliiliiiiil
    .private_segment_fixed_size: 0
    .sgpr_count:     45
    .sgpr_spill_count: 0
    .symbol:         _ZL15flash_attn_tileILi256ELi256ELi1ELi4ELb1EEvPKcS1_S1_S1_S1_PKiPfP15HIP_vector_typeIfLj2EEffffjfiS5_IjLj3EEiiiiiiiiiiiliiliiiiil.kd
    .uniform_work_group_size: 1
    .uses_dynamic_stack: false
    .vgpr_count:     158
    .vgpr_spill_count: 0
    .wavefront_size: 32
  - .args:
      - .address_space:  global
        .offset:         0
        .size:           8
        .value_kind:     global_buffer
      - .address_space:  global
        .offset:         8
        .size:           8
        .value_kind:     global_buffer
      - .address_space:  global
        .offset:         16
        .size:           8
        .value_kind:     global_buffer
      - .address_space:  global
        .offset:         24
        .size:           8
        .value_kind:     global_buffer
      - .address_space:  global
        .offset:         32
        .size:           8
        .value_kind:     global_buffer
      - .address_space:  global
        .offset:         40
        .size:           8
        .value_kind:     global_buffer
      - .address_space:  global
        .offset:         48
        .size:           8
        .value_kind:     global_buffer
      - .address_space:  global
        .offset:         56
        .size:           8
        .value_kind:     global_buffer
      - .offset:         64
        .size:           4
        .value_kind:     by_value
      - .offset:         68
        .size:           4
        .value_kind:     by_value
      - .offset:         72
        .size:           4
        .value_kind:     by_value
      - .offset:         76
        .size:           4
        .value_kind:     by_value
      - .offset:         80
        .size:           4
        .value_kind:     by_value
      - .offset:         84
        .size:           4
        .value_kind:     by_value
      - .offset:         88
        .size:           4
        .value_kind:     by_value
      - .offset:         92
        .size:           12
        .value_kind:     by_value
      - .offset:         104
        .size:           4
        .value_kind:     by_value
      - .offset:         108
        .size:           4
        .value_kind:     by_value
      - .offset:         112
        .size:           4
        .value_kind:     by_value
      - .offset:         116
        .size:           4
        .value_kind:     by_value
      - .offset:         120
        .size:           4
        .value_kind:     by_value
      - .offset:         124
        .size:           4
        .value_kind:     by_value
      - .offset:         128
        .size:           4
        .value_kind:     by_value
      - .offset:         132
        .size:           4
        .value_kind:     by_value
      - .offset:         136
        .size:           4
        .value_kind:     by_value
      - .offset:         140
        .size:           4
        .value_kind:     by_value
      - .offset:         144
        .size:           4
        .value_kind:     by_value
      - .offset:         152
        .size:           8
        .value_kind:     by_value
      - .offset:         160
        .size:           4
        .value_kind:     by_value
      - .offset:         164
        .size:           4
        .value_kind:     by_value
      - .offset:         168
        .size:           8
        .value_kind:     by_value
      - .offset:         176
        .size:           4
        .value_kind:     by_value
      - .offset:         180
        .size:           4
        .value_kind:     by_value
      - .offset:         184
        .size:           4
        .value_kind:     by_value
      - .offset:         188
        .size:           4
        .value_kind:     by_value
      - .offset:         192
        .size:           4
        .value_kind:     by_value
      - .offset:         200
        .size:           8
        .value_kind:     by_value
      - .offset:         208
        .size:           4
        .value_kind:     hidden_block_count_x
      - .offset:         212
        .size:           4
        .value_kind:     hidden_block_count_y
      - .offset:         216
        .size:           4
        .value_kind:     hidden_block_count_z
      - .offset:         220
        .size:           2
        .value_kind:     hidden_group_size_x
      - .offset:         222
        .size:           2
        .value_kind:     hidden_group_size_y
      - .offset:         224
        .size:           2
        .value_kind:     hidden_group_size_z
      - .offset:         226
        .size:           2
        .value_kind:     hidden_remainder_x
      - .offset:         228
        .size:           2
        .value_kind:     hidden_remainder_y
      - .offset:         230
        .size:           2
        .value_kind:     hidden_remainder_z
      - .offset:         248
        .size:           8
        .value_kind:     hidden_global_offset_x
      - .offset:         256
        .size:           8
        .value_kind:     hidden_global_offset_y
      - .offset:         264
        .size:           8
        .value_kind:     hidden_global_offset_z
      - .offset:         272
        .size:           2
        .value_kind:     hidden_grid_dims
    .group_segment_fixed_size: 37888
    .kernarg_segment_align: 8
    .kernarg_segment_size: 464
    .language:       OpenCL C
    .language_version:
      - 2
      - 0
    .max_flat_workgroup_size: 256
    .name:           _ZL15flash_attn_tileILi256ELi256ELi16ELi2ELb1EEvPKcS1_S1_S1_S1_PKiPfP15HIP_vector_typeIfLj2EEffffjfiS5_IjLj3EEiiiiiiiiiiiliiliiiiil
    .private_segment_fixed_size: 0
    .sgpr_count:     49
    .sgpr_spill_count: 0
    .symbol:         _ZL15flash_attn_tileILi256ELi256ELi16ELi2ELb1EEvPKcS1_S1_S1_S1_PKiPfP15HIP_vector_typeIfLj2EEffffjfiS5_IjLj3EEiiiiiiiiiiiliiliiiiil.kd
    .uniform_work_group_size: 1
    .uses_dynamic_stack: false
    .vgpr_count:     188
    .vgpr_spill_count: 0
    .wavefront_size: 32
  - .args:
      - .address_space:  global
        .offset:         0
        .size:           8
        .value_kind:     global_buffer
      - .address_space:  global
        .offset:         8
        .size:           8
        .value_kind:     global_buffer
      - .address_space:  global
        .offset:         16
        .size:           8
        .value_kind:     global_buffer
      - .address_space:  global
        .offset:         24
        .size:           8
        .value_kind:     global_buffer
      - .address_space:  global
        .offset:         32
        .size:           8
        .value_kind:     global_buffer
      - .address_space:  global
        .offset:         40
        .size:           8
        .value_kind:     global_buffer
      - .address_space:  global
        .offset:         48
        .size:           8
        .value_kind:     global_buffer
      - .address_space:  global
        .offset:         56
        .size:           8
        .value_kind:     global_buffer
      - .offset:         64
        .size:           4
        .value_kind:     by_value
      - .offset:         68
        .size:           4
        .value_kind:     by_value
      - .offset:         72
        .size:           4
        .value_kind:     by_value
      - .offset:         76
        .size:           4
        .value_kind:     by_value
      - .offset:         80
        .size:           4
        .value_kind:     by_value
      - .offset:         84
        .size:           4
        .value_kind:     by_value
      - .offset:         88
        .size:           4
        .value_kind:     by_value
      - .offset:         92
        .size:           12
        .value_kind:     by_value
      - .offset:         104
        .size:           4
        .value_kind:     by_value
      - .offset:         108
        .size:           4
        .value_kind:     by_value
      - .offset:         112
        .size:           4
        .value_kind:     by_value
      - .offset:         116
        .size:           4
        .value_kind:     by_value
      - .offset:         120
        .size:           4
        .value_kind:     by_value
      - .offset:         124
        .size:           4
        .value_kind:     by_value
      - .offset:         128
        .size:           4
        .value_kind:     by_value
      - .offset:         132
        .size:           4
        .value_kind:     by_value
      - .offset:         136
        .size:           4
        .value_kind:     by_value
      - .offset:         140
        .size:           4
        .value_kind:     by_value
      - .offset:         144
        .size:           4
        .value_kind:     by_value
      - .offset:         152
        .size:           8
        .value_kind:     by_value
      - .offset:         160
        .size:           4
        .value_kind:     by_value
      - .offset:         164
        .size:           4
        .value_kind:     by_value
      - .offset:         168
        .size:           8
        .value_kind:     by_value
      - .offset:         176
        .size:           4
        .value_kind:     by_value
      - .offset:         180
        .size:           4
        .value_kind:     by_value
      - .offset:         184
        .size:           4
        .value_kind:     by_value
      - .offset:         188
        .size:           4
        .value_kind:     by_value
      - .offset:         192
        .size:           4
        .value_kind:     by_value
      - .offset:         200
        .size:           8
        .value_kind:     by_value
      - .offset:         208
        .size:           4
        .value_kind:     hidden_block_count_x
      - .offset:         212
        .size:           4
        .value_kind:     hidden_block_count_y
      - .offset:         216
        .size:           4
        .value_kind:     hidden_block_count_z
      - .offset:         220
        .size:           2
        .value_kind:     hidden_group_size_x
      - .offset:         222
        .size:           2
        .value_kind:     hidden_group_size_y
      - .offset:         224
        .size:           2
        .value_kind:     hidden_group_size_z
      - .offset:         226
        .size:           2
        .value_kind:     hidden_remainder_x
      - .offset:         228
        .size:           2
        .value_kind:     hidden_remainder_y
      - .offset:         230
        .size:           2
        .value_kind:     hidden_remainder_z
      - .offset:         248
        .size:           8
        .value_kind:     hidden_global_offset_x
      - .offset:         256
        .size:           8
        .value_kind:     hidden_global_offset_y
      - .offset:         264
        .size:           8
        .value_kind:     hidden_global_offset_z
      - .offset:         272
        .size:           2
        .value_kind:     hidden_grid_dims
    .group_segment_fixed_size: 26112
    .kernarg_segment_align: 8
    .kernarg_segment_size: 464
    .language:       OpenCL C
    .language_version:
      - 2
      - 0
    .max_flat_workgroup_size: 256
    .name:           _ZL15flash_attn_tileILi256ELi256ELi8ELi2ELb1EEvPKcS1_S1_S1_S1_PKiPfP15HIP_vector_typeIfLj2EEffffjfiS5_IjLj3EEiiiiiiiiiiiliiliiiiil
    .private_segment_fixed_size: 0
    .sgpr_count:     45
    .sgpr_spill_count: 0
    .symbol:         _ZL15flash_attn_tileILi256ELi256ELi8ELi2ELb1EEvPKcS1_S1_S1_S1_PKiPfP15HIP_vector_typeIfLj2EEffffjfiS5_IjLj3EEiiiiiiiiiiiliiliiiiil.kd
    .uniform_work_group_size: 1
    .uses_dynamic_stack: false
    .vgpr_count:     130
    .vgpr_spill_count: 0
    .wavefront_size: 32
  - .args:
      - .address_space:  global
        .offset:         0
        .size:           8
        .value_kind:     global_buffer
      - .address_space:  global
        .offset:         8
        .size:           8
        .value_kind:     global_buffer
      - .address_space:  global
        .offset:         16
        .size:           8
        .value_kind:     global_buffer
      - .address_space:  global
        .offset:         24
        .size:           8
        .value_kind:     global_buffer
      - .address_space:  global
        .offset:         32
        .size:           8
        .value_kind:     global_buffer
      - .address_space:  global
        .offset:         40
        .size:           8
        .value_kind:     global_buffer
      - .address_space:  global
        .offset:         48
        .size:           8
        .value_kind:     global_buffer
      - .address_space:  global
        .offset:         56
        .size:           8
        .value_kind:     global_buffer
      - .offset:         64
        .size:           4
        .value_kind:     by_value
      - .offset:         68
        .size:           4
        .value_kind:     by_value
      - .offset:         72
        .size:           4
        .value_kind:     by_value
      - .offset:         76
        .size:           4
        .value_kind:     by_value
      - .offset:         80
        .size:           4
        .value_kind:     by_value
      - .offset:         84
        .size:           4
        .value_kind:     by_value
      - .offset:         88
        .size:           4
        .value_kind:     by_value
      - .offset:         92
        .size:           12
        .value_kind:     by_value
      - .offset:         104
        .size:           4
        .value_kind:     by_value
      - .offset:         108
        .size:           4
        .value_kind:     by_value
      - .offset:         112
        .size:           4
        .value_kind:     by_value
      - .offset:         116
        .size:           4
        .value_kind:     by_value
      - .offset:         120
        .size:           4
        .value_kind:     by_value
      - .offset:         124
        .size:           4
        .value_kind:     by_value
      - .offset:         128
        .size:           4
        .value_kind:     by_value
      - .offset:         132
        .size:           4
        .value_kind:     by_value
      - .offset:         136
        .size:           4
        .value_kind:     by_value
      - .offset:         140
        .size:           4
        .value_kind:     by_value
      - .offset:         144
        .size:           4
        .value_kind:     by_value
      - .offset:         152
        .size:           8
        .value_kind:     by_value
      - .offset:         160
        .size:           4
        .value_kind:     by_value
      - .offset:         164
        .size:           4
        .value_kind:     by_value
      - .offset:         168
        .size:           8
        .value_kind:     by_value
      - .offset:         176
        .size:           4
        .value_kind:     by_value
      - .offset:         180
        .size:           4
        .value_kind:     by_value
      - .offset:         184
        .size:           4
        .value_kind:     by_value
      - .offset:         188
        .size:           4
        .value_kind:     by_value
      - .offset:         192
        .size:           4
        .value_kind:     by_value
      - .offset:         200
        .size:           8
        .value_kind:     by_value
      - .offset:         208
        .size:           4
        .value_kind:     hidden_block_count_x
      - .offset:         212
        .size:           4
        .value_kind:     hidden_block_count_y
      - .offset:         216
        .size:           4
        .value_kind:     hidden_block_count_z
      - .offset:         220
        .size:           2
        .value_kind:     hidden_group_size_x
      - .offset:         222
        .size:           2
        .value_kind:     hidden_group_size_y
      - .offset:         224
        .size:           2
        .value_kind:     hidden_group_size_z
      - .offset:         226
        .size:           2
        .value_kind:     hidden_remainder_x
      - .offset:         228
        .size:           2
        .value_kind:     hidden_remainder_y
      - .offset:         230
        .size:           2
        .value_kind:     hidden_remainder_z
      - .offset:         248
        .size:           8
        .value_kind:     hidden_global_offset_x
      - .offset:         256
        .size:           8
        .value_kind:     hidden_global_offset_y
      - .offset:         264
        .size:           8
        .value_kind:     hidden_global_offset_z
      - .offset:         272
        .size:           2
        .value_kind:     hidden_grid_dims
    .group_segment_fixed_size: 21504
    .kernarg_segment_align: 8
    .kernarg_segment_size: 464
    .language:       OpenCL C
    .language_version:
      - 2
      - 0
    .max_flat_workgroup_size: 128
    .name:           _ZL15flash_attn_tileILi256ELi256ELi4ELi2ELb1EEvPKcS1_S1_S1_S1_PKiPfP15HIP_vector_typeIfLj2EEffffjfiS5_IjLj3EEiiiiiiiiiiiliiliiiiil
    .private_segment_fixed_size: 0
    .sgpr_count:     45
    .sgpr_spill_count: 0
    .symbol:         _ZL15flash_attn_tileILi256ELi256ELi4ELi2ELb1EEvPKcS1_S1_S1_S1_PKiPfP15HIP_vector_typeIfLj2EEffffjfiS5_IjLj3EEiiiiiiiiiiiliiliiiiil.kd
    .uniform_work_group_size: 1
    .uses_dynamic_stack: false
    .vgpr_count:     147
    .vgpr_spill_count: 0
    .wavefront_size: 32
  - .args:
      - .address_space:  global
        .offset:         0
        .size:           8
        .value_kind:     global_buffer
      - .address_space:  global
        .offset:         8
        .size:           8
        .value_kind:     global_buffer
      - .address_space:  global
        .offset:         16
        .size:           8
        .value_kind:     global_buffer
      - .address_space:  global
        .offset:         24
        .size:           8
        .value_kind:     global_buffer
      - .address_space:  global
        .offset:         32
        .size:           8
        .value_kind:     global_buffer
      - .address_space:  global
        .offset:         40
        .size:           8
        .value_kind:     global_buffer
      - .address_space:  global
        .offset:         48
        .size:           8
        .value_kind:     global_buffer
      - .address_space:  global
        .offset:         56
        .size:           8
        .value_kind:     global_buffer
      - .offset:         64
        .size:           4
        .value_kind:     by_value
      - .offset:         68
        .size:           4
        .value_kind:     by_value
      - .offset:         72
        .size:           4
        .value_kind:     by_value
      - .offset:         76
        .size:           4
        .value_kind:     by_value
      - .offset:         80
        .size:           4
        .value_kind:     by_value
      - .offset:         84
        .size:           4
        .value_kind:     by_value
      - .offset:         88
        .size:           4
        .value_kind:     by_value
      - .offset:         92
        .size:           12
        .value_kind:     by_value
      - .offset:         104
        .size:           4
        .value_kind:     by_value
      - .offset:         108
        .size:           4
        .value_kind:     by_value
      - .offset:         112
        .size:           4
        .value_kind:     by_value
      - .offset:         116
        .size:           4
        .value_kind:     by_value
      - .offset:         120
        .size:           4
        .value_kind:     by_value
      - .offset:         124
        .size:           4
        .value_kind:     by_value
      - .offset:         128
        .size:           4
        .value_kind:     by_value
      - .offset:         132
        .size:           4
        .value_kind:     by_value
      - .offset:         136
        .size:           4
        .value_kind:     by_value
      - .offset:         140
        .size:           4
        .value_kind:     by_value
      - .offset:         144
        .size:           4
        .value_kind:     by_value
      - .offset:         152
        .size:           8
        .value_kind:     by_value
      - .offset:         160
        .size:           4
        .value_kind:     by_value
      - .offset:         164
        .size:           4
        .value_kind:     by_value
      - .offset:         168
        .size:           8
        .value_kind:     by_value
      - .offset:         176
        .size:           4
        .value_kind:     by_value
      - .offset:         180
        .size:           4
        .value_kind:     by_value
      - .offset:         184
        .size:           4
        .value_kind:     by_value
      - .offset:         188
        .size:           4
        .value_kind:     by_value
      - .offset:         192
        .size:           4
        .value_kind:     by_value
      - .offset:         200
        .size:           8
        .value_kind:     by_value
      - .offset:         208
        .size:           4
        .value_kind:     hidden_block_count_x
      - .offset:         212
        .size:           4
        .value_kind:     hidden_block_count_y
      - .offset:         216
        .size:           4
        .value_kind:     hidden_block_count_z
      - .offset:         220
        .size:           2
        .value_kind:     hidden_group_size_x
      - .offset:         222
        .size:           2
        .value_kind:     hidden_group_size_y
      - .offset:         224
        .size:           2
        .value_kind:     hidden_group_size_z
      - .offset:         226
        .size:           2
        .value_kind:     hidden_remainder_x
      - .offset:         228
        .size:           2
        .value_kind:     hidden_remainder_y
      - .offset:         230
        .size:           2
        .value_kind:     hidden_remainder_z
      - .offset:         248
        .size:           8
        .value_kind:     hidden_global_offset_x
      - .offset:         256
        .size:           8
        .value_kind:     hidden_global_offset_y
      - .offset:         264
        .size:           8
        .value_kind:     hidden_global_offset_z
      - .offset:         272
        .size:           2
        .value_kind:     hidden_grid_dims
    .group_segment_fixed_size: 19200
    .kernarg_segment_align: 8
    .kernarg_segment_size: 464
    .language:       OpenCL C
    .language_version:
      - 2
      - 0
    .max_flat_workgroup_size: 128
    .name:           _ZL15flash_attn_tileILi256ELi256ELi2ELi2ELb1EEvPKcS1_S1_S1_S1_PKiPfP15HIP_vector_typeIfLj2EEffffjfiS5_IjLj3EEiiiiiiiiiiiliiliiiiil
    .private_segment_fixed_size: 0
    .sgpr_count:     45
    .sgpr_spill_count: 0
    .symbol:         _ZL15flash_attn_tileILi256ELi256ELi2ELi2ELb1EEvPKcS1_S1_S1_S1_PKiPfP15HIP_vector_typeIfLj2EEffffjfiS5_IjLj3EEiiiiiiiiiiiliiliiiiil.kd
    .uniform_work_group_size: 1
    .uses_dynamic_stack: false
    .vgpr_count:     158
    .vgpr_spill_count: 0
    .wavefront_size: 32
  - .args:
      - .address_space:  global
        .offset:         0
        .size:           8
        .value_kind:     global_buffer
      - .address_space:  global
        .offset:         8
        .size:           8
        .value_kind:     global_buffer
      - .address_space:  global
        .offset:         16
        .size:           8
        .value_kind:     global_buffer
      - .address_space:  global
        .offset:         24
        .size:           8
        .value_kind:     global_buffer
      - .address_space:  global
        .offset:         32
        .size:           8
        .value_kind:     global_buffer
      - .address_space:  global
        .offset:         40
        .size:           8
        .value_kind:     global_buffer
      - .address_space:  global
        .offset:         48
        .size:           8
        .value_kind:     global_buffer
      - .address_space:  global
        .offset:         56
        .size:           8
        .value_kind:     global_buffer
      - .offset:         64
        .size:           4
        .value_kind:     by_value
      - .offset:         68
        .size:           4
        .value_kind:     by_value
      - .offset:         72
        .size:           4
        .value_kind:     by_value
      - .offset:         76
        .size:           4
        .value_kind:     by_value
      - .offset:         80
        .size:           4
        .value_kind:     by_value
      - .offset:         84
        .size:           4
        .value_kind:     by_value
      - .offset:         88
        .size:           4
        .value_kind:     by_value
      - .offset:         92
        .size:           12
        .value_kind:     by_value
      - .offset:         104
        .size:           4
        .value_kind:     by_value
      - .offset:         108
        .size:           4
        .value_kind:     by_value
      - .offset:         112
        .size:           4
        .value_kind:     by_value
      - .offset:         116
        .size:           4
        .value_kind:     by_value
      - .offset:         120
        .size:           4
        .value_kind:     by_value
      - .offset:         124
        .size:           4
        .value_kind:     by_value
      - .offset:         128
        .size:           4
        .value_kind:     by_value
      - .offset:         132
        .size:           4
        .value_kind:     by_value
      - .offset:         136
        .size:           4
        .value_kind:     by_value
      - .offset:         140
        .size:           4
        .value_kind:     by_value
      - .offset:         144
        .size:           4
        .value_kind:     by_value
      - .offset:         152
        .size:           8
        .value_kind:     by_value
      - .offset:         160
        .size:           4
        .value_kind:     by_value
      - .offset:         164
        .size:           4
        .value_kind:     by_value
      - .offset:         168
        .size:           8
        .value_kind:     by_value
      - .offset:         176
        .size:           4
        .value_kind:     by_value
      - .offset:         180
        .size:           4
        .value_kind:     by_value
      - .offset:         184
        .size:           4
        .value_kind:     by_value
      - .offset:         188
        .size:           4
        .value_kind:     by_value
      - .offset:         192
        .size:           4
        .value_kind:     by_value
      - .offset:         200
        .size:           8
        .value_kind:     by_value
      - .offset:         208
        .size:           4
        .value_kind:     hidden_block_count_x
      - .offset:         212
        .size:           4
        .value_kind:     hidden_block_count_y
      - .offset:         216
        .size:           4
        .value_kind:     hidden_block_count_z
      - .offset:         220
        .size:           2
        .value_kind:     hidden_group_size_x
      - .offset:         222
        .size:           2
        .value_kind:     hidden_group_size_y
      - .offset:         224
        .size:           2
        .value_kind:     hidden_group_size_z
      - .offset:         226
        .size:           2
        .value_kind:     hidden_remainder_x
      - .offset:         228
        .size:           2
        .value_kind:     hidden_remainder_y
      - .offset:         230
        .size:           2
        .value_kind:     hidden_remainder_z
      - .offset:         248
        .size:           8
        .value_kind:     hidden_global_offset_x
      - .offset:         256
        .size:           8
        .value_kind:     hidden_global_offset_y
      - .offset:         264
        .size:           8
        .value_kind:     hidden_global_offset_z
      - .offset:         272
        .size:           2
        .value_kind:     hidden_grid_dims
    .group_segment_fixed_size: 5760
    .kernarg_segment_align: 8
    .kernarg_segment_size: 464
    .language:       OpenCL C
    .language_version:
      - 2
      - 0
    .max_flat_workgroup_size: 64
    .name:           _ZL15flash_attn_tileILi256ELi256ELi1ELi2ELb1EEvPKcS1_S1_S1_S1_PKiPfP15HIP_vector_typeIfLj2EEffffjfiS5_IjLj3EEiiiiiiiiiiiliiliiiiil
    .private_segment_fixed_size: 0
    .sgpr_count:     45
    .sgpr_spill_count: 0
    .symbol:         _ZL15flash_attn_tileILi256ELi256ELi1ELi2ELb1EEvPKcS1_S1_S1_S1_PKiPfP15HIP_vector_typeIfLj2EEffffjfiS5_IjLj3EEiiiiiiiiiiiliiliiiiil.kd
    .uniform_work_group_size: 1
    .uses_dynamic_stack: false
    .vgpr_count:     111
    .vgpr_spill_count: 0
    .wavefront_size: 32
  - .args:
      - .address_space:  global
        .offset:         0
        .size:           8
        .value_kind:     global_buffer
      - .address_space:  global
        .offset:         8
        .size:           8
        .value_kind:     global_buffer
      - .address_space:  global
        .offset:         16
        .size:           8
        .value_kind:     global_buffer
      - .address_space:  global
        .offset:         24
        .size:           8
        .value_kind:     global_buffer
      - .address_space:  global
        .offset:         32
        .size:           8
        .value_kind:     global_buffer
      - .address_space:  global
        .offset:         40
        .size:           8
        .value_kind:     global_buffer
      - .address_space:  global
        .offset:         48
        .size:           8
        .value_kind:     global_buffer
      - .address_space:  global
        .offset:         56
        .size:           8
        .value_kind:     global_buffer
      - .offset:         64
        .size:           4
        .value_kind:     by_value
      - .offset:         68
        .size:           4
        .value_kind:     by_value
      - .offset:         72
        .size:           4
        .value_kind:     by_value
      - .offset:         76
        .size:           4
        .value_kind:     by_value
      - .offset:         80
        .size:           4
        .value_kind:     by_value
      - .offset:         84
        .size:           4
        .value_kind:     by_value
      - .offset:         88
        .size:           4
        .value_kind:     by_value
      - .offset:         92
        .size:           12
        .value_kind:     by_value
      - .offset:         104
        .size:           4
        .value_kind:     by_value
      - .offset:         108
        .size:           4
        .value_kind:     by_value
      - .offset:         112
        .size:           4
        .value_kind:     by_value
      - .offset:         116
        .size:           4
        .value_kind:     by_value
      - .offset:         120
        .size:           4
        .value_kind:     by_value
      - .offset:         124
        .size:           4
        .value_kind:     by_value
      - .offset:         128
        .size:           4
        .value_kind:     by_value
      - .offset:         132
        .size:           4
        .value_kind:     by_value
      - .offset:         136
        .size:           4
        .value_kind:     by_value
      - .offset:         140
        .size:           4
        .value_kind:     by_value
      - .offset:         144
        .size:           4
        .value_kind:     by_value
      - .offset:         152
        .size:           8
        .value_kind:     by_value
      - .offset:         160
        .size:           4
        .value_kind:     by_value
      - .offset:         164
        .size:           4
        .value_kind:     by_value
      - .offset:         168
        .size:           8
        .value_kind:     by_value
      - .offset:         176
        .size:           4
        .value_kind:     by_value
      - .offset:         180
        .size:           4
        .value_kind:     by_value
      - .offset:         184
        .size:           4
        .value_kind:     by_value
      - .offset:         188
        .size:           4
        .value_kind:     by_value
      - .offset:         192
        .size:           4
        .value_kind:     by_value
      - .offset:         200
        .size:           8
        .value_kind:     by_value
      - .offset:         208
        .size:           4
        .value_kind:     hidden_block_count_x
      - .offset:         212
        .size:           4
        .value_kind:     hidden_block_count_y
      - .offset:         216
        .size:           4
        .value_kind:     hidden_block_count_z
      - .offset:         220
        .size:           2
        .value_kind:     hidden_group_size_x
      - .offset:         222
        .size:           2
        .value_kind:     hidden_group_size_y
      - .offset:         224
        .size:           2
        .value_kind:     hidden_group_size_z
      - .offset:         226
        .size:           2
        .value_kind:     hidden_remainder_x
      - .offset:         228
        .size:           2
        .value_kind:     hidden_remainder_y
      - .offset:         230
        .size:           2
        .value_kind:     hidden_remainder_z
      - .offset:         248
        .size:           8
        .value_kind:     hidden_global_offset_x
      - .offset:         256
        .size:           8
        .value_kind:     hidden_global_offset_y
      - .offset:         264
        .size:           8
        .value_kind:     hidden_global_offset_z
      - .offset:         272
        .size:           2
        .value_kind:     hidden_grid_dims
    .group_segment_fixed_size: 37888
    .kernarg_segment_align: 8
    .kernarg_segment_size: 464
    .language:       OpenCL C
    .language_version:
      - 2
      - 0
    .max_flat_workgroup_size: 256
    .name:           _ZL15flash_attn_tileILi256ELi256ELi32ELi1ELb1EEvPKcS1_S1_S1_S1_PKiPfP15HIP_vector_typeIfLj2EEffffjfiS5_IjLj3EEiiiiiiiiiiiliiliiiiil
    .private_segment_fixed_size: 32
    .sgpr_count:     50
    .sgpr_spill_count: 0
    .symbol:         _ZL15flash_attn_tileILi256ELi256ELi32ELi1ELb1EEvPKcS1_S1_S1_S1_PKiPfP15HIP_vector_typeIfLj2EEffffjfiS5_IjLj3EEiiiiiiiiiiiliiliiiiil.kd
    .uniform_work_group_size: 1
    .uses_dynamic_stack: false
    .vgpr_count:     209
    .vgpr_spill_count: 0
    .wavefront_size: 32
  - .args:
      - .address_space:  global
        .offset:         0
        .size:           8
        .value_kind:     global_buffer
      - .address_space:  global
        .offset:         8
        .size:           8
        .value_kind:     global_buffer
      - .address_space:  global
        .offset:         16
        .size:           8
        .value_kind:     global_buffer
      - .address_space:  global
        .offset:         24
        .size:           8
        .value_kind:     global_buffer
      - .address_space:  global
        .offset:         32
        .size:           8
        .value_kind:     global_buffer
      - .address_space:  global
        .offset:         40
        .size:           8
        .value_kind:     global_buffer
      - .address_space:  global
        .offset:         48
        .size:           8
        .value_kind:     global_buffer
      - .address_space:  global
        .offset:         56
        .size:           8
        .value_kind:     global_buffer
      - .offset:         64
        .size:           4
        .value_kind:     by_value
      - .offset:         68
        .size:           4
        .value_kind:     by_value
      - .offset:         72
        .size:           4
        .value_kind:     by_value
      - .offset:         76
        .size:           4
        .value_kind:     by_value
      - .offset:         80
        .size:           4
        .value_kind:     by_value
      - .offset:         84
        .size:           4
        .value_kind:     by_value
      - .offset:         88
        .size:           4
        .value_kind:     by_value
      - .offset:         92
        .size:           12
        .value_kind:     by_value
      - .offset:         104
        .size:           4
        .value_kind:     by_value
      - .offset:         108
        .size:           4
        .value_kind:     by_value
      - .offset:         112
        .size:           4
        .value_kind:     by_value
      - .offset:         116
        .size:           4
        .value_kind:     by_value
      - .offset:         120
        .size:           4
        .value_kind:     by_value
      - .offset:         124
        .size:           4
        .value_kind:     by_value
      - .offset:         128
        .size:           4
        .value_kind:     by_value
      - .offset:         132
        .size:           4
        .value_kind:     by_value
      - .offset:         136
        .size:           4
        .value_kind:     by_value
      - .offset:         140
        .size:           4
        .value_kind:     by_value
      - .offset:         144
        .size:           4
        .value_kind:     by_value
      - .offset:         152
        .size:           8
        .value_kind:     by_value
      - .offset:         160
        .size:           4
        .value_kind:     by_value
      - .offset:         164
        .size:           4
        .value_kind:     by_value
      - .offset:         168
        .size:           8
        .value_kind:     by_value
      - .offset:         176
        .size:           4
        .value_kind:     by_value
      - .offset:         180
        .size:           4
        .value_kind:     by_value
      - .offset:         184
        .size:           4
        .value_kind:     by_value
      - .offset:         188
        .size:           4
        .value_kind:     by_value
      - .offset:         192
        .size:           4
        .value_kind:     by_value
      - .offset:         200
        .size:           8
        .value_kind:     by_value
      - .offset:         208
        .size:           4
        .value_kind:     hidden_block_count_x
      - .offset:         212
        .size:           4
        .value_kind:     hidden_block_count_y
      - .offset:         216
        .size:           4
        .value_kind:     hidden_block_count_z
      - .offset:         220
        .size:           2
        .value_kind:     hidden_group_size_x
      - .offset:         222
        .size:           2
        .value_kind:     hidden_group_size_y
      - .offset:         224
        .size:           2
        .value_kind:     hidden_group_size_z
      - .offset:         226
        .size:           2
        .value_kind:     hidden_remainder_x
      - .offset:         228
        .size:           2
        .value_kind:     hidden_remainder_y
      - .offset:         230
        .size:           2
        .value_kind:     hidden_remainder_z
      - .offset:         248
        .size:           8
        .value_kind:     hidden_global_offset_x
      - .offset:         256
        .size:           8
        .value_kind:     hidden_global_offset_y
      - .offset:         264
        .size:           8
        .value_kind:     hidden_global_offset_z
      - .offset:         272
        .size:           2
        .value_kind:     hidden_grid_dims
    .group_segment_fixed_size: 26112
    .kernarg_segment_align: 8
    .kernarg_segment_size: 464
    .language:       OpenCL C
    .language_version:
      - 2
      - 0
    .max_flat_workgroup_size: 256
    .name:           _ZL15flash_attn_tileILi256ELi256ELi16ELi1ELb1EEvPKcS1_S1_S1_S1_PKiPfP15HIP_vector_typeIfLj2EEffffjfiS5_IjLj3EEiiiiiiiiiiiliiliiiiil
    .private_segment_fixed_size: 32
    .sgpr_count:     50
    .sgpr_spill_count: 0
    .symbol:         _ZL15flash_attn_tileILi256ELi256ELi16ELi1ELb1EEvPKcS1_S1_S1_S1_PKiPfP15HIP_vector_typeIfLj2EEffffjfiS5_IjLj3EEiiiiiiiiiiiliiliiiiil.kd
    .uniform_work_group_size: 1
    .uses_dynamic_stack: false
    .vgpr_count:     170
    .vgpr_spill_count: 0
    .wavefront_size: 32
  - .args:
      - .address_space:  global
        .offset:         0
        .size:           8
        .value_kind:     global_buffer
      - .address_space:  global
        .offset:         8
        .size:           8
        .value_kind:     global_buffer
      - .address_space:  global
        .offset:         16
        .size:           8
        .value_kind:     global_buffer
      - .address_space:  global
        .offset:         24
        .size:           8
        .value_kind:     global_buffer
      - .address_space:  global
        .offset:         32
        .size:           8
        .value_kind:     global_buffer
      - .address_space:  global
        .offset:         40
        .size:           8
        .value_kind:     global_buffer
      - .address_space:  global
        .offset:         48
        .size:           8
        .value_kind:     global_buffer
      - .address_space:  global
        .offset:         56
        .size:           8
        .value_kind:     global_buffer
      - .offset:         64
        .size:           4
        .value_kind:     by_value
      - .offset:         68
        .size:           4
        .value_kind:     by_value
      - .offset:         72
        .size:           4
        .value_kind:     by_value
      - .offset:         76
        .size:           4
        .value_kind:     by_value
      - .offset:         80
        .size:           4
        .value_kind:     by_value
      - .offset:         84
        .size:           4
        .value_kind:     by_value
      - .offset:         88
        .size:           4
        .value_kind:     by_value
      - .offset:         92
        .size:           12
        .value_kind:     by_value
      - .offset:         104
        .size:           4
        .value_kind:     by_value
      - .offset:         108
        .size:           4
        .value_kind:     by_value
      - .offset:         112
        .size:           4
        .value_kind:     by_value
      - .offset:         116
        .size:           4
        .value_kind:     by_value
      - .offset:         120
        .size:           4
        .value_kind:     by_value
      - .offset:         124
        .size:           4
        .value_kind:     by_value
      - .offset:         128
        .size:           4
        .value_kind:     by_value
      - .offset:         132
        .size:           4
        .value_kind:     by_value
      - .offset:         136
        .size:           4
        .value_kind:     by_value
      - .offset:         140
        .size:           4
        .value_kind:     by_value
      - .offset:         144
        .size:           4
        .value_kind:     by_value
      - .offset:         152
        .size:           8
        .value_kind:     by_value
      - .offset:         160
        .size:           4
        .value_kind:     by_value
      - .offset:         164
        .size:           4
        .value_kind:     by_value
      - .offset:         168
        .size:           8
        .value_kind:     by_value
      - .offset:         176
        .size:           4
        .value_kind:     by_value
      - .offset:         180
        .size:           4
        .value_kind:     by_value
      - .offset:         184
        .size:           4
        .value_kind:     by_value
      - .offset:         188
        .size:           4
        .value_kind:     by_value
      - .offset:         192
        .size:           4
        .value_kind:     by_value
      - .offset:         200
        .size:           8
        .value_kind:     by_value
      - .offset:         208
        .size:           4
        .value_kind:     hidden_block_count_x
      - .offset:         212
        .size:           4
        .value_kind:     hidden_block_count_y
      - .offset:         216
        .size:           4
        .value_kind:     hidden_block_count_z
      - .offset:         220
        .size:           2
        .value_kind:     hidden_group_size_x
      - .offset:         222
        .size:           2
        .value_kind:     hidden_group_size_y
      - .offset:         224
        .size:           2
        .value_kind:     hidden_group_size_z
      - .offset:         226
        .size:           2
        .value_kind:     hidden_remainder_x
      - .offset:         228
        .size:           2
        .value_kind:     hidden_remainder_y
      - .offset:         230
        .size:           2
        .value_kind:     hidden_remainder_z
      - .offset:         248
        .size:           8
        .value_kind:     hidden_global_offset_x
      - .offset:         256
        .size:           8
        .value_kind:     hidden_global_offset_y
      - .offset:         264
        .size:           8
        .value_kind:     hidden_global_offset_z
      - .offset:         272
        .size:           2
        .value_kind:     hidden_grid_dims
    .group_segment_fixed_size: 21504
    .kernarg_segment_align: 8
    .kernarg_segment_size: 464
    .language:       OpenCL C
    .language_version:
      - 2
      - 0
    .max_flat_workgroup_size: 128
    .name:           _ZL15flash_attn_tileILi256ELi256ELi8ELi1ELb1EEvPKcS1_S1_S1_S1_PKiPfP15HIP_vector_typeIfLj2EEffffjfiS5_IjLj3EEiiiiiiiiiiiliiliiiiil
    .private_segment_fixed_size: 32
    .sgpr_count:     49
    .sgpr_spill_count: 0
    .symbol:         _ZL15flash_attn_tileILi256ELi256ELi8ELi1ELb1EEvPKcS1_S1_S1_S1_PKiPfP15HIP_vector_typeIfLj2EEffffjfiS5_IjLj3EEiiiiiiiiiiiliiliiiiil.kd
    .uniform_work_group_size: 1
    .uses_dynamic_stack: false
    .vgpr_count:     118
    .vgpr_spill_count: 0
    .wavefront_size: 32
  - .args:
      - .address_space:  global
        .offset:         0
        .size:           8
        .value_kind:     global_buffer
      - .address_space:  global
        .offset:         8
        .size:           8
        .value_kind:     global_buffer
      - .address_space:  global
        .offset:         16
        .size:           8
        .value_kind:     global_buffer
      - .address_space:  global
        .offset:         24
        .size:           8
        .value_kind:     global_buffer
      - .address_space:  global
        .offset:         32
        .size:           8
        .value_kind:     global_buffer
      - .address_space:  global
        .offset:         40
        .size:           8
        .value_kind:     global_buffer
      - .address_space:  global
        .offset:         48
        .size:           8
        .value_kind:     global_buffer
      - .address_space:  global
        .offset:         56
        .size:           8
        .value_kind:     global_buffer
      - .offset:         64
        .size:           4
        .value_kind:     by_value
      - .offset:         68
        .size:           4
        .value_kind:     by_value
      - .offset:         72
        .size:           4
        .value_kind:     by_value
      - .offset:         76
        .size:           4
        .value_kind:     by_value
      - .offset:         80
        .size:           4
        .value_kind:     by_value
      - .offset:         84
        .size:           4
        .value_kind:     by_value
      - .offset:         88
        .size:           4
        .value_kind:     by_value
      - .offset:         92
        .size:           12
        .value_kind:     by_value
      - .offset:         104
        .size:           4
        .value_kind:     by_value
      - .offset:         108
        .size:           4
        .value_kind:     by_value
      - .offset:         112
        .size:           4
        .value_kind:     by_value
      - .offset:         116
        .size:           4
        .value_kind:     by_value
      - .offset:         120
        .size:           4
        .value_kind:     by_value
      - .offset:         124
        .size:           4
        .value_kind:     by_value
      - .offset:         128
        .size:           4
        .value_kind:     by_value
      - .offset:         132
        .size:           4
        .value_kind:     by_value
      - .offset:         136
        .size:           4
        .value_kind:     by_value
      - .offset:         140
        .size:           4
        .value_kind:     by_value
      - .offset:         144
        .size:           4
        .value_kind:     by_value
      - .offset:         152
        .size:           8
        .value_kind:     by_value
      - .offset:         160
        .size:           4
        .value_kind:     by_value
      - .offset:         164
        .size:           4
        .value_kind:     by_value
      - .offset:         168
        .size:           8
        .value_kind:     by_value
      - .offset:         176
        .size:           4
        .value_kind:     by_value
      - .offset:         180
        .size:           4
        .value_kind:     by_value
      - .offset:         184
        .size:           4
        .value_kind:     by_value
      - .offset:         188
        .size:           4
        .value_kind:     by_value
      - .offset:         192
        .size:           4
        .value_kind:     by_value
      - .offset:         200
        .size:           8
        .value_kind:     by_value
      - .offset:         208
        .size:           4
        .value_kind:     hidden_block_count_x
      - .offset:         212
        .size:           4
        .value_kind:     hidden_block_count_y
      - .offset:         216
        .size:           4
        .value_kind:     hidden_block_count_z
      - .offset:         220
        .size:           2
        .value_kind:     hidden_group_size_x
      - .offset:         222
        .size:           2
        .value_kind:     hidden_group_size_y
      - .offset:         224
        .size:           2
        .value_kind:     hidden_group_size_z
      - .offset:         226
        .size:           2
        .value_kind:     hidden_remainder_x
      - .offset:         228
        .size:           2
        .value_kind:     hidden_remainder_y
      - .offset:         230
        .size:           2
        .value_kind:     hidden_remainder_z
      - .offset:         248
        .size:           8
        .value_kind:     hidden_global_offset_x
      - .offset:         256
        .size:           8
        .value_kind:     hidden_global_offset_y
      - .offset:         264
        .size:           8
        .value_kind:     hidden_global_offset_z
      - .offset:         272
        .size:           2
        .value_kind:     hidden_grid_dims
    .group_segment_fixed_size: 19200
    .kernarg_segment_align: 8
    .kernarg_segment_size: 464
    .language:       OpenCL C
    .language_version:
      - 2
      - 0
    .max_flat_workgroup_size: 128
    .name:           _ZL15flash_attn_tileILi256ELi256ELi4ELi1ELb1EEvPKcS1_S1_S1_S1_PKiPfP15HIP_vector_typeIfLj2EEffffjfiS5_IjLj3EEiiiiiiiiiiiliiliiiiil
    .private_segment_fixed_size: 32
    .sgpr_count:     49
    .sgpr_spill_count: 0
    .symbol:         _ZL15flash_attn_tileILi256ELi256ELi4ELi1ELb1EEvPKcS1_S1_S1_S1_PKiPfP15HIP_vector_typeIfLj2EEffffjfiS5_IjLj3EEiiiiiiiiiiiliiliiiiil.kd
    .uniform_work_group_size: 1
    .uses_dynamic_stack: false
    .vgpr_count:     159
    .vgpr_spill_count: 0
    .wavefront_size: 32
  - .args:
      - .address_space:  global
        .offset:         0
        .size:           8
        .value_kind:     global_buffer
      - .address_space:  global
        .offset:         8
        .size:           8
        .value_kind:     global_buffer
      - .address_space:  global
        .offset:         16
        .size:           8
        .value_kind:     global_buffer
      - .address_space:  global
        .offset:         24
        .size:           8
        .value_kind:     global_buffer
      - .address_space:  global
        .offset:         32
        .size:           8
        .value_kind:     global_buffer
      - .address_space:  global
        .offset:         40
        .size:           8
        .value_kind:     global_buffer
      - .address_space:  global
        .offset:         48
        .size:           8
        .value_kind:     global_buffer
      - .address_space:  global
        .offset:         56
        .size:           8
        .value_kind:     global_buffer
      - .offset:         64
        .size:           4
        .value_kind:     by_value
      - .offset:         68
        .size:           4
        .value_kind:     by_value
      - .offset:         72
        .size:           4
        .value_kind:     by_value
      - .offset:         76
        .size:           4
        .value_kind:     by_value
      - .offset:         80
        .size:           4
        .value_kind:     by_value
      - .offset:         84
        .size:           4
        .value_kind:     by_value
      - .offset:         88
        .size:           4
        .value_kind:     by_value
      - .offset:         92
        .size:           12
        .value_kind:     by_value
      - .offset:         104
        .size:           4
        .value_kind:     by_value
      - .offset:         108
        .size:           4
        .value_kind:     by_value
      - .offset:         112
        .size:           4
        .value_kind:     by_value
      - .offset:         116
        .size:           4
        .value_kind:     by_value
      - .offset:         120
        .size:           4
        .value_kind:     by_value
      - .offset:         124
        .size:           4
        .value_kind:     by_value
      - .offset:         128
        .size:           4
        .value_kind:     by_value
      - .offset:         132
        .size:           4
        .value_kind:     by_value
      - .offset:         136
        .size:           4
        .value_kind:     by_value
      - .offset:         140
        .size:           4
        .value_kind:     by_value
      - .offset:         144
        .size:           4
        .value_kind:     by_value
      - .offset:         152
        .size:           8
        .value_kind:     by_value
      - .offset:         160
        .size:           4
        .value_kind:     by_value
      - .offset:         164
        .size:           4
        .value_kind:     by_value
      - .offset:         168
        .size:           8
        .value_kind:     by_value
      - .offset:         176
        .size:           4
        .value_kind:     by_value
      - .offset:         180
        .size:           4
        .value_kind:     by_value
      - .offset:         184
        .size:           4
        .value_kind:     by_value
      - .offset:         188
        .size:           4
        .value_kind:     by_value
      - .offset:         192
        .size:           4
        .value_kind:     by_value
      - .offset:         200
        .size:           8
        .value_kind:     by_value
      - .offset:         208
        .size:           4
        .value_kind:     hidden_block_count_x
      - .offset:         212
        .size:           4
        .value_kind:     hidden_block_count_y
      - .offset:         216
        .size:           4
        .value_kind:     hidden_block_count_z
      - .offset:         220
        .size:           2
        .value_kind:     hidden_group_size_x
      - .offset:         222
        .size:           2
        .value_kind:     hidden_group_size_y
      - .offset:         224
        .size:           2
        .value_kind:     hidden_group_size_z
      - .offset:         226
        .size:           2
        .value_kind:     hidden_remainder_x
      - .offset:         228
        .size:           2
        .value_kind:     hidden_remainder_y
      - .offset:         230
        .size:           2
        .value_kind:     hidden_remainder_z
      - .offset:         248
        .size:           8
        .value_kind:     hidden_global_offset_x
      - .offset:         256
        .size:           8
        .value_kind:     hidden_global_offset_y
      - .offset:         264
        .size:           8
        .value_kind:     hidden_global_offset_z
      - .offset:         272
        .size:           2
        .value_kind:     hidden_grid_dims
    .group_segment_fixed_size: 5760
    .kernarg_segment_align: 8
    .kernarg_segment_size: 464
    .language:       OpenCL C
    .language_version:
      - 2
      - 0
    .max_flat_workgroup_size: 64
    .name:           _ZL15flash_attn_tileILi256ELi256ELi2ELi1ELb1EEvPKcS1_S1_S1_S1_PKiPfP15HIP_vector_typeIfLj2EEffffjfiS5_IjLj3EEiiiiiiiiiiiliiliiiiil
    .private_segment_fixed_size: 32
    .sgpr_count:     49
    .sgpr_spill_count: 0
    .symbol:         _ZL15flash_attn_tileILi256ELi256ELi2ELi1ELb1EEvPKcS1_S1_S1_S1_PKiPfP15HIP_vector_typeIfLj2EEffffjfiS5_IjLj3EEiiiiiiiiiiiliiliiiiil.kd
    .uniform_work_group_size: 1
    .uses_dynamic_stack: false
    .vgpr_count:     116
    .vgpr_spill_count: 0
    .wavefront_size: 32
amdhsa.target:   amdgcn-amd-amdhsa--gfx1250
amdhsa.version:
  - 1
  - 2
...

	.end_amdgpu_metadata
